;; amdgpu-corpus repo=ROCm/rocThrust kind=compiled arch=gfx90a opt=O3
	.text
	.amdgcn_target "amdgcn-amd-amdhsa--gfx90a"
	.amdhsa_code_object_version 6
	.section	.text._ZN6thrust23THRUST_200600_302600_NS11hip_rocprim14__parallel_for6kernelILj256ENS1_20__uninitialized_fill7functorINS0_10device_ptrIdEEdEEmLj1EEEvT0_T1_SA_,"axG",@progbits,_ZN6thrust23THRUST_200600_302600_NS11hip_rocprim14__parallel_for6kernelILj256ENS1_20__uninitialized_fill7functorINS0_10device_ptrIdEEdEEmLj1EEEvT0_T1_SA_,comdat
	.protected	_ZN6thrust23THRUST_200600_302600_NS11hip_rocprim14__parallel_for6kernelILj256ENS1_20__uninitialized_fill7functorINS0_10device_ptrIdEEdEEmLj1EEEvT0_T1_SA_ ; -- Begin function _ZN6thrust23THRUST_200600_302600_NS11hip_rocprim14__parallel_for6kernelILj256ENS1_20__uninitialized_fill7functorINS0_10device_ptrIdEEdEEmLj1EEEvT0_T1_SA_
	.globl	_ZN6thrust23THRUST_200600_302600_NS11hip_rocprim14__parallel_for6kernelILj256ENS1_20__uninitialized_fill7functorINS0_10device_ptrIdEEdEEmLj1EEEvT0_T1_SA_
	.p2align	8
	.type	_ZN6thrust23THRUST_200600_302600_NS11hip_rocprim14__parallel_for6kernelILj256ENS1_20__uninitialized_fill7functorINS0_10device_ptrIdEEdEEmLj1EEEvT0_T1_SA_,@function
_ZN6thrust23THRUST_200600_302600_NS11hip_rocprim14__parallel_for6kernelILj256ENS1_20__uninitialized_fill7functorINS0_10device_ptrIdEEdEEmLj1EEEvT0_T1_SA_: ; @_ZN6thrust23THRUST_200600_302600_NS11hip_rocprim14__parallel_for6kernelILj256ENS1_20__uninitialized_fill7functorINS0_10device_ptrIdEEdEEmLj1EEEvT0_T1_SA_
; %bb.0:
	s_load_dwordx8 s[8:15], s[4:5], 0x0
	s_lshl_b32 s0, s6, 8
	v_mov_b32_e32 v2, 0x100
	v_mov_b32_e32 v3, 0
	s_waitcnt lgkmcnt(0)
	s_add_u32 s0, s0, s14
	s_addc_u32 s1, 0, s15
	s_sub_u32 s2, s12, s0
	s_subb_u32 s3, s13, s1
	v_cmp_lt_u64_e32 vcc, s[2:3], v[2:3]
	s_cbranch_vccz .LBB0_2
; %bb.1:
	v_cmp_gt_u32_e32 vcc, s2, v0
	s_and_b64 s[2:3], vcc, exec
	s_cbranch_execz .LBB0_3
	s_branch .LBB0_4
.LBB0_2:
	s_mov_b64 s[2:3], 0
.LBB0_3:
	s_or_b64 s[2:3], s[2:3], exec
.LBB0_4:
	s_and_saveexec_b64 s[4:5], s[2:3]
	s_cbranch_execnz .LBB0_6
; %bb.5:
	s_endpgm
.LBB0_6:
	s_lshl_b64 s[0:1], s[0:1], 3
	v_mov_b32_e32 v1, 0
	s_add_u32 s0, s8, s0
	s_addc_u32 s1, s9, s1
	v_lshlrev_b64 v[0:1], 3, v[0:1]
	v_mov_b32_e32 v4, s1
	v_add_co_u32_e32 v0, vcc, s0, v0
	v_mov_b32_e32 v2, s10
	v_mov_b32_e32 v3, s11
	v_addc_co_u32_e32 v1, vcc, v4, v1, vcc
	flat_store_dwordx2 v[0:1], v[2:3]
	s_endpgm
	.section	.rodata,"a",@progbits
	.p2align	6, 0x0
	.amdhsa_kernel _ZN6thrust23THRUST_200600_302600_NS11hip_rocprim14__parallel_for6kernelILj256ENS1_20__uninitialized_fill7functorINS0_10device_ptrIdEEdEEmLj1EEEvT0_T1_SA_
		.amdhsa_group_segment_fixed_size 0
		.amdhsa_private_segment_fixed_size 0
		.amdhsa_kernarg_size 32
		.amdhsa_user_sgpr_count 6
		.amdhsa_user_sgpr_private_segment_buffer 1
		.amdhsa_user_sgpr_dispatch_ptr 0
		.amdhsa_user_sgpr_queue_ptr 0
		.amdhsa_user_sgpr_kernarg_segment_ptr 1
		.amdhsa_user_sgpr_dispatch_id 0
		.amdhsa_user_sgpr_flat_scratch_init 0
		.amdhsa_user_sgpr_kernarg_preload_length 0
		.amdhsa_user_sgpr_kernarg_preload_offset 0
		.amdhsa_user_sgpr_private_segment_size 0
		.amdhsa_uses_dynamic_stack 0
		.amdhsa_system_sgpr_private_segment_wavefront_offset 0
		.amdhsa_system_sgpr_workgroup_id_x 1
		.amdhsa_system_sgpr_workgroup_id_y 0
		.amdhsa_system_sgpr_workgroup_id_z 0
		.amdhsa_system_sgpr_workgroup_info 0
		.amdhsa_system_vgpr_workitem_id 0
		.amdhsa_next_free_vgpr 5
		.amdhsa_next_free_sgpr 16
		.amdhsa_accum_offset 8
		.amdhsa_reserve_vcc 1
		.amdhsa_reserve_flat_scratch 0
		.amdhsa_float_round_mode_32 0
		.amdhsa_float_round_mode_16_64 0
		.amdhsa_float_denorm_mode_32 3
		.amdhsa_float_denorm_mode_16_64 3
		.amdhsa_dx10_clamp 1
		.amdhsa_ieee_mode 1
		.amdhsa_fp16_overflow 0
		.amdhsa_tg_split 0
		.amdhsa_exception_fp_ieee_invalid_op 0
		.amdhsa_exception_fp_denorm_src 0
		.amdhsa_exception_fp_ieee_div_zero 0
		.amdhsa_exception_fp_ieee_overflow 0
		.amdhsa_exception_fp_ieee_underflow 0
		.amdhsa_exception_fp_ieee_inexact 0
		.amdhsa_exception_int_div_zero 0
	.end_amdhsa_kernel
	.section	.text._ZN6thrust23THRUST_200600_302600_NS11hip_rocprim14__parallel_for6kernelILj256ENS1_20__uninitialized_fill7functorINS0_10device_ptrIdEEdEEmLj1EEEvT0_T1_SA_,"axG",@progbits,_ZN6thrust23THRUST_200600_302600_NS11hip_rocprim14__parallel_for6kernelILj256ENS1_20__uninitialized_fill7functorINS0_10device_ptrIdEEdEEmLj1EEEvT0_T1_SA_,comdat
.Lfunc_end0:
	.size	_ZN6thrust23THRUST_200600_302600_NS11hip_rocprim14__parallel_for6kernelILj256ENS1_20__uninitialized_fill7functorINS0_10device_ptrIdEEdEEmLj1EEEvT0_T1_SA_, .Lfunc_end0-_ZN6thrust23THRUST_200600_302600_NS11hip_rocprim14__parallel_for6kernelILj256ENS1_20__uninitialized_fill7functorINS0_10device_ptrIdEEdEEmLj1EEEvT0_T1_SA_
                                        ; -- End function
	.section	.AMDGPU.csdata,"",@progbits
; Kernel info:
; codeLenInByte = 144
; NumSgprs: 20
; NumVgprs: 5
; NumAgprs: 0
; TotalNumVgprs: 5
; ScratchSize: 0
; MemoryBound: 0
; FloatMode: 240
; IeeeMode: 1
; LDSByteSize: 0 bytes/workgroup (compile time only)
; SGPRBlocks: 2
; VGPRBlocks: 0
; NumSGPRsForWavesPerEU: 20
; NumVGPRsForWavesPerEU: 5
; AccumOffset: 8
; Occupancy: 8
; WaveLimiterHint : 0
; COMPUTE_PGM_RSRC2:SCRATCH_EN: 0
; COMPUTE_PGM_RSRC2:USER_SGPR: 6
; COMPUTE_PGM_RSRC2:TRAP_HANDLER: 0
; COMPUTE_PGM_RSRC2:TGID_X_EN: 1
; COMPUTE_PGM_RSRC2:TGID_Y_EN: 0
; COMPUTE_PGM_RSRC2:TGID_Z_EN: 0
; COMPUTE_PGM_RSRC2:TIDIG_COMP_CNT: 0
; COMPUTE_PGM_RSRC3_GFX90A:ACCUM_OFFSET: 1
; COMPUTE_PGM_RSRC3_GFX90A:TG_SPLIT: 0
	.section	.text._ZN6thrust23THRUST_200600_302600_NS11hip_rocprim14__parallel_for6kernelILj256ENS1_20__uninitialized_fill7functorINS0_10device_ptrIlEElEEmLj1EEEvT0_T1_SA_,"axG",@progbits,_ZN6thrust23THRUST_200600_302600_NS11hip_rocprim14__parallel_for6kernelILj256ENS1_20__uninitialized_fill7functorINS0_10device_ptrIlEElEEmLj1EEEvT0_T1_SA_,comdat
	.protected	_ZN6thrust23THRUST_200600_302600_NS11hip_rocprim14__parallel_for6kernelILj256ENS1_20__uninitialized_fill7functorINS0_10device_ptrIlEElEEmLj1EEEvT0_T1_SA_ ; -- Begin function _ZN6thrust23THRUST_200600_302600_NS11hip_rocprim14__parallel_for6kernelILj256ENS1_20__uninitialized_fill7functorINS0_10device_ptrIlEElEEmLj1EEEvT0_T1_SA_
	.globl	_ZN6thrust23THRUST_200600_302600_NS11hip_rocprim14__parallel_for6kernelILj256ENS1_20__uninitialized_fill7functorINS0_10device_ptrIlEElEEmLj1EEEvT0_T1_SA_
	.p2align	8
	.type	_ZN6thrust23THRUST_200600_302600_NS11hip_rocprim14__parallel_for6kernelILj256ENS1_20__uninitialized_fill7functorINS0_10device_ptrIlEElEEmLj1EEEvT0_T1_SA_,@function
_ZN6thrust23THRUST_200600_302600_NS11hip_rocprim14__parallel_for6kernelILj256ENS1_20__uninitialized_fill7functorINS0_10device_ptrIlEElEEmLj1EEEvT0_T1_SA_: ; @_ZN6thrust23THRUST_200600_302600_NS11hip_rocprim14__parallel_for6kernelILj256ENS1_20__uninitialized_fill7functorINS0_10device_ptrIlEElEEmLj1EEEvT0_T1_SA_
; %bb.0:
	s_load_dwordx8 s[8:15], s[4:5], 0x0
	s_lshl_b32 s0, s6, 8
	v_mov_b32_e32 v2, 0x100
	v_mov_b32_e32 v3, 0
	s_waitcnt lgkmcnt(0)
	s_add_u32 s0, s0, s14
	s_addc_u32 s1, 0, s15
	s_sub_u32 s2, s12, s0
	s_subb_u32 s3, s13, s1
	v_cmp_lt_u64_e32 vcc, s[2:3], v[2:3]
	s_cbranch_vccz .LBB1_2
; %bb.1:
	v_cmp_gt_u32_e32 vcc, s2, v0
	s_and_b64 s[2:3], vcc, exec
	s_cbranch_execz .LBB1_3
	s_branch .LBB1_4
.LBB1_2:
	s_mov_b64 s[2:3], 0
.LBB1_3:
	s_or_b64 s[2:3], s[2:3], exec
.LBB1_4:
	s_and_saveexec_b64 s[4:5], s[2:3]
	s_cbranch_execnz .LBB1_6
; %bb.5:
	s_endpgm
.LBB1_6:
	s_lshl_b64 s[0:1], s[0:1], 3
	v_mov_b32_e32 v1, 0
	s_add_u32 s0, s8, s0
	s_addc_u32 s1, s9, s1
	v_lshlrev_b64 v[0:1], 3, v[0:1]
	v_mov_b32_e32 v4, s1
	v_add_co_u32_e32 v0, vcc, s0, v0
	v_mov_b32_e32 v2, s10
	v_mov_b32_e32 v3, s11
	v_addc_co_u32_e32 v1, vcc, v4, v1, vcc
	flat_store_dwordx2 v[0:1], v[2:3]
	s_endpgm
	.section	.rodata,"a",@progbits
	.p2align	6, 0x0
	.amdhsa_kernel _ZN6thrust23THRUST_200600_302600_NS11hip_rocprim14__parallel_for6kernelILj256ENS1_20__uninitialized_fill7functorINS0_10device_ptrIlEElEEmLj1EEEvT0_T1_SA_
		.amdhsa_group_segment_fixed_size 0
		.amdhsa_private_segment_fixed_size 0
		.amdhsa_kernarg_size 32
		.amdhsa_user_sgpr_count 6
		.amdhsa_user_sgpr_private_segment_buffer 1
		.amdhsa_user_sgpr_dispatch_ptr 0
		.amdhsa_user_sgpr_queue_ptr 0
		.amdhsa_user_sgpr_kernarg_segment_ptr 1
		.amdhsa_user_sgpr_dispatch_id 0
		.amdhsa_user_sgpr_flat_scratch_init 0
		.amdhsa_user_sgpr_kernarg_preload_length 0
		.amdhsa_user_sgpr_kernarg_preload_offset 0
		.amdhsa_user_sgpr_private_segment_size 0
		.amdhsa_uses_dynamic_stack 0
		.amdhsa_system_sgpr_private_segment_wavefront_offset 0
		.amdhsa_system_sgpr_workgroup_id_x 1
		.amdhsa_system_sgpr_workgroup_id_y 0
		.amdhsa_system_sgpr_workgroup_id_z 0
		.amdhsa_system_sgpr_workgroup_info 0
		.amdhsa_system_vgpr_workitem_id 0
		.amdhsa_next_free_vgpr 5
		.amdhsa_next_free_sgpr 16
		.amdhsa_accum_offset 8
		.amdhsa_reserve_vcc 1
		.amdhsa_reserve_flat_scratch 0
		.amdhsa_float_round_mode_32 0
		.amdhsa_float_round_mode_16_64 0
		.amdhsa_float_denorm_mode_32 3
		.amdhsa_float_denorm_mode_16_64 3
		.amdhsa_dx10_clamp 1
		.amdhsa_ieee_mode 1
		.amdhsa_fp16_overflow 0
		.amdhsa_tg_split 0
		.amdhsa_exception_fp_ieee_invalid_op 0
		.amdhsa_exception_fp_denorm_src 0
		.amdhsa_exception_fp_ieee_div_zero 0
		.amdhsa_exception_fp_ieee_overflow 0
		.amdhsa_exception_fp_ieee_underflow 0
		.amdhsa_exception_fp_ieee_inexact 0
		.amdhsa_exception_int_div_zero 0
	.end_amdhsa_kernel
	.section	.text._ZN6thrust23THRUST_200600_302600_NS11hip_rocprim14__parallel_for6kernelILj256ENS1_20__uninitialized_fill7functorINS0_10device_ptrIlEElEEmLj1EEEvT0_T1_SA_,"axG",@progbits,_ZN6thrust23THRUST_200600_302600_NS11hip_rocprim14__parallel_for6kernelILj256ENS1_20__uninitialized_fill7functorINS0_10device_ptrIlEElEEmLj1EEEvT0_T1_SA_,comdat
.Lfunc_end1:
	.size	_ZN6thrust23THRUST_200600_302600_NS11hip_rocprim14__parallel_for6kernelILj256ENS1_20__uninitialized_fill7functorINS0_10device_ptrIlEElEEmLj1EEEvT0_T1_SA_, .Lfunc_end1-_ZN6thrust23THRUST_200600_302600_NS11hip_rocprim14__parallel_for6kernelILj256ENS1_20__uninitialized_fill7functorINS0_10device_ptrIlEElEEmLj1EEEvT0_T1_SA_
                                        ; -- End function
	.section	.AMDGPU.csdata,"",@progbits
; Kernel info:
; codeLenInByte = 144
; NumSgprs: 20
; NumVgprs: 5
; NumAgprs: 0
; TotalNumVgprs: 5
; ScratchSize: 0
; MemoryBound: 0
; FloatMode: 240
; IeeeMode: 1
; LDSByteSize: 0 bytes/workgroup (compile time only)
; SGPRBlocks: 2
; VGPRBlocks: 0
; NumSGPRsForWavesPerEU: 20
; NumVGPRsForWavesPerEU: 5
; AccumOffset: 8
; Occupancy: 8
; WaveLimiterHint : 0
; COMPUTE_PGM_RSRC2:SCRATCH_EN: 0
; COMPUTE_PGM_RSRC2:USER_SGPR: 6
; COMPUTE_PGM_RSRC2:TRAP_HANDLER: 0
; COMPUTE_PGM_RSRC2:TGID_X_EN: 1
; COMPUTE_PGM_RSRC2:TGID_Y_EN: 0
; COMPUTE_PGM_RSRC2:TGID_Z_EN: 0
; COMPUTE_PGM_RSRC2:TIDIG_COMP_CNT: 0
; COMPUTE_PGM_RSRC3_GFX90A:ACCUM_OFFSET: 1
; COMPUTE_PGM_RSRC3_GFX90A:TG_SPLIT: 0
	.section	.text._Z18lower_bound_kernelIdEvmPT_Pl,"axG",@progbits,_Z18lower_bound_kernelIdEvmPT_Pl,comdat
	.protected	_Z18lower_bound_kernelIdEvmPT_Pl ; -- Begin function _Z18lower_bound_kernelIdEvmPT_Pl
	.globl	_Z18lower_bound_kernelIdEvmPT_Pl
	.p2align	8
	.type	_Z18lower_bound_kernelIdEvmPT_Pl,@function
_Z18lower_bound_kernelIdEvmPT_Pl:       ; @_Z18lower_bound_kernelIdEvmPT_Pl
; %bb.0:
	s_load_dwordx4 s[8:11], s[4:5], 0x0
	s_load_dwordx2 s[2:3], s[4:5], 0x10
	s_mov_b32 s4, 0
	v_pk_mov_b32 v[0:1], 0, 0
	v_mov_b32_e32 v2, 0
	s_waitcnt lgkmcnt(0)
	v_cmp_gt_i64_e64 s[0:1], s[8:9], 0
	v_cndmask_b32_e64 v3, 0, 1, s[0:1]
	v_cmp_ne_u32_e64 s[0:1], 1, v3
	s_mov_b32 s5, 0x40240000
	s_movk_i32 s14, 0xffe0
	s_branch .LBB2_2
.LBB2_1:                                ;   in Loop: Header=BB2_2 Depth=1
	v_pk_mov_b32 v[4:5], s[6:7], s[6:7] op_sel:[0,1]
	v_add_f64 v[0:1], v[0:1], 1.0
	global_store_dwordx2 v2, v[4:5], s[2:3]
	v_add_f64 v[4:5], -v[0:1], s[4:5]
	v_trunc_f64_e32 v[4:5], v[4:5]
	v_ldexp_f64 v[6:7], v[4:5], s14
	v_floor_f64_e32 v[6:7], v[6:7]
	v_fmac_f64_e32 v[4:5], 0xc1f00000, v[6:7]
	v_cvt_u32_f64_e32 v4, v[4:5]
	v_cvt_i32_f64_e32 v5, v[6:7]
	s_add_u32 s2, s2, 8
	v_cmp_ne_u64_e32 vcc, 0, v[4:5]
	s_addc_u32 s3, s3, 0
	s_cbranch_vccz .LBB2_5
.LBB2_2:                                ; =>This Loop Header: Depth=1
                                        ;     Child Loop BB2_4 Depth 2
	s_and_b64 vcc, exec, s[0:1]
	s_mov_b64 s[6:7], 0
	s_cbranch_vccnz .LBB2_1
; %bb.3:                                ;   in Loop: Header=BB2_2 Depth=1
	s_mov_b64 s[12:13], s[8:9]
.LBB2_4:                                ;   Parent Loop BB2_2 Depth=1
                                        ; =>  This Inner Loop Header: Depth=2
	s_sub_u32 s15, s12, s6
	s_subb_u32 s17, s13, s7
	s_lshr_b32 s16, s17, 31
	s_add_u32 s16, s15, s16
	s_addc_u32 s17, s17, 0
	s_ashr_i64 s[16:17], s[16:17], 1
	s_add_u32 s16, s16, s6
	s_addc_u32 s17, s17, s7
	s_lshl_b64 s[18:19], s[16:17], 3
	s_add_u32 s18, s10, s18
	s_addc_u32 s19, s11, s19
	s_load_dwordx2 s[18:19], s[18:19], 0x0
	s_add_u32 s15, s16, 1
	s_addc_u32 s20, s17, 0
	s_waitcnt lgkmcnt(0)
	v_cmp_lt_f64_e32 vcc, s[18:19], v[0:1]
	s_and_b64 s[18:19], vcc, exec
	s_cselect_b32 s13, s13, s17
	s_cselect_b32 s12, s12, s16
	;; [unrolled: 1-line block ×4, first 2 shown]
	v_pk_mov_b32 v[4:5], s[12:13], s[12:13] op_sel:[0,1]
	v_cmp_lt_i64_e32 vcc, s[6:7], v[4:5]
	s_cbranch_vccnz .LBB2_4
	s_branch .LBB2_1
.LBB2_5:
	s_endpgm
	.section	.rodata,"a",@progbits
	.p2align	6, 0x0
	.amdhsa_kernel _Z18lower_bound_kernelIdEvmPT_Pl
		.amdhsa_group_segment_fixed_size 0
		.amdhsa_private_segment_fixed_size 0
		.amdhsa_kernarg_size 24
		.amdhsa_user_sgpr_count 6
		.amdhsa_user_sgpr_private_segment_buffer 1
		.amdhsa_user_sgpr_dispatch_ptr 0
		.amdhsa_user_sgpr_queue_ptr 0
		.amdhsa_user_sgpr_kernarg_segment_ptr 1
		.amdhsa_user_sgpr_dispatch_id 0
		.amdhsa_user_sgpr_flat_scratch_init 0
		.amdhsa_user_sgpr_kernarg_preload_length 0
		.amdhsa_user_sgpr_kernarg_preload_offset 0
		.amdhsa_user_sgpr_private_segment_size 0
		.amdhsa_uses_dynamic_stack 0
		.amdhsa_system_sgpr_private_segment_wavefront_offset 0
		.amdhsa_system_sgpr_workgroup_id_x 1
		.amdhsa_system_sgpr_workgroup_id_y 0
		.amdhsa_system_sgpr_workgroup_id_z 0
		.amdhsa_system_sgpr_workgroup_info 0
		.amdhsa_system_vgpr_workitem_id 0
		.amdhsa_next_free_vgpr 8
		.amdhsa_next_free_sgpr 21
		.amdhsa_accum_offset 8
		.amdhsa_reserve_vcc 1
		.amdhsa_reserve_flat_scratch 0
		.amdhsa_float_round_mode_32 0
		.amdhsa_float_round_mode_16_64 0
		.amdhsa_float_denorm_mode_32 3
		.amdhsa_float_denorm_mode_16_64 3
		.amdhsa_dx10_clamp 1
		.amdhsa_ieee_mode 1
		.amdhsa_fp16_overflow 0
		.amdhsa_tg_split 0
		.amdhsa_exception_fp_ieee_invalid_op 0
		.amdhsa_exception_fp_denorm_src 0
		.amdhsa_exception_fp_ieee_div_zero 0
		.amdhsa_exception_fp_ieee_overflow 0
		.amdhsa_exception_fp_ieee_underflow 0
		.amdhsa_exception_fp_ieee_inexact 0
		.amdhsa_exception_int_div_zero 0
	.end_amdhsa_kernel
	.section	.text._Z18lower_bound_kernelIdEvmPT_Pl,"axG",@progbits,_Z18lower_bound_kernelIdEvmPT_Pl,comdat
.Lfunc_end2:
	.size	_Z18lower_bound_kernelIdEvmPT_Pl, .Lfunc_end2-_Z18lower_bound_kernelIdEvmPT_Pl
                                        ; -- End function
	.section	.AMDGPU.csdata,"",@progbits
; Kernel info:
; codeLenInByte = 284
; NumSgprs: 25
; NumVgprs: 8
; NumAgprs: 0
; TotalNumVgprs: 8
; ScratchSize: 0
; MemoryBound: 0
; FloatMode: 240
; IeeeMode: 1
; LDSByteSize: 0 bytes/workgroup (compile time only)
; SGPRBlocks: 3
; VGPRBlocks: 0
; NumSGPRsForWavesPerEU: 25
; NumVGPRsForWavesPerEU: 8
; AccumOffset: 8
; Occupancy: 8
; WaveLimiterHint : 0
; COMPUTE_PGM_RSRC2:SCRATCH_EN: 0
; COMPUTE_PGM_RSRC2:USER_SGPR: 6
; COMPUTE_PGM_RSRC2:TRAP_HANDLER: 0
; COMPUTE_PGM_RSRC2:TGID_X_EN: 1
; COMPUTE_PGM_RSRC2:TGID_Y_EN: 0
; COMPUTE_PGM_RSRC2:TGID_Z_EN: 0
; COMPUTE_PGM_RSRC2:TIDIG_COMP_CNT: 0
; COMPUTE_PGM_RSRC3_GFX90A:ACCUM_OFFSET: 1
; COMPUTE_PGM_RSRC3_GFX90A:TG_SPLIT: 0
	.section	.text._ZN7rocprim17ROCPRIM_400000_NS6detail17trampoline_kernelINS0_14default_configENS1_27lower_bound_config_selectorIdlEEZNS1_14transform_implILb0ES3_S5_N6thrust23THRUST_200600_302600_NS17counting_iteratorIdNS8_11use_defaultESA_SA_EEPlZNS1_13binary_searchIS3_S5_PdSB_SC_NS1_21lower_bound_search_opENS8_6detail16wrapped_functionI11custom_lessbEEEE10hipError_tPvRmT1_T2_T3_mmT4_T5_P12ihipStream_tbEUlRKdE_EESK_SO_SP_mSQ_ST_bEUlT_E_NS1_11comp_targetILNS1_3genE0ELNS1_11target_archE4294967295ELNS1_3gpuE0ELNS1_3repE0EEENS1_30default_config_static_selectorELNS0_4arch9wavefront6targetE1EEEvSN_,"axG",@progbits,_ZN7rocprim17ROCPRIM_400000_NS6detail17trampoline_kernelINS0_14default_configENS1_27lower_bound_config_selectorIdlEEZNS1_14transform_implILb0ES3_S5_N6thrust23THRUST_200600_302600_NS17counting_iteratorIdNS8_11use_defaultESA_SA_EEPlZNS1_13binary_searchIS3_S5_PdSB_SC_NS1_21lower_bound_search_opENS8_6detail16wrapped_functionI11custom_lessbEEEE10hipError_tPvRmT1_T2_T3_mmT4_T5_P12ihipStream_tbEUlRKdE_EESK_SO_SP_mSQ_ST_bEUlT_E_NS1_11comp_targetILNS1_3genE0ELNS1_11target_archE4294967295ELNS1_3gpuE0ELNS1_3repE0EEENS1_30default_config_static_selectorELNS0_4arch9wavefront6targetE1EEEvSN_,comdat
	.protected	_ZN7rocprim17ROCPRIM_400000_NS6detail17trampoline_kernelINS0_14default_configENS1_27lower_bound_config_selectorIdlEEZNS1_14transform_implILb0ES3_S5_N6thrust23THRUST_200600_302600_NS17counting_iteratorIdNS8_11use_defaultESA_SA_EEPlZNS1_13binary_searchIS3_S5_PdSB_SC_NS1_21lower_bound_search_opENS8_6detail16wrapped_functionI11custom_lessbEEEE10hipError_tPvRmT1_T2_T3_mmT4_T5_P12ihipStream_tbEUlRKdE_EESK_SO_SP_mSQ_ST_bEUlT_E_NS1_11comp_targetILNS1_3genE0ELNS1_11target_archE4294967295ELNS1_3gpuE0ELNS1_3repE0EEENS1_30default_config_static_selectorELNS0_4arch9wavefront6targetE1EEEvSN_ ; -- Begin function _ZN7rocprim17ROCPRIM_400000_NS6detail17trampoline_kernelINS0_14default_configENS1_27lower_bound_config_selectorIdlEEZNS1_14transform_implILb0ES3_S5_N6thrust23THRUST_200600_302600_NS17counting_iteratorIdNS8_11use_defaultESA_SA_EEPlZNS1_13binary_searchIS3_S5_PdSB_SC_NS1_21lower_bound_search_opENS8_6detail16wrapped_functionI11custom_lessbEEEE10hipError_tPvRmT1_T2_T3_mmT4_T5_P12ihipStream_tbEUlRKdE_EESK_SO_SP_mSQ_ST_bEUlT_E_NS1_11comp_targetILNS1_3genE0ELNS1_11target_archE4294967295ELNS1_3gpuE0ELNS1_3repE0EEENS1_30default_config_static_selectorELNS0_4arch9wavefront6targetE1EEEvSN_
	.globl	_ZN7rocprim17ROCPRIM_400000_NS6detail17trampoline_kernelINS0_14default_configENS1_27lower_bound_config_selectorIdlEEZNS1_14transform_implILb0ES3_S5_N6thrust23THRUST_200600_302600_NS17counting_iteratorIdNS8_11use_defaultESA_SA_EEPlZNS1_13binary_searchIS3_S5_PdSB_SC_NS1_21lower_bound_search_opENS8_6detail16wrapped_functionI11custom_lessbEEEE10hipError_tPvRmT1_T2_T3_mmT4_T5_P12ihipStream_tbEUlRKdE_EESK_SO_SP_mSQ_ST_bEUlT_E_NS1_11comp_targetILNS1_3genE0ELNS1_11target_archE4294967295ELNS1_3gpuE0ELNS1_3repE0EEENS1_30default_config_static_selectorELNS0_4arch9wavefront6targetE1EEEvSN_
	.p2align	8
	.type	_ZN7rocprim17ROCPRIM_400000_NS6detail17trampoline_kernelINS0_14default_configENS1_27lower_bound_config_selectorIdlEEZNS1_14transform_implILb0ES3_S5_N6thrust23THRUST_200600_302600_NS17counting_iteratorIdNS8_11use_defaultESA_SA_EEPlZNS1_13binary_searchIS3_S5_PdSB_SC_NS1_21lower_bound_search_opENS8_6detail16wrapped_functionI11custom_lessbEEEE10hipError_tPvRmT1_T2_T3_mmT4_T5_P12ihipStream_tbEUlRKdE_EESK_SO_SP_mSQ_ST_bEUlT_E_NS1_11comp_targetILNS1_3genE0ELNS1_11target_archE4294967295ELNS1_3gpuE0ELNS1_3repE0EEENS1_30default_config_static_selectorELNS0_4arch9wavefront6targetE1EEEvSN_,@function
_ZN7rocprim17ROCPRIM_400000_NS6detail17trampoline_kernelINS0_14default_configENS1_27lower_bound_config_selectorIdlEEZNS1_14transform_implILb0ES3_S5_N6thrust23THRUST_200600_302600_NS17counting_iteratorIdNS8_11use_defaultESA_SA_EEPlZNS1_13binary_searchIS3_S5_PdSB_SC_NS1_21lower_bound_search_opENS8_6detail16wrapped_functionI11custom_lessbEEEE10hipError_tPvRmT1_T2_T3_mmT4_T5_P12ihipStream_tbEUlRKdE_EESK_SO_SP_mSQ_ST_bEUlT_E_NS1_11comp_targetILNS1_3genE0ELNS1_11target_archE4294967295ELNS1_3gpuE0ELNS1_3repE0EEENS1_30default_config_static_selectorELNS0_4arch9wavefront6targetE1EEEvSN_: ; @_ZN7rocprim17ROCPRIM_400000_NS6detail17trampoline_kernelINS0_14default_configENS1_27lower_bound_config_selectorIdlEEZNS1_14transform_implILb0ES3_S5_N6thrust23THRUST_200600_302600_NS17counting_iteratorIdNS8_11use_defaultESA_SA_EEPlZNS1_13binary_searchIS3_S5_PdSB_SC_NS1_21lower_bound_search_opENS8_6detail16wrapped_functionI11custom_lessbEEEE10hipError_tPvRmT1_T2_T3_mmT4_T5_P12ihipStream_tbEUlRKdE_EESK_SO_SP_mSQ_ST_bEUlT_E_NS1_11comp_targetILNS1_3genE0ELNS1_11target_archE4294967295ELNS1_3gpuE0ELNS1_3repE0EEENS1_30default_config_static_selectorELNS0_4arch9wavefront6targetE1EEEvSN_
; %bb.0:
	.section	.rodata,"a",@progbits
	.p2align	6, 0x0
	.amdhsa_kernel _ZN7rocprim17ROCPRIM_400000_NS6detail17trampoline_kernelINS0_14default_configENS1_27lower_bound_config_selectorIdlEEZNS1_14transform_implILb0ES3_S5_N6thrust23THRUST_200600_302600_NS17counting_iteratorIdNS8_11use_defaultESA_SA_EEPlZNS1_13binary_searchIS3_S5_PdSB_SC_NS1_21lower_bound_search_opENS8_6detail16wrapped_functionI11custom_lessbEEEE10hipError_tPvRmT1_T2_T3_mmT4_T5_P12ihipStream_tbEUlRKdE_EESK_SO_SP_mSQ_ST_bEUlT_E_NS1_11comp_targetILNS1_3genE0ELNS1_11target_archE4294967295ELNS1_3gpuE0ELNS1_3repE0EEENS1_30default_config_static_selectorELNS0_4arch9wavefront6targetE1EEEvSN_
		.amdhsa_group_segment_fixed_size 0
		.amdhsa_private_segment_fixed_size 0
		.amdhsa_kernarg_size 56
		.amdhsa_user_sgpr_count 6
		.amdhsa_user_sgpr_private_segment_buffer 1
		.amdhsa_user_sgpr_dispatch_ptr 0
		.amdhsa_user_sgpr_queue_ptr 0
		.amdhsa_user_sgpr_kernarg_segment_ptr 1
		.amdhsa_user_sgpr_dispatch_id 0
		.amdhsa_user_sgpr_flat_scratch_init 0
		.amdhsa_user_sgpr_kernarg_preload_length 0
		.amdhsa_user_sgpr_kernarg_preload_offset 0
		.amdhsa_user_sgpr_private_segment_size 0
		.amdhsa_uses_dynamic_stack 0
		.amdhsa_system_sgpr_private_segment_wavefront_offset 0
		.amdhsa_system_sgpr_workgroup_id_x 1
		.amdhsa_system_sgpr_workgroup_id_y 0
		.amdhsa_system_sgpr_workgroup_id_z 0
		.amdhsa_system_sgpr_workgroup_info 0
		.amdhsa_system_vgpr_workitem_id 0
		.amdhsa_next_free_vgpr 1
		.amdhsa_next_free_sgpr 0
		.amdhsa_accum_offset 4
		.amdhsa_reserve_vcc 0
		.amdhsa_reserve_flat_scratch 0
		.amdhsa_float_round_mode_32 0
		.amdhsa_float_round_mode_16_64 0
		.amdhsa_float_denorm_mode_32 3
		.amdhsa_float_denorm_mode_16_64 3
		.amdhsa_dx10_clamp 1
		.amdhsa_ieee_mode 1
		.amdhsa_fp16_overflow 0
		.amdhsa_tg_split 0
		.amdhsa_exception_fp_ieee_invalid_op 0
		.amdhsa_exception_fp_denorm_src 0
		.amdhsa_exception_fp_ieee_div_zero 0
		.amdhsa_exception_fp_ieee_overflow 0
		.amdhsa_exception_fp_ieee_underflow 0
		.amdhsa_exception_fp_ieee_inexact 0
		.amdhsa_exception_int_div_zero 0
	.end_amdhsa_kernel
	.section	.text._ZN7rocprim17ROCPRIM_400000_NS6detail17trampoline_kernelINS0_14default_configENS1_27lower_bound_config_selectorIdlEEZNS1_14transform_implILb0ES3_S5_N6thrust23THRUST_200600_302600_NS17counting_iteratorIdNS8_11use_defaultESA_SA_EEPlZNS1_13binary_searchIS3_S5_PdSB_SC_NS1_21lower_bound_search_opENS8_6detail16wrapped_functionI11custom_lessbEEEE10hipError_tPvRmT1_T2_T3_mmT4_T5_P12ihipStream_tbEUlRKdE_EESK_SO_SP_mSQ_ST_bEUlT_E_NS1_11comp_targetILNS1_3genE0ELNS1_11target_archE4294967295ELNS1_3gpuE0ELNS1_3repE0EEENS1_30default_config_static_selectorELNS0_4arch9wavefront6targetE1EEEvSN_,"axG",@progbits,_ZN7rocprim17ROCPRIM_400000_NS6detail17trampoline_kernelINS0_14default_configENS1_27lower_bound_config_selectorIdlEEZNS1_14transform_implILb0ES3_S5_N6thrust23THRUST_200600_302600_NS17counting_iteratorIdNS8_11use_defaultESA_SA_EEPlZNS1_13binary_searchIS3_S5_PdSB_SC_NS1_21lower_bound_search_opENS8_6detail16wrapped_functionI11custom_lessbEEEE10hipError_tPvRmT1_T2_T3_mmT4_T5_P12ihipStream_tbEUlRKdE_EESK_SO_SP_mSQ_ST_bEUlT_E_NS1_11comp_targetILNS1_3genE0ELNS1_11target_archE4294967295ELNS1_3gpuE0ELNS1_3repE0EEENS1_30default_config_static_selectorELNS0_4arch9wavefront6targetE1EEEvSN_,comdat
.Lfunc_end3:
	.size	_ZN7rocprim17ROCPRIM_400000_NS6detail17trampoline_kernelINS0_14default_configENS1_27lower_bound_config_selectorIdlEEZNS1_14transform_implILb0ES3_S5_N6thrust23THRUST_200600_302600_NS17counting_iteratorIdNS8_11use_defaultESA_SA_EEPlZNS1_13binary_searchIS3_S5_PdSB_SC_NS1_21lower_bound_search_opENS8_6detail16wrapped_functionI11custom_lessbEEEE10hipError_tPvRmT1_T2_T3_mmT4_T5_P12ihipStream_tbEUlRKdE_EESK_SO_SP_mSQ_ST_bEUlT_E_NS1_11comp_targetILNS1_3genE0ELNS1_11target_archE4294967295ELNS1_3gpuE0ELNS1_3repE0EEENS1_30default_config_static_selectorELNS0_4arch9wavefront6targetE1EEEvSN_, .Lfunc_end3-_ZN7rocprim17ROCPRIM_400000_NS6detail17trampoline_kernelINS0_14default_configENS1_27lower_bound_config_selectorIdlEEZNS1_14transform_implILb0ES3_S5_N6thrust23THRUST_200600_302600_NS17counting_iteratorIdNS8_11use_defaultESA_SA_EEPlZNS1_13binary_searchIS3_S5_PdSB_SC_NS1_21lower_bound_search_opENS8_6detail16wrapped_functionI11custom_lessbEEEE10hipError_tPvRmT1_T2_T3_mmT4_T5_P12ihipStream_tbEUlRKdE_EESK_SO_SP_mSQ_ST_bEUlT_E_NS1_11comp_targetILNS1_3genE0ELNS1_11target_archE4294967295ELNS1_3gpuE0ELNS1_3repE0EEENS1_30default_config_static_selectorELNS0_4arch9wavefront6targetE1EEEvSN_
                                        ; -- End function
	.section	.AMDGPU.csdata,"",@progbits
; Kernel info:
; codeLenInByte = 0
; NumSgprs: 4
; NumVgprs: 0
; NumAgprs: 0
; TotalNumVgprs: 0
; ScratchSize: 0
; MemoryBound: 0
; FloatMode: 240
; IeeeMode: 1
; LDSByteSize: 0 bytes/workgroup (compile time only)
; SGPRBlocks: 0
; VGPRBlocks: 0
; NumSGPRsForWavesPerEU: 4
; NumVGPRsForWavesPerEU: 1
; AccumOffset: 4
; Occupancy: 8
; WaveLimiterHint : 0
; COMPUTE_PGM_RSRC2:SCRATCH_EN: 0
; COMPUTE_PGM_RSRC2:USER_SGPR: 6
; COMPUTE_PGM_RSRC2:TRAP_HANDLER: 0
; COMPUTE_PGM_RSRC2:TGID_X_EN: 1
; COMPUTE_PGM_RSRC2:TGID_Y_EN: 0
; COMPUTE_PGM_RSRC2:TGID_Z_EN: 0
; COMPUTE_PGM_RSRC2:TIDIG_COMP_CNT: 0
; COMPUTE_PGM_RSRC3_GFX90A:ACCUM_OFFSET: 0
; COMPUTE_PGM_RSRC3_GFX90A:TG_SPLIT: 0
	.section	.text._ZN7rocprim17ROCPRIM_400000_NS6detail17trampoline_kernelINS0_14default_configENS1_27lower_bound_config_selectorIdlEEZNS1_14transform_implILb0ES3_S5_N6thrust23THRUST_200600_302600_NS17counting_iteratorIdNS8_11use_defaultESA_SA_EEPlZNS1_13binary_searchIS3_S5_PdSB_SC_NS1_21lower_bound_search_opENS8_6detail16wrapped_functionI11custom_lessbEEEE10hipError_tPvRmT1_T2_T3_mmT4_T5_P12ihipStream_tbEUlRKdE_EESK_SO_SP_mSQ_ST_bEUlT_E_NS1_11comp_targetILNS1_3genE5ELNS1_11target_archE942ELNS1_3gpuE9ELNS1_3repE0EEENS1_30default_config_static_selectorELNS0_4arch9wavefront6targetE1EEEvSN_,"axG",@progbits,_ZN7rocprim17ROCPRIM_400000_NS6detail17trampoline_kernelINS0_14default_configENS1_27lower_bound_config_selectorIdlEEZNS1_14transform_implILb0ES3_S5_N6thrust23THRUST_200600_302600_NS17counting_iteratorIdNS8_11use_defaultESA_SA_EEPlZNS1_13binary_searchIS3_S5_PdSB_SC_NS1_21lower_bound_search_opENS8_6detail16wrapped_functionI11custom_lessbEEEE10hipError_tPvRmT1_T2_T3_mmT4_T5_P12ihipStream_tbEUlRKdE_EESK_SO_SP_mSQ_ST_bEUlT_E_NS1_11comp_targetILNS1_3genE5ELNS1_11target_archE942ELNS1_3gpuE9ELNS1_3repE0EEENS1_30default_config_static_selectorELNS0_4arch9wavefront6targetE1EEEvSN_,comdat
	.protected	_ZN7rocprim17ROCPRIM_400000_NS6detail17trampoline_kernelINS0_14default_configENS1_27lower_bound_config_selectorIdlEEZNS1_14transform_implILb0ES3_S5_N6thrust23THRUST_200600_302600_NS17counting_iteratorIdNS8_11use_defaultESA_SA_EEPlZNS1_13binary_searchIS3_S5_PdSB_SC_NS1_21lower_bound_search_opENS8_6detail16wrapped_functionI11custom_lessbEEEE10hipError_tPvRmT1_T2_T3_mmT4_T5_P12ihipStream_tbEUlRKdE_EESK_SO_SP_mSQ_ST_bEUlT_E_NS1_11comp_targetILNS1_3genE5ELNS1_11target_archE942ELNS1_3gpuE9ELNS1_3repE0EEENS1_30default_config_static_selectorELNS0_4arch9wavefront6targetE1EEEvSN_ ; -- Begin function _ZN7rocprim17ROCPRIM_400000_NS6detail17trampoline_kernelINS0_14default_configENS1_27lower_bound_config_selectorIdlEEZNS1_14transform_implILb0ES3_S5_N6thrust23THRUST_200600_302600_NS17counting_iteratorIdNS8_11use_defaultESA_SA_EEPlZNS1_13binary_searchIS3_S5_PdSB_SC_NS1_21lower_bound_search_opENS8_6detail16wrapped_functionI11custom_lessbEEEE10hipError_tPvRmT1_T2_T3_mmT4_T5_P12ihipStream_tbEUlRKdE_EESK_SO_SP_mSQ_ST_bEUlT_E_NS1_11comp_targetILNS1_3genE5ELNS1_11target_archE942ELNS1_3gpuE9ELNS1_3repE0EEENS1_30default_config_static_selectorELNS0_4arch9wavefront6targetE1EEEvSN_
	.globl	_ZN7rocprim17ROCPRIM_400000_NS6detail17trampoline_kernelINS0_14default_configENS1_27lower_bound_config_selectorIdlEEZNS1_14transform_implILb0ES3_S5_N6thrust23THRUST_200600_302600_NS17counting_iteratorIdNS8_11use_defaultESA_SA_EEPlZNS1_13binary_searchIS3_S5_PdSB_SC_NS1_21lower_bound_search_opENS8_6detail16wrapped_functionI11custom_lessbEEEE10hipError_tPvRmT1_T2_T3_mmT4_T5_P12ihipStream_tbEUlRKdE_EESK_SO_SP_mSQ_ST_bEUlT_E_NS1_11comp_targetILNS1_3genE5ELNS1_11target_archE942ELNS1_3gpuE9ELNS1_3repE0EEENS1_30default_config_static_selectorELNS0_4arch9wavefront6targetE1EEEvSN_
	.p2align	8
	.type	_ZN7rocprim17ROCPRIM_400000_NS6detail17trampoline_kernelINS0_14default_configENS1_27lower_bound_config_selectorIdlEEZNS1_14transform_implILb0ES3_S5_N6thrust23THRUST_200600_302600_NS17counting_iteratorIdNS8_11use_defaultESA_SA_EEPlZNS1_13binary_searchIS3_S5_PdSB_SC_NS1_21lower_bound_search_opENS8_6detail16wrapped_functionI11custom_lessbEEEE10hipError_tPvRmT1_T2_T3_mmT4_T5_P12ihipStream_tbEUlRKdE_EESK_SO_SP_mSQ_ST_bEUlT_E_NS1_11comp_targetILNS1_3genE5ELNS1_11target_archE942ELNS1_3gpuE9ELNS1_3repE0EEENS1_30default_config_static_selectorELNS0_4arch9wavefront6targetE1EEEvSN_,@function
_ZN7rocprim17ROCPRIM_400000_NS6detail17trampoline_kernelINS0_14default_configENS1_27lower_bound_config_selectorIdlEEZNS1_14transform_implILb0ES3_S5_N6thrust23THRUST_200600_302600_NS17counting_iteratorIdNS8_11use_defaultESA_SA_EEPlZNS1_13binary_searchIS3_S5_PdSB_SC_NS1_21lower_bound_search_opENS8_6detail16wrapped_functionI11custom_lessbEEEE10hipError_tPvRmT1_T2_T3_mmT4_T5_P12ihipStream_tbEUlRKdE_EESK_SO_SP_mSQ_ST_bEUlT_E_NS1_11comp_targetILNS1_3genE5ELNS1_11target_archE942ELNS1_3gpuE9ELNS1_3repE0EEENS1_30default_config_static_selectorELNS0_4arch9wavefront6targetE1EEEvSN_: ; @_ZN7rocprim17ROCPRIM_400000_NS6detail17trampoline_kernelINS0_14default_configENS1_27lower_bound_config_selectorIdlEEZNS1_14transform_implILb0ES3_S5_N6thrust23THRUST_200600_302600_NS17counting_iteratorIdNS8_11use_defaultESA_SA_EEPlZNS1_13binary_searchIS3_S5_PdSB_SC_NS1_21lower_bound_search_opENS8_6detail16wrapped_functionI11custom_lessbEEEE10hipError_tPvRmT1_T2_T3_mmT4_T5_P12ihipStream_tbEUlRKdE_EESK_SO_SP_mSQ_ST_bEUlT_E_NS1_11comp_targetILNS1_3genE5ELNS1_11target_archE942ELNS1_3gpuE9ELNS1_3repE0EEENS1_30default_config_static_selectorELNS0_4arch9wavefront6targetE1EEEvSN_
; %bb.0:
	.section	.rodata,"a",@progbits
	.p2align	6, 0x0
	.amdhsa_kernel _ZN7rocprim17ROCPRIM_400000_NS6detail17trampoline_kernelINS0_14default_configENS1_27lower_bound_config_selectorIdlEEZNS1_14transform_implILb0ES3_S5_N6thrust23THRUST_200600_302600_NS17counting_iteratorIdNS8_11use_defaultESA_SA_EEPlZNS1_13binary_searchIS3_S5_PdSB_SC_NS1_21lower_bound_search_opENS8_6detail16wrapped_functionI11custom_lessbEEEE10hipError_tPvRmT1_T2_T3_mmT4_T5_P12ihipStream_tbEUlRKdE_EESK_SO_SP_mSQ_ST_bEUlT_E_NS1_11comp_targetILNS1_3genE5ELNS1_11target_archE942ELNS1_3gpuE9ELNS1_3repE0EEENS1_30default_config_static_selectorELNS0_4arch9wavefront6targetE1EEEvSN_
		.amdhsa_group_segment_fixed_size 0
		.amdhsa_private_segment_fixed_size 0
		.amdhsa_kernarg_size 56
		.amdhsa_user_sgpr_count 6
		.amdhsa_user_sgpr_private_segment_buffer 1
		.amdhsa_user_sgpr_dispatch_ptr 0
		.amdhsa_user_sgpr_queue_ptr 0
		.amdhsa_user_sgpr_kernarg_segment_ptr 1
		.amdhsa_user_sgpr_dispatch_id 0
		.amdhsa_user_sgpr_flat_scratch_init 0
		.amdhsa_user_sgpr_kernarg_preload_length 0
		.amdhsa_user_sgpr_kernarg_preload_offset 0
		.amdhsa_user_sgpr_private_segment_size 0
		.amdhsa_uses_dynamic_stack 0
		.amdhsa_system_sgpr_private_segment_wavefront_offset 0
		.amdhsa_system_sgpr_workgroup_id_x 1
		.amdhsa_system_sgpr_workgroup_id_y 0
		.amdhsa_system_sgpr_workgroup_id_z 0
		.amdhsa_system_sgpr_workgroup_info 0
		.amdhsa_system_vgpr_workitem_id 0
		.amdhsa_next_free_vgpr 1
		.amdhsa_next_free_sgpr 0
		.amdhsa_accum_offset 4
		.amdhsa_reserve_vcc 0
		.amdhsa_reserve_flat_scratch 0
		.amdhsa_float_round_mode_32 0
		.amdhsa_float_round_mode_16_64 0
		.amdhsa_float_denorm_mode_32 3
		.amdhsa_float_denorm_mode_16_64 3
		.amdhsa_dx10_clamp 1
		.amdhsa_ieee_mode 1
		.amdhsa_fp16_overflow 0
		.amdhsa_tg_split 0
		.amdhsa_exception_fp_ieee_invalid_op 0
		.amdhsa_exception_fp_denorm_src 0
		.amdhsa_exception_fp_ieee_div_zero 0
		.amdhsa_exception_fp_ieee_overflow 0
		.amdhsa_exception_fp_ieee_underflow 0
		.amdhsa_exception_fp_ieee_inexact 0
		.amdhsa_exception_int_div_zero 0
	.end_amdhsa_kernel
	.section	.text._ZN7rocprim17ROCPRIM_400000_NS6detail17trampoline_kernelINS0_14default_configENS1_27lower_bound_config_selectorIdlEEZNS1_14transform_implILb0ES3_S5_N6thrust23THRUST_200600_302600_NS17counting_iteratorIdNS8_11use_defaultESA_SA_EEPlZNS1_13binary_searchIS3_S5_PdSB_SC_NS1_21lower_bound_search_opENS8_6detail16wrapped_functionI11custom_lessbEEEE10hipError_tPvRmT1_T2_T3_mmT4_T5_P12ihipStream_tbEUlRKdE_EESK_SO_SP_mSQ_ST_bEUlT_E_NS1_11comp_targetILNS1_3genE5ELNS1_11target_archE942ELNS1_3gpuE9ELNS1_3repE0EEENS1_30default_config_static_selectorELNS0_4arch9wavefront6targetE1EEEvSN_,"axG",@progbits,_ZN7rocprim17ROCPRIM_400000_NS6detail17trampoline_kernelINS0_14default_configENS1_27lower_bound_config_selectorIdlEEZNS1_14transform_implILb0ES3_S5_N6thrust23THRUST_200600_302600_NS17counting_iteratorIdNS8_11use_defaultESA_SA_EEPlZNS1_13binary_searchIS3_S5_PdSB_SC_NS1_21lower_bound_search_opENS8_6detail16wrapped_functionI11custom_lessbEEEE10hipError_tPvRmT1_T2_T3_mmT4_T5_P12ihipStream_tbEUlRKdE_EESK_SO_SP_mSQ_ST_bEUlT_E_NS1_11comp_targetILNS1_3genE5ELNS1_11target_archE942ELNS1_3gpuE9ELNS1_3repE0EEENS1_30default_config_static_selectorELNS0_4arch9wavefront6targetE1EEEvSN_,comdat
.Lfunc_end4:
	.size	_ZN7rocprim17ROCPRIM_400000_NS6detail17trampoline_kernelINS0_14default_configENS1_27lower_bound_config_selectorIdlEEZNS1_14transform_implILb0ES3_S5_N6thrust23THRUST_200600_302600_NS17counting_iteratorIdNS8_11use_defaultESA_SA_EEPlZNS1_13binary_searchIS3_S5_PdSB_SC_NS1_21lower_bound_search_opENS8_6detail16wrapped_functionI11custom_lessbEEEE10hipError_tPvRmT1_T2_T3_mmT4_T5_P12ihipStream_tbEUlRKdE_EESK_SO_SP_mSQ_ST_bEUlT_E_NS1_11comp_targetILNS1_3genE5ELNS1_11target_archE942ELNS1_3gpuE9ELNS1_3repE0EEENS1_30default_config_static_selectorELNS0_4arch9wavefront6targetE1EEEvSN_, .Lfunc_end4-_ZN7rocprim17ROCPRIM_400000_NS6detail17trampoline_kernelINS0_14default_configENS1_27lower_bound_config_selectorIdlEEZNS1_14transform_implILb0ES3_S5_N6thrust23THRUST_200600_302600_NS17counting_iteratorIdNS8_11use_defaultESA_SA_EEPlZNS1_13binary_searchIS3_S5_PdSB_SC_NS1_21lower_bound_search_opENS8_6detail16wrapped_functionI11custom_lessbEEEE10hipError_tPvRmT1_T2_T3_mmT4_T5_P12ihipStream_tbEUlRKdE_EESK_SO_SP_mSQ_ST_bEUlT_E_NS1_11comp_targetILNS1_3genE5ELNS1_11target_archE942ELNS1_3gpuE9ELNS1_3repE0EEENS1_30default_config_static_selectorELNS0_4arch9wavefront6targetE1EEEvSN_
                                        ; -- End function
	.section	.AMDGPU.csdata,"",@progbits
; Kernel info:
; codeLenInByte = 0
; NumSgprs: 4
; NumVgprs: 0
; NumAgprs: 0
; TotalNumVgprs: 0
; ScratchSize: 0
; MemoryBound: 0
; FloatMode: 240
; IeeeMode: 1
; LDSByteSize: 0 bytes/workgroup (compile time only)
; SGPRBlocks: 0
; VGPRBlocks: 0
; NumSGPRsForWavesPerEU: 4
; NumVGPRsForWavesPerEU: 1
; AccumOffset: 4
; Occupancy: 8
; WaveLimiterHint : 0
; COMPUTE_PGM_RSRC2:SCRATCH_EN: 0
; COMPUTE_PGM_RSRC2:USER_SGPR: 6
; COMPUTE_PGM_RSRC2:TRAP_HANDLER: 0
; COMPUTE_PGM_RSRC2:TGID_X_EN: 1
; COMPUTE_PGM_RSRC2:TGID_Y_EN: 0
; COMPUTE_PGM_RSRC2:TGID_Z_EN: 0
; COMPUTE_PGM_RSRC2:TIDIG_COMP_CNT: 0
; COMPUTE_PGM_RSRC3_GFX90A:ACCUM_OFFSET: 0
; COMPUTE_PGM_RSRC3_GFX90A:TG_SPLIT: 0
	.section	.text._ZN7rocprim17ROCPRIM_400000_NS6detail17trampoline_kernelINS0_14default_configENS1_27lower_bound_config_selectorIdlEEZNS1_14transform_implILb0ES3_S5_N6thrust23THRUST_200600_302600_NS17counting_iteratorIdNS8_11use_defaultESA_SA_EEPlZNS1_13binary_searchIS3_S5_PdSB_SC_NS1_21lower_bound_search_opENS8_6detail16wrapped_functionI11custom_lessbEEEE10hipError_tPvRmT1_T2_T3_mmT4_T5_P12ihipStream_tbEUlRKdE_EESK_SO_SP_mSQ_ST_bEUlT_E_NS1_11comp_targetILNS1_3genE4ELNS1_11target_archE910ELNS1_3gpuE8ELNS1_3repE0EEENS1_30default_config_static_selectorELNS0_4arch9wavefront6targetE1EEEvSN_,"axG",@progbits,_ZN7rocprim17ROCPRIM_400000_NS6detail17trampoline_kernelINS0_14default_configENS1_27lower_bound_config_selectorIdlEEZNS1_14transform_implILb0ES3_S5_N6thrust23THRUST_200600_302600_NS17counting_iteratorIdNS8_11use_defaultESA_SA_EEPlZNS1_13binary_searchIS3_S5_PdSB_SC_NS1_21lower_bound_search_opENS8_6detail16wrapped_functionI11custom_lessbEEEE10hipError_tPvRmT1_T2_T3_mmT4_T5_P12ihipStream_tbEUlRKdE_EESK_SO_SP_mSQ_ST_bEUlT_E_NS1_11comp_targetILNS1_3genE4ELNS1_11target_archE910ELNS1_3gpuE8ELNS1_3repE0EEENS1_30default_config_static_selectorELNS0_4arch9wavefront6targetE1EEEvSN_,comdat
	.protected	_ZN7rocprim17ROCPRIM_400000_NS6detail17trampoline_kernelINS0_14default_configENS1_27lower_bound_config_selectorIdlEEZNS1_14transform_implILb0ES3_S5_N6thrust23THRUST_200600_302600_NS17counting_iteratorIdNS8_11use_defaultESA_SA_EEPlZNS1_13binary_searchIS3_S5_PdSB_SC_NS1_21lower_bound_search_opENS8_6detail16wrapped_functionI11custom_lessbEEEE10hipError_tPvRmT1_T2_T3_mmT4_T5_P12ihipStream_tbEUlRKdE_EESK_SO_SP_mSQ_ST_bEUlT_E_NS1_11comp_targetILNS1_3genE4ELNS1_11target_archE910ELNS1_3gpuE8ELNS1_3repE0EEENS1_30default_config_static_selectorELNS0_4arch9wavefront6targetE1EEEvSN_ ; -- Begin function _ZN7rocprim17ROCPRIM_400000_NS6detail17trampoline_kernelINS0_14default_configENS1_27lower_bound_config_selectorIdlEEZNS1_14transform_implILb0ES3_S5_N6thrust23THRUST_200600_302600_NS17counting_iteratorIdNS8_11use_defaultESA_SA_EEPlZNS1_13binary_searchIS3_S5_PdSB_SC_NS1_21lower_bound_search_opENS8_6detail16wrapped_functionI11custom_lessbEEEE10hipError_tPvRmT1_T2_T3_mmT4_T5_P12ihipStream_tbEUlRKdE_EESK_SO_SP_mSQ_ST_bEUlT_E_NS1_11comp_targetILNS1_3genE4ELNS1_11target_archE910ELNS1_3gpuE8ELNS1_3repE0EEENS1_30default_config_static_selectorELNS0_4arch9wavefront6targetE1EEEvSN_
	.globl	_ZN7rocprim17ROCPRIM_400000_NS6detail17trampoline_kernelINS0_14default_configENS1_27lower_bound_config_selectorIdlEEZNS1_14transform_implILb0ES3_S5_N6thrust23THRUST_200600_302600_NS17counting_iteratorIdNS8_11use_defaultESA_SA_EEPlZNS1_13binary_searchIS3_S5_PdSB_SC_NS1_21lower_bound_search_opENS8_6detail16wrapped_functionI11custom_lessbEEEE10hipError_tPvRmT1_T2_T3_mmT4_T5_P12ihipStream_tbEUlRKdE_EESK_SO_SP_mSQ_ST_bEUlT_E_NS1_11comp_targetILNS1_3genE4ELNS1_11target_archE910ELNS1_3gpuE8ELNS1_3repE0EEENS1_30default_config_static_selectorELNS0_4arch9wavefront6targetE1EEEvSN_
	.p2align	8
	.type	_ZN7rocprim17ROCPRIM_400000_NS6detail17trampoline_kernelINS0_14default_configENS1_27lower_bound_config_selectorIdlEEZNS1_14transform_implILb0ES3_S5_N6thrust23THRUST_200600_302600_NS17counting_iteratorIdNS8_11use_defaultESA_SA_EEPlZNS1_13binary_searchIS3_S5_PdSB_SC_NS1_21lower_bound_search_opENS8_6detail16wrapped_functionI11custom_lessbEEEE10hipError_tPvRmT1_T2_T3_mmT4_T5_P12ihipStream_tbEUlRKdE_EESK_SO_SP_mSQ_ST_bEUlT_E_NS1_11comp_targetILNS1_3genE4ELNS1_11target_archE910ELNS1_3gpuE8ELNS1_3repE0EEENS1_30default_config_static_selectorELNS0_4arch9wavefront6targetE1EEEvSN_,@function
_ZN7rocprim17ROCPRIM_400000_NS6detail17trampoline_kernelINS0_14default_configENS1_27lower_bound_config_selectorIdlEEZNS1_14transform_implILb0ES3_S5_N6thrust23THRUST_200600_302600_NS17counting_iteratorIdNS8_11use_defaultESA_SA_EEPlZNS1_13binary_searchIS3_S5_PdSB_SC_NS1_21lower_bound_search_opENS8_6detail16wrapped_functionI11custom_lessbEEEE10hipError_tPvRmT1_T2_T3_mmT4_T5_P12ihipStream_tbEUlRKdE_EESK_SO_SP_mSQ_ST_bEUlT_E_NS1_11comp_targetILNS1_3genE4ELNS1_11target_archE910ELNS1_3gpuE8ELNS1_3repE0EEENS1_30default_config_static_selectorELNS0_4arch9wavefront6targetE1EEEvSN_: ; @_ZN7rocprim17ROCPRIM_400000_NS6detail17trampoline_kernelINS0_14default_configENS1_27lower_bound_config_selectorIdlEEZNS1_14transform_implILb0ES3_S5_N6thrust23THRUST_200600_302600_NS17counting_iteratorIdNS8_11use_defaultESA_SA_EEPlZNS1_13binary_searchIS3_S5_PdSB_SC_NS1_21lower_bound_search_opENS8_6detail16wrapped_functionI11custom_lessbEEEE10hipError_tPvRmT1_T2_T3_mmT4_T5_P12ihipStream_tbEUlRKdE_EESK_SO_SP_mSQ_ST_bEUlT_E_NS1_11comp_targetILNS1_3genE4ELNS1_11target_archE910ELNS1_3gpuE8ELNS1_3repE0EEENS1_30default_config_static_selectorELNS0_4arch9wavefront6targetE1EEEvSN_
; %bb.0:
	s_load_dwordx4 s[8:11], s[4:5], 0x0
	s_load_dwordx4 s[0:3], s[4:5], 0x18
	s_load_dwordx2 s[12:13], s[4:5], 0x28
	s_load_dword s7, s[4:5], 0x38
	s_waitcnt lgkmcnt(0)
	v_cvt_f64_i32_e32 v[2:3], s11
	v_ldexp_f64 v[2:3], v[2:3], 32
	v_cvt_f64_u32_e32 v[4:5], s10
	v_add_f64 v[2:3], v[2:3], v[4:5]
	v_add_f64 v[4:5], s[8:9], v[2:3]
	s_lshl_b32 s8, s6, 6
	s_add_i32 s7, s7, -1
	s_cmp_lg_u32 s6, s7
	s_mov_b32 s9, 0
	s_cbranch_scc0 .LBB5_6
; %bb.1:
	s_mov_b64 s[14:15], 0
	s_cmp_eq_u64 s[12:13], 0
	v_pk_mov_b32 v[2:3], 0, 0
	s_cbranch_scc1 .LBB5_5
; %bb.2:
	v_cvt_f64_u32_e32 v[2:3], s8
	v_add_f64 v[2:3], v[4:5], v[2:3]
	v_cvt_f64_u32_e32 v[6:7], v0
	v_add_f64 v[6:7], v[2:3], v[6:7]
	s_mov_b64 s[6:7], 0
	v_pk_mov_b32 v[2:3], 0, 0
	v_pk_mov_b32 v[8:9], s[12:13], s[12:13] op_sel:[0,1]
	v_mov_b32_e32 v1, s3
.LBB5_3:                                ; =>This Inner Loop Header: Depth=1
	v_sub_co_u32_e32 v10, vcc, v8, v2
	v_subb_co_u32_e32 v11, vcc, v9, v3, vcc
	v_lshrrev_b64 v[12:13], 1, v[10:11]
	v_add_co_u32_e32 v12, vcc, v12, v2
	v_lshrrev_b64 v[10:11], 6, v[10:11]
	v_addc_co_u32_e32 v13, vcc, v13, v3, vcc
	v_add_co_u32_e32 v10, vcc, v12, v10
	v_addc_co_u32_e32 v11, vcc, v13, v11, vcc
	v_lshlrev_b64 v[12:13], 3, v[10:11]
	v_add_co_u32_e32 v12, vcc, s2, v12
	v_addc_co_u32_e32 v13, vcc, v1, v13, vcc
	global_load_dwordx2 v[12:13], v[12:13], off
	v_add_co_u32_e32 v14, vcc, 1, v10
	v_addc_co_u32_e32 v15, vcc, 0, v11, vcc
	s_waitcnt vmcnt(0)
	v_cmp_lt_f64_e32 vcc, v[12:13], v[6:7]
	v_cndmask_b32_e32 v9, v11, v9, vcc
	v_cndmask_b32_e32 v8, v10, v8, vcc
	;; [unrolled: 1-line block ×4, first 2 shown]
	v_cmp_ge_u64_e32 vcc, v[2:3], v[8:9]
	s_or_b64 s[6:7], vcc, s[6:7]
	s_andn2_b64 exec, exec, s[6:7]
	s_cbranch_execnz .LBB5_3
; %bb.4:
	s_or_b64 exec, exec, s[6:7]
.LBB5_5:
	s_mov_b64 s[6:7], -1
	s_andn2_b64 vcc, exec, s[14:15]
	s_cbranch_vccz .LBB5_7
	s_branch .LBB5_13
.LBB5_6:
	s_mov_b64 s[6:7], 0
                                        ; implicit-def: $vgpr2_vgpr3
.LBB5_7:
	s_load_dword s4, s[4:5], 0x10
                                        ; implicit-def: $vgpr2_vgpr3
	s_waitcnt lgkmcnt(0)
	s_sub_i32 s4, s4, s8
	v_cmp_gt_u32_e64 s[6:7], s4, v0
	s_and_saveexec_b64 s[4:5], s[6:7]
	s_cbranch_execz .LBB5_12
; %bb.8:
	s_mov_b64 s[14:15], 0
	s_cmp_eq_u64 s[12:13], 0
	v_pk_mov_b32 v[2:3], 0, 0
	s_cbranch_scc1 .LBB5_12
; %bb.9:
	v_cvt_f64_u32_e32 v[2:3], s8
	v_add_f64 v[2:3], v[4:5], v[2:3]
	v_cvt_f64_u32_e32 v[4:5], v0
	v_add_f64 v[4:5], v[2:3], v[4:5]
	v_pk_mov_b32 v[2:3], 0, 0
	v_pk_mov_b32 v[6:7], s[12:13], s[12:13] op_sel:[0,1]
	v_mov_b32_e32 v1, s3
.LBB5_10:                               ; =>This Inner Loop Header: Depth=1
	v_sub_co_u32_e32 v8, vcc, v6, v2
	v_subb_co_u32_e32 v9, vcc, v7, v3, vcc
	v_lshrrev_b64 v[10:11], 1, v[8:9]
	v_add_co_u32_e32 v10, vcc, v10, v2
	v_lshrrev_b64 v[8:9], 6, v[8:9]
	v_addc_co_u32_e32 v11, vcc, v11, v3, vcc
	v_add_co_u32_e32 v8, vcc, v10, v8
	v_addc_co_u32_e32 v9, vcc, v11, v9, vcc
	v_lshlrev_b64 v[10:11], 3, v[8:9]
	v_add_co_u32_e32 v10, vcc, s2, v10
	v_addc_co_u32_e32 v11, vcc, v1, v11, vcc
	global_load_dwordx2 v[10:11], v[10:11], off
	v_add_co_u32_e32 v12, vcc, 1, v8
	v_addc_co_u32_e32 v13, vcc, 0, v9, vcc
	s_waitcnt vmcnt(0)
	v_cmp_lt_f64_e32 vcc, v[10:11], v[4:5]
	v_cndmask_b32_e32 v7, v9, v7, vcc
	v_cndmask_b32_e32 v6, v8, v6, vcc
	;; [unrolled: 1-line block ×4, first 2 shown]
	v_cmp_ge_u64_e32 vcc, v[2:3], v[6:7]
	s_or_b64 s[14:15], vcc, s[14:15]
	s_andn2_b64 exec, exec, s[14:15]
	s_cbranch_execnz .LBB5_10
; %bb.11:
	s_or_b64 exec, exec, s[14:15]
.LBB5_12:
	s_or_b64 exec, exec, s[4:5]
.LBB5_13:
	s_and_saveexec_b64 s[2:3], s[6:7]
	s_cbranch_execnz .LBB5_15
; %bb.14:
	s_endpgm
.LBB5_15:
	s_lshl_b64 s[2:3], s[10:11], 3
	s_add_u32 s2, s0, s2
	s_addc_u32 s3, s1, s3
	s_lshl_b64 s[0:1], s[8:9], 3
	s_add_u32 s0, s2, s0
	s_addc_u32 s1, s3, s1
	v_lshlrev_b32_e32 v0, 3, v0
	global_store_dwordx2 v0, v[2:3], s[0:1]
	s_endpgm
	.section	.rodata,"a",@progbits
	.p2align	6, 0x0
	.amdhsa_kernel _ZN7rocprim17ROCPRIM_400000_NS6detail17trampoline_kernelINS0_14default_configENS1_27lower_bound_config_selectorIdlEEZNS1_14transform_implILb0ES3_S5_N6thrust23THRUST_200600_302600_NS17counting_iteratorIdNS8_11use_defaultESA_SA_EEPlZNS1_13binary_searchIS3_S5_PdSB_SC_NS1_21lower_bound_search_opENS8_6detail16wrapped_functionI11custom_lessbEEEE10hipError_tPvRmT1_T2_T3_mmT4_T5_P12ihipStream_tbEUlRKdE_EESK_SO_SP_mSQ_ST_bEUlT_E_NS1_11comp_targetILNS1_3genE4ELNS1_11target_archE910ELNS1_3gpuE8ELNS1_3repE0EEENS1_30default_config_static_selectorELNS0_4arch9wavefront6targetE1EEEvSN_
		.amdhsa_group_segment_fixed_size 0
		.amdhsa_private_segment_fixed_size 0
		.amdhsa_kernarg_size 312
		.amdhsa_user_sgpr_count 6
		.amdhsa_user_sgpr_private_segment_buffer 1
		.amdhsa_user_sgpr_dispatch_ptr 0
		.amdhsa_user_sgpr_queue_ptr 0
		.amdhsa_user_sgpr_kernarg_segment_ptr 1
		.amdhsa_user_sgpr_dispatch_id 0
		.amdhsa_user_sgpr_flat_scratch_init 0
		.amdhsa_user_sgpr_kernarg_preload_length 0
		.amdhsa_user_sgpr_kernarg_preload_offset 0
		.amdhsa_user_sgpr_private_segment_size 0
		.amdhsa_uses_dynamic_stack 0
		.amdhsa_system_sgpr_private_segment_wavefront_offset 0
		.amdhsa_system_sgpr_workgroup_id_x 1
		.amdhsa_system_sgpr_workgroup_id_y 0
		.amdhsa_system_sgpr_workgroup_id_z 0
		.amdhsa_system_sgpr_workgroup_info 0
		.amdhsa_system_vgpr_workitem_id 0
		.amdhsa_next_free_vgpr 16
		.amdhsa_next_free_sgpr 16
		.amdhsa_accum_offset 16
		.amdhsa_reserve_vcc 1
		.amdhsa_reserve_flat_scratch 0
		.amdhsa_float_round_mode_32 0
		.amdhsa_float_round_mode_16_64 0
		.amdhsa_float_denorm_mode_32 3
		.amdhsa_float_denorm_mode_16_64 3
		.amdhsa_dx10_clamp 1
		.amdhsa_ieee_mode 1
		.amdhsa_fp16_overflow 0
		.amdhsa_tg_split 0
		.amdhsa_exception_fp_ieee_invalid_op 0
		.amdhsa_exception_fp_denorm_src 0
		.amdhsa_exception_fp_ieee_div_zero 0
		.amdhsa_exception_fp_ieee_overflow 0
		.amdhsa_exception_fp_ieee_underflow 0
		.amdhsa_exception_fp_ieee_inexact 0
		.amdhsa_exception_int_div_zero 0
	.end_amdhsa_kernel
	.section	.text._ZN7rocprim17ROCPRIM_400000_NS6detail17trampoline_kernelINS0_14default_configENS1_27lower_bound_config_selectorIdlEEZNS1_14transform_implILb0ES3_S5_N6thrust23THRUST_200600_302600_NS17counting_iteratorIdNS8_11use_defaultESA_SA_EEPlZNS1_13binary_searchIS3_S5_PdSB_SC_NS1_21lower_bound_search_opENS8_6detail16wrapped_functionI11custom_lessbEEEE10hipError_tPvRmT1_T2_T3_mmT4_T5_P12ihipStream_tbEUlRKdE_EESK_SO_SP_mSQ_ST_bEUlT_E_NS1_11comp_targetILNS1_3genE4ELNS1_11target_archE910ELNS1_3gpuE8ELNS1_3repE0EEENS1_30default_config_static_selectorELNS0_4arch9wavefront6targetE1EEEvSN_,"axG",@progbits,_ZN7rocprim17ROCPRIM_400000_NS6detail17trampoline_kernelINS0_14default_configENS1_27lower_bound_config_selectorIdlEEZNS1_14transform_implILb0ES3_S5_N6thrust23THRUST_200600_302600_NS17counting_iteratorIdNS8_11use_defaultESA_SA_EEPlZNS1_13binary_searchIS3_S5_PdSB_SC_NS1_21lower_bound_search_opENS8_6detail16wrapped_functionI11custom_lessbEEEE10hipError_tPvRmT1_T2_T3_mmT4_T5_P12ihipStream_tbEUlRKdE_EESK_SO_SP_mSQ_ST_bEUlT_E_NS1_11comp_targetILNS1_3genE4ELNS1_11target_archE910ELNS1_3gpuE8ELNS1_3repE0EEENS1_30default_config_static_selectorELNS0_4arch9wavefront6targetE1EEEvSN_,comdat
.Lfunc_end5:
	.size	_ZN7rocprim17ROCPRIM_400000_NS6detail17trampoline_kernelINS0_14default_configENS1_27lower_bound_config_selectorIdlEEZNS1_14transform_implILb0ES3_S5_N6thrust23THRUST_200600_302600_NS17counting_iteratorIdNS8_11use_defaultESA_SA_EEPlZNS1_13binary_searchIS3_S5_PdSB_SC_NS1_21lower_bound_search_opENS8_6detail16wrapped_functionI11custom_lessbEEEE10hipError_tPvRmT1_T2_T3_mmT4_T5_P12ihipStream_tbEUlRKdE_EESK_SO_SP_mSQ_ST_bEUlT_E_NS1_11comp_targetILNS1_3genE4ELNS1_11target_archE910ELNS1_3gpuE8ELNS1_3repE0EEENS1_30default_config_static_selectorELNS0_4arch9wavefront6targetE1EEEvSN_, .Lfunc_end5-_ZN7rocprim17ROCPRIM_400000_NS6detail17trampoline_kernelINS0_14default_configENS1_27lower_bound_config_selectorIdlEEZNS1_14transform_implILb0ES3_S5_N6thrust23THRUST_200600_302600_NS17counting_iteratorIdNS8_11use_defaultESA_SA_EEPlZNS1_13binary_searchIS3_S5_PdSB_SC_NS1_21lower_bound_search_opENS8_6detail16wrapped_functionI11custom_lessbEEEE10hipError_tPvRmT1_T2_T3_mmT4_T5_P12ihipStream_tbEUlRKdE_EESK_SO_SP_mSQ_ST_bEUlT_E_NS1_11comp_targetILNS1_3genE4ELNS1_11target_archE910ELNS1_3gpuE8ELNS1_3repE0EEENS1_30default_config_static_selectorELNS0_4arch9wavefront6targetE1EEEvSN_
                                        ; -- End function
	.section	.AMDGPU.csdata,"",@progbits
; Kernel info:
; codeLenInByte = 560
; NumSgprs: 20
; NumVgprs: 16
; NumAgprs: 0
; TotalNumVgprs: 16
; ScratchSize: 0
; MemoryBound: 0
; FloatMode: 240
; IeeeMode: 1
; LDSByteSize: 0 bytes/workgroup (compile time only)
; SGPRBlocks: 2
; VGPRBlocks: 1
; NumSGPRsForWavesPerEU: 20
; NumVGPRsForWavesPerEU: 16
; AccumOffset: 16
; Occupancy: 8
; WaveLimiterHint : 0
; COMPUTE_PGM_RSRC2:SCRATCH_EN: 0
; COMPUTE_PGM_RSRC2:USER_SGPR: 6
; COMPUTE_PGM_RSRC2:TRAP_HANDLER: 0
; COMPUTE_PGM_RSRC2:TGID_X_EN: 1
; COMPUTE_PGM_RSRC2:TGID_Y_EN: 0
; COMPUTE_PGM_RSRC2:TGID_Z_EN: 0
; COMPUTE_PGM_RSRC2:TIDIG_COMP_CNT: 0
; COMPUTE_PGM_RSRC3_GFX90A:ACCUM_OFFSET: 3
; COMPUTE_PGM_RSRC3_GFX90A:TG_SPLIT: 0
	.section	.text._ZN7rocprim17ROCPRIM_400000_NS6detail17trampoline_kernelINS0_14default_configENS1_27lower_bound_config_selectorIdlEEZNS1_14transform_implILb0ES3_S5_N6thrust23THRUST_200600_302600_NS17counting_iteratorIdNS8_11use_defaultESA_SA_EEPlZNS1_13binary_searchIS3_S5_PdSB_SC_NS1_21lower_bound_search_opENS8_6detail16wrapped_functionI11custom_lessbEEEE10hipError_tPvRmT1_T2_T3_mmT4_T5_P12ihipStream_tbEUlRKdE_EESK_SO_SP_mSQ_ST_bEUlT_E_NS1_11comp_targetILNS1_3genE3ELNS1_11target_archE908ELNS1_3gpuE7ELNS1_3repE0EEENS1_30default_config_static_selectorELNS0_4arch9wavefront6targetE1EEEvSN_,"axG",@progbits,_ZN7rocprim17ROCPRIM_400000_NS6detail17trampoline_kernelINS0_14default_configENS1_27lower_bound_config_selectorIdlEEZNS1_14transform_implILb0ES3_S5_N6thrust23THRUST_200600_302600_NS17counting_iteratorIdNS8_11use_defaultESA_SA_EEPlZNS1_13binary_searchIS3_S5_PdSB_SC_NS1_21lower_bound_search_opENS8_6detail16wrapped_functionI11custom_lessbEEEE10hipError_tPvRmT1_T2_T3_mmT4_T5_P12ihipStream_tbEUlRKdE_EESK_SO_SP_mSQ_ST_bEUlT_E_NS1_11comp_targetILNS1_3genE3ELNS1_11target_archE908ELNS1_3gpuE7ELNS1_3repE0EEENS1_30default_config_static_selectorELNS0_4arch9wavefront6targetE1EEEvSN_,comdat
	.protected	_ZN7rocprim17ROCPRIM_400000_NS6detail17trampoline_kernelINS0_14default_configENS1_27lower_bound_config_selectorIdlEEZNS1_14transform_implILb0ES3_S5_N6thrust23THRUST_200600_302600_NS17counting_iteratorIdNS8_11use_defaultESA_SA_EEPlZNS1_13binary_searchIS3_S5_PdSB_SC_NS1_21lower_bound_search_opENS8_6detail16wrapped_functionI11custom_lessbEEEE10hipError_tPvRmT1_T2_T3_mmT4_T5_P12ihipStream_tbEUlRKdE_EESK_SO_SP_mSQ_ST_bEUlT_E_NS1_11comp_targetILNS1_3genE3ELNS1_11target_archE908ELNS1_3gpuE7ELNS1_3repE0EEENS1_30default_config_static_selectorELNS0_4arch9wavefront6targetE1EEEvSN_ ; -- Begin function _ZN7rocprim17ROCPRIM_400000_NS6detail17trampoline_kernelINS0_14default_configENS1_27lower_bound_config_selectorIdlEEZNS1_14transform_implILb0ES3_S5_N6thrust23THRUST_200600_302600_NS17counting_iteratorIdNS8_11use_defaultESA_SA_EEPlZNS1_13binary_searchIS3_S5_PdSB_SC_NS1_21lower_bound_search_opENS8_6detail16wrapped_functionI11custom_lessbEEEE10hipError_tPvRmT1_T2_T3_mmT4_T5_P12ihipStream_tbEUlRKdE_EESK_SO_SP_mSQ_ST_bEUlT_E_NS1_11comp_targetILNS1_3genE3ELNS1_11target_archE908ELNS1_3gpuE7ELNS1_3repE0EEENS1_30default_config_static_selectorELNS0_4arch9wavefront6targetE1EEEvSN_
	.globl	_ZN7rocprim17ROCPRIM_400000_NS6detail17trampoline_kernelINS0_14default_configENS1_27lower_bound_config_selectorIdlEEZNS1_14transform_implILb0ES3_S5_N6thrust23THRUST_200600_302600_NS17counting_iteratorIdNS8_11use_defaultESA_SA_EEPlZNS1_13binary_searchIS3_S5_PdSB_SC_NS1_21lower_bound_search_opENS8_6detail16wrapped_functionI11custom_lessbEEEE10hipError_tPvRmT1_T2_T3_mmT4_T5_P12ihipStream_tbEUlRKdE_EESK_SO_SP_mSQ_ST_bEUlT_E_NS1_11comp_targetILNS1_3genE3ELNS1_11target_archE908ELNS1_3gpuE7ELNS1_3repE0EEENS1_30default_config_static_selectorELNS0_4arch9wavefront6targetE1EEEvSN_
	.p2align	8
	.type	_ZN7rocprim17ROCPRIM_400000_NS6detail17trampoline_kernelINS0_14default_configENS1_27lower_bound_config_selectorIdlEEZNS1_14transform_implILb0ES3_S5_N6thrust23THRUST_200600_302600_NS17counting_iteratorIdNS8_11use_defaultESA_SA_EEPlZNS1_13binary_searchIS3_S5_PdSB_SC_NS1_21lower_bound_search_opENS8_6detail16wrapped_functionI11custom_lessbEEEE10hipError_tPvRmT1_T2_T3_mmT4_T5_P12ihipStream_tbEUlRKdE_EESK_SO_SP_mSQ_ST_bEUlT_E_NS1_11comp_targetILNS1_3genE3ELNS1_11target_archE908ELNS1_3gpuE7ELNS1_3repE0EEENS1_30default_config_static_selectorELNS0_4arch9wavefront6targetE1EEEvSN_,@function
_ZN7rocprim17ROCPRIM_400000_NS6detail17trampoline_kernelINS0_14default_configENS1_27lower_bound_config_selectorIdlEEZNS1_14transform_implILb0ES3_S5_N6thrust23THRUST_200600_302600_NS17counting_iteratorIdNS8_11use_defaultESA_SA_EEPlZNS1_13binary_searchIS3_S5_PdSB_SC_NS1_21lower_bound_search_opENS8_6detail16wrapped_functionI11custom_lessbEEEE10hipError_tPvRmT1_T2_T3_mmT4_T5_P12ihipStream_tbEUlRKdE_EESK_SO_SP_mSQ_ST_bEUlT_E_NS1_11comp_targetILNS1_3genE3ELNS1_11target_archE908ELNS1_3gpuE7ELNS1_3repE0EEENS1_30default_config_static_selectorELNS0_4arch9wavefront6targetE1EEEvSN_: ; @_ZN7rocprim17ROCPRIM_400000_NS6detail17trampoline_kernelINS0_14default_configENS1_27lower_bound_config_selectorIdlEEZNS1_14transform_implILb0ES3_S5_N6thrust23THRUST_200600_302600_NS17counting_iteratorIdNS8_11use_defaultESA_SA_EEPlZNS1_13binary_searchIS3_S5_PdSB_SC_NS1_21lower_bound_search_opENS8_6detail16wrapped_functionI11custom_lessbEEEE10hipError_tPvRmT1_T2_T3_mmT4_T5_P12ihipStream_tbEUlRKdE_EESK_SO_SP_mSQ_ST_bEUlT_E_NS1_11comp_targetILNS1_3genE3ELNS1_11target_archE908ELNS1_3gpuE7ELNS1_3repE0EEENS1_30default_config_static_selectorELNS0_4arch9wavefront6targetE1EEEvSN_
; %bb.0:
	.section	.rodata,"a",@progbits
	.p2align	6, 0x0
	.amdhsa_kernel _ZN7rocprim17ROCPRIM_400000_NS6detail17trampoline_kernelINS0_14default_configENS1_27lower_bound_config_selectorIdlEEZNS1_14transform_implILb0ES3_S5_N6thrust23THRUST_200600_302600_NS17counting_iteratorIdNS8_11use_defaultESA_SA_EEPlZNS1_13binary_searchIS3_S5_PdSB_SC_NS1_21lower_bound_search_opENS8_6detail16wrapped_functionI11custom_lessbEEEE10hipError_tPvRmT1_T2_T3_mmT4_T5_P12ihipStream_tbEUlRKdE_EESK_SO_SP_mSQ_ST_bEUlT_E_NS1_11comp_targetILNS1_3genE3ELNS1_11target_archE908ELNS1_3gpuE7ELNS1_3repE0EEENS1_30default_config_static_selectorELNS0_4arch9wavefront6targetE1EEEvSN_
		.amdhsa_group_segment_fixed_size 0
		.amdhsa_private_segment_fixed_size 0
		.amdhsa_kernarg_size 56
		.amdhsa_user_sgpr_count 6
		.amdhsa_user_sgpr_private_segment_buffer 1
		.amdhsa_user_sgpr_dispatch_ptr 0
		.amdhsa_user_sgpr_queue_ptr 0
		.amdhsa_user_sgpr_kernarg_segment_ptr 1
		.amdhsa_user_sgpr_dispatch_id 0
		.amdhsa_user_sgpr_flat_scratch_init 0
		.amdhsa_user_sgpr_kernarg_preload_length 0
		.amdhsa_user_sgpr_kernarg_preload_offset 0
		.amdhsa_user_sgpr_private_segment_size 0
		.amdhsa_uses_dynamic_stack 0
		.amdhsa_system_sgpr_private_segment_wavefront_offset 0
		.amdhsa_system_sgpr_workgroup_id_x 1
		.amdhsa_system_sgpr_workgroup_id_y 0
		.amdhsa_system_sgpr_workgroup_id_z 0
		.amdhsa_system_sgpr_workgroup_info 0
		.amdhsa_system_vgpr_workitem_id 0
		.amdhsa_next_free_vgpr 1
		.amdhsa_next_free_sgpr 0
		.amdhsa_accum_offset 4
		.amdhsa_reserve_vcc 0
		.amdhsa_reserve_flat_scratch 0
		.amdhsa_float_round_mode_32 0
		.amdhsa_float_round_mode_16_64 0
		.amdhsa_float_denorm_mode_32 3
		.amdhsa_float_denorm_mode_16_64 3
		.amdhsa_dx10_clamp 1
		.amdhsa_ieee_mode 1
		.amdhsa_fp16_overflow 0
		.amdhsa_tg_split 0
		.amdhsa_exception_fp_ieee_invalid_op 0
		.amdhsa_exception_fp_denorm_src 0
		.amdhsa_exception_fp_ieee_div_zero 0
		.amdhsa_exception_fp_ieee_overflow 0
		.amdhsa_exception_fp_ieee_underflow 0
		.amdhsa_exception_fp_ieee_inexact 0
		.amdhsa_exception_int_div_zero 0
	.end_amdhsa_kernel
	.section	.text._ZN7rocprim17ROCPRIM_400000_NS6detail17trampoline_kernelINS0_14default_configENS1_27lower_bound_config_selectorIdlEEZNS1_14transform_implILb0ES3_S5_N6thrust23THRUST_200600_302600_NS17counting_iteratorIdNS8_11use_defaultESA_SA_EEPlZNS1_13binary_searchIS3_S5_PdSB_SC_NS1_21lower_bound_search_opENS8_6detail16wrapped_functionI11custom_lessbEEEE10hipError_tPvRmT1_T2_T3_mmT4_T5_P12ihipStream_tbEUlRKdE_EESK_SO_SP_mSQ_ST_bEUlT_E_NS1_11comp_targetILNS1_3genE3ELNS1_11target_archE908ELNS1_3gpuE7ELNS1_3repE0EEENS1_30default_config_static_selectorELNS0_4arch9wavefront6targetE1EEEvSN_,"axG",@progbits,_ZN7rocprim17ROCPRIM_400000_NS6detail17trampoline_kernelINS0_14default_configENS1_27lower_bound_config_selectorIdlEEZNS1_14transform_implILb0ES3_S5_N6thrust23THRUST_200600_302600_NS17counting_iteratorIdNS8_11use_defaultESA_SA_EEPlZNS1_13binary_searchIS3_S5_PdSB_SC_NS1_21lower_bound_search_opENS8_6detail16wrapped_functionI11custom_lessbEEEE10hipError_tPvRmT1_T2_T3_mmT4_T5_P12ihipStream_tbEUlRKdE_EESK_SO_SP_mSQ_ST_bEUlT_E_NS1_11comp_targetILNS1_3genE3ELNS1_11target_archE908ELNS1_3gpuE7ELNS1_3repE0EEENS1_30default_config_static_selectorELNS0_4arch9wavefront6targetE1EEEvSN_,comdat
.Lfunc_end6:
	.size	_ZN7rocprim17ROCPRIM_400000_NS6detail17trampoline_kernelINS0_14default_configENS1_27lower_bound_config_selectorIdlEEZNS1_14transform_implILb0ES3_S5_N6thrust23THRUST_200600_302600_NS17counting_iteratorIdNS8_11use_defaultESA_SA_EEPlZNS1_13binary_searchIS3_S5_PdSB_SC_NS1_21lower_bound_search_opENS8_6detail16wrapped_functionI11custom_lessbEEEE10hipError_tPvRmT1_T2_T3_mmT4_T5_P12ihipStream_tbEUlRKdE_EESK_SO_SP_mSQ_ST_bEUlT_E_NS1_11comp_targetILNS1_3genE3ELNS1_11target_archE908ELNS1_3gpuE7ELNS1_3repE0EEENS1_30default_config_static_selectorELNS0_4arch9wavefront6targetE1EEEvSN_, .Lfunc_end6-_ZN7rocprim17ROCPRIM_400000_NS6detail17trampoline_kernelINS0_14default_configENS1_27lower_bound_config_selectorIdlEEZNS1_14transform_implILb0ES3_S5_N6thrust23THRUST_200600_302600_NS17counting_iteratorIdNS8_11use_defaultESA_SA_EEPlZNS1_13binary_searchIS3_S5_PdSB_SC_NS1_21lower_bound_search_opENS8_6detail16wrapped_functionI11custom_lessbEEEE10hipError_tPvRmT1_T2_T3_mmT4_T5_P12ihipStream_tbEUlRKdE_EESK_SO_SP_mSQ_ST_bEUlT_E_NS1_11comp_targetILNS1_3genE3ELNS1_11target_archE908ELNS1_3gpuE7ELNS1_3repE0EEENS1_30default_config_static_selectorELNS0_4arch9wavefront6targetE1EEEvSN_
                                        ; -- End function
	.section	.AMDGPU.csdata,"",@progbits
; Kernel info:
; codeLenInByte = 0
; NumSgprs: 4
; NumVgprs: 0
; NumAgprs: 0
; TotalNumVgprs: 0
; ScratchSize: 0
; MemoryBound: 0
; FloatMode: 240
; IeeeMode: 1
; LDSByteSize: 0 bytes/workgroup (compile time only)
; SGPRBlocks: 0
; VGPRBlocks: 0
; NumSGPRsForWavesPerEU: 4
; NumVGPRsForWavesPerEU: 1
; AccumOffset: 4
; Occupancy: 8
; WaveLimiterHint : 0
; COMPUTE_PGM_RSRC2:SCRATCH_EN: 0
; COMPUTE_PGM_RSRC2:USER_SGPR: 6
; COMPUTE_PGM_RSRC2:TRAP_HANDLER: 0
; COMPUTE_PGM_RSRC2:TGID_X_EN: 1
; COMPUTE_PGM_RSRC2:TGID_Y_EN: 0
; COMPUTE_PGM_RSRC2:TGID_Z_EN: 0
; COMPUTE_PGM_RSRC2:TIDIG_COMP_CNT: 0
; COMPUTE_PGM_RSRC3_GFX90A:ACCUM_OFFSET: 0
; COMPUTE_PGM_RSRC3_GFX90A:TG_SPLIT: 0
	.section	.text._ZN7rocprim17ROCPRIM_400000_NS6detail17trampoline_kernelINS0_14default_configENS1_27lower_bound_config_selectorIdlEEZNS1_14transform_implILb0ES3_S5_N6thrust23THRUST_200600_302600_NS17counting_iteratorIdNS8_11use_defaultESA_SA_EEPlZNS1_13binary_searchIS3_S5_PdSB_SC_NS1_21lower_bound_search_opENS8_6detail16wrapped_functionI11custom_lessbEEEE10hipError_tPvRmT1_T2_T3_mmT4_T5_P12ihipStream_tbEUlRKdE_EESK_SO_SP_mSQ_ST_bEUlT_E_NS1_11comp_targetILNS1_3genE2ELNS1_11target_archE906ELNS1_3gpuE6ELNS1_3repE0EEENS1_30default_config_static_selectorELNS0_4arch9wavefront6targetE1EEEvSN_,"axG",@progbits,_ZN7rocprim17ROCPRIM_400000_NS6detail17trampoline_kernelINS0_14default_configENS1_27lower_bound_config_selectorIdlEEZNS1_14transform_implILb0ES3_S5_N6thrust23THRUST_200600_302600_NS17counting_iteratorIdNS8_11use_defaultESA_SA_EEPlZNS1_13binary_searchIS3_S5_PdSB_SC_NS1_21lower_bound_search_opENS8_6detail16wrapped_functionI11custom_lessbEEEE10hipError_tPvRmT1_T2_T3_mmT4_T5_P12ihipStream_tbEUlRKdE_EESK_SO_SP_mSQ_ST_bEUlT_E_NS1_11comp_targetILNS1_3genE2ELNS1_11target_archE906ELNS1_3gpuE6ELNS1_3repE0EEENS1_30default_config_static_selectorELNS0_4arch9wavefront6targetE1EEEvSN_,comdat
	.protected	_ZN7rocprim17ROCPRIM_400000_NS6detail17trampoline_kernelINS0_14default_configENS1_27lower_bound_config_selectorIdlEEZNS1_14transform_implILb0ES3_S5_N6thrust23THRUST_200600_302600_NS17counting_iteratorIdNS8_11use_defaultESA_SA_EEPlZNS1_13binary_searchIS3_S5_PdSB_SC_NS1_21lower_bound_search_opENS8_6detail16wrapped_functionI11custom_lessbEEEE10hipError_tPvRmT1_T2_T3_mmT4_T5_P12ihipStream_tbEUlRKdE_EESK_SO_SP_mSQ_ST_bEUlT_E_NS1_11comp_targetILNS1_3genE2ELNS1_11target_archE906ELNS1_3gpuE6ELNS1_3repE0EEENS1_30default_config_static_selectorELNS0_4arch9wavefront6targetE1EEEvSN_ ; -- Begin function _ZN7rocprim17ROCPRIM_400000_NS6detail17trampoline_kernelINS0_14default_configENS1_27lower_bound_config_selectorIdlEEZNS1_14transform_implILb0ES3_S5_N6thrust23THRUST_200600_302600_NS17counting_iteratorIdNS8_11use_defaultESA_SA_EEPlZNS1_13binary_searchIS3_S5_PdSB_SC_NS1_21lower_bound_search_opENS8_6detail16wrapped_functionI11custom_lessbEEEE10hipError_tPvRmT1_T2_T3_mmT4_T5_P12ihipStream_tbEUlRKdE_EESK_SO_SP_mSQ_ST_bEUlT_E_NS1_11comp_targetILNS1_3genE2ELNS1_11target_archE906ELNS1_3gpuE6ELNS1_3repE0EEENS1_30default_config_static_selectorELNS0_4arch9wavefront6targetE1EEEvSN_
	.globl	_ZN7rocprim17ROCPRIM_400000_NS6detail17trampoline_kernelINS0_14default_configENS1_27lower_bound_config_selectorIdlEEZNS1_14transform_implILb0ES3_S5_N6thrust23THRUST_200600_302600_NS17counting_iteratorIdNS8_11use_defaultESA_SA_EEPlZNS1_13binary_searchIS3_S5_PdSB_SC_NS1_21lower_bound_search_opENS8_6detail16wrapped_functionI11custom_lessbEEEE10hipError_tPvRmT1_T2_T3_mmT4_T5_P12ihipStream_tbEUlRKdE_EESK_SO_SP_mSQ_ST_bEUlT_E_NS1_11comp_targetILNS1_3genE2ELNS1_11target_archE906ELNS1_3gpuE6ELNS1_3repE0EEENS1_30default_config_static_selectorELNS0_4arch9wavefront6targetE1EEEvSN_
	.p2align	8
	.type	_ZN7rocprim17ROCPRIM_400000_NS6detail17trampoline_kernelINS0_14default_configENS1_27lower_bound_config_selectorIdlEEZNS1_14transform_implILb0ES3_S5_N6thrust23THRUST_200600_302600_NS17counting_iteratorIdNS8_11use_defaultESA_SA_EEPlZNS1_13binary_searchIS3_S5_PdSB_SC_NS1_21lower_bound_search_opENS8_6detail16wrapped_functionI11custom_lessbEEEE10hipError_tPvRmT1_T2_T3_mmT4_T5_P12ihipStream_tbEUlRKdE_EESK_SO_SP_mSQ_ST_bEUlT_E_NS1_11comp_targetILNS1_3genE2ELNS1_11target_archE906ELNS1_3gpuE6ELNS1_3repE0EEENS1_30default_config_static_selectorELNS0_4arch9wavefront6targetE1EEEvSN_,@function
_ZN7rocprim17ROCPRIM_400000_NS6detail17trampoline_kernelINS0_14default_configENS1_27lower_bound_config_selectorIdlEEZNS1_14transform_implILb0ES3_S5_N6thrust23THRUST_200600_302600_NS17counting_iteratorIdNS8_11use_defaultESA_SA_EEPlZNS1_13binary_searchIS3_S5_PdSB_SC_NS1_21lower_bound_search_opENS8_6detail16wrapped_functionI11custom_lessbEEEE10hipError_tPvRmT1_T2_T3_mmT4_T5_P12ihipStream_tbEUlRKdE_EESK_SO_SP_mSQ_ST_bEUlT_E_NS1_11comp_targetILNS1_3genE2ELNS1_11target_archE906ELNS1_3gpuE6ELNS1_3repE0EEENS1_30default_config_static_selectorELNS0_4arch9wavefront6targetE1EEEvSN_: ; @_ZN7rocprim17ROCPRIM_400000_NS6detail17trampoline_kernelINS0_14default_configENS1_27lower_bound_config_selectorIdlEEZNS1_14transform_implILb0ES3_S5_N6thrust23THRUST_200600_302600_NS17counting_iteratorIdNS8_11use_defaultESA_SA_EEPlZNS1_13binary_searchIS3_S5_PdSB_SC_NS1_21lower_bound_search_opENS8_6detail16wrapped_functionI11custom_lessbEEEE10hipError_tPvRmT1_T2_T3_mmT4_T5_P12ihipStream_tbEUlRKdE_EESK_SO_SP_mSQ_ST_bEUlT_E_NS1_11comp_targetILNS1_3genE2ELNS1_11target_archE906ELNS1_3gpuE6ELNS1_3repE0EEENS1_30default_config_static_selectorELNS0_4arch9wavefront6targetE1EEEvSN_
; %bb.0:
	.section	.rodata,"a",@progbits
	.p2align	6, 0x0
	.amdhsa_kernel _ZN7rocprim17ROCPRIM_400000_NS6detail17trampoline_kernelINS0_14default_configENS1_27lower_bound_config_selectorIdlEEZNS1_14transform_implILb0ES3_S5_N6thrust23THRUST_200600_302600_NS17counting_iteratorIdNS8_11use_defaultESA_SA_EEPlZNS1_13binary_searchIS3_S5_PdSB_SC_NS1_21lower_bound_search_opENS8_6detail16wrapped_functionI11custom_lessbEEEE10hipError_tPvRmT1_T2_T3_mmT4_T5_P12ihipStream_tbEUlRKdE_EESK_SO_SP_mSQ_ST_bEUlT_E_NS1_11comp_targetILNS1_3genE2ELNS1_11target_archE906ELNS1_3gpuE6ELNS1_3repE0EEENS1_30default_config_static_selectorELNS0_4arch9wavefront6targetE1EEEvSN_
		.amdhsa_group_segment_fixed_size 0
		.amdhsa_private_segment_fixed_size 0
		.amdhsa_kernarg_size 56
		.amdhsa_user_sgpr_count 6
		.amdhsa_user_sgpr_private_segment_buffer 1
		.amdhsa_user_sgpr_dispatch_ptr 0
		.amdhsa_user_sgpr_queue_ptr 0
		.amdhsa_user_sgpr_kernarg_segment_ptr 1
		.amdhsa_user_sgpr_dispatch_id 0
		.amdhsa_user_sgpr_flat_scratch_init 0
		.amdhsa_user_sgpr_kernarg_preload_length 0
		.amdhsa_user_sgpr_kernarg_preload_offset 0
		.amdhsa_user_sgpr_private_segment_size 0
		.amdhsa_uses_dynamic_stack 0
		.amdhsa_system_sgpr_private_segment_wavefront_offset 0
		.amdhsa_system_sgpr_workgroup_id_x 1
		.amdhsa_system_sgpr_workgroup_id_y 0
		.amdhsa_system_sgpr_workgroup_id_z 0
		.amdhsa_system_sgpr_workgroup_info 0
		.amdhsa_system_vgpr_workitem_id 0
		.amdhsa_next_free_vgpr 1
		.amdhsa_next_free_sgpr 0
		.amdhsa_accum_offset 4
		.amdhsa_reserve_vcc 0
		.amdhsa_reserve_flat_scratch 0
		.amdhsa_float_round_mode_32 0
		.amdhsa_float_round_mode_16_64 0
		.amdhsa_float_denorm_mode_32 3
		.amdhsa_float_denorm_mode_16_64 3
		.amdhsa_dx10_clamp 1
		.amdhsa_ieee_mode 1
		.amdhsa_fp16_overflow 0
		.amdhsa_tg_split 0
		.amdhsa_exception_fp_ieee_invalid_op 0
		.amdhsa_exception_fp_denorm_src 0
		.amdhsa_exception_fp_ieee_div_zero 0
		.amdhsa_exception_fp_ieee_overflow 0
		.amdhsa_exception_fp_ieee_underflow 0
		.amdhsa_exception_fp_ieee_inexact 0
		.amdhsa_exception_int_div_zero 0
	.end_amdhsa_kernel
	.section	.text._ZN7rocprim17ROCPRIM_400000_NS6detail17trampoline_kernelINS0_14default_configENS1_27lower_bound_config_selectorIdlEEZNS1_14transform_implILb0ES3_S5_N6thrust23THRUST_200600_302600_NS17counting_iteratorIdNS8_11use_defaultESA_SA_EEPlZNS1_13binary_searchIS3_S5_PdSB_SC_NS1_21lower_bound_search_opENS8_6detail16wrapped_functionI11custom_lessbEEEE10hipError_tPvRmT1_T2_T3_mmT4_T5_P12ihipStream_tbEUlRKdE_EESK_SO_SP_mSQ_ST_bEUlT_E_NS1_11comp_targetILNS1_3genE2ELNS1_11target_archE906ELNS1_3gpuE6ELNS1_3repE0EEENS1_30default_config_static_selectorELNS0_4arch9wavefront6targetE1EEEvSN_,"axG",@progbits,_ZN7rocprim17ROCPRIM_400000_NS6detail17trampoline_kernelINS0_14default_configENS1_27lower_bound_config_selectorIdlEEZNS1_14transform_implILb0ES3_S5_N6thrust23THRUST_200600_302600_NS17counting_iteratorIdNS8_11use_defaultESA_SA_EEPlZNS1_13binary_searchIS3_S5_PdSB_SC_NS1_21lower_bound_search_opENS8_6detail16wrapped_functionI11custom_lessbEEEE10hipError_tPvRmT1_T2_T3_mmT4_T5_P12ihipStream_tbEUlRKdE_EESK_SO_SP_mSQ_ST_bEUlT_E_NS1_11comp_targetILNS1_3genE2ELNS1_11target_archE906ELNS1_3gpuE6ELNS1_3repE0EEENS1_30default_config_static_selectorELNS0_4arch9wavefront6targetE1EEEvSN_,comdat
.Lfunc_end7:
	.size	_ZN7rocprim17ROCPRIM_400000_NS6detail17trampoline_kernelINS0_14default_configENS1_27lower_bound_config_selectorIdlEEZNS1_14transform_implILb0ES3_S5_N6thrust23THRUST_200600_302600_NS17counting_iteratorIdNS8_11use_defaultESA_SA_EEPlZNS1_13binary_searchIS3_S5_PdSB_SC_NS1_21lower_bound_search_opENS8_6detail16wrapped_functionI11custom_lessbEEEE10hipError_tPvRmT1_T2_T3_mmT4_T5_P12ihipStream_tbEUlRKdE_EESK_SO_SP_mSQ_ST_bEUlT_E_NS1_11comp_targetILNS1_3genE2ELNS1_11target_archE906ELNS1_3gpuE6ELNS1_3repE0EEENS1_30default_config_static_selectorELNS0_4arch9wavefront6targetE1EEEvSN_, .Lfunc_end7-_ZN7rocprim17ROCPRIM_400000_NS6detail17trampoline_kernelINS0_14default_configENS1_27lower_bound_config_selectorIdlEEZNS1_14transform_implILb0ES3_S5_N6thrust23THRUST_200600_302600_NS17counting_iteratorIdNS8_11use_defaultESA_SA_EEPlZNS1_13binary_searchIS3_S5_PdSB_SC_NS1_21lower_bound_search_opENS8_6detail16wrapped_functionI11custom_lessbEEEE10hipError_tPvRmT1_T2_T3_mmT4_T5_P12ihipStream_tbEUlRKdE_EESK_SO_SP_mSQ_ST_bEUlT_E_NS1_11comp_targetILNS1_3genE2ELNS1_11target_archE906ELNS1_3gpuE6ELNS1_3repE0EEENS1_30default_config_static_selectorELNS0_4arch9wavefront6targetE1EEEvSN_
                                        ; -- End function
	.section	.AMDGPU.csdata,"",@progbits
; Kernel info:
; codeLenInByte = 0
; NumSgprs: 4
; NumVgprs: 0
; NumAgprs: 0
; TotalNumVgprs: 0
; ScratchSize: 0
; MemoryBound: 0
; FloatMode: 240
; IeeeMode: 1
; LDSByteSize: 0 bytes/workgroup (compile time only)
; SGPRBlocks: 0
; VGPRBlocks: 0
; NumSGPRsForWavesPerEU: 4
; NumVGPRsForWavesPerEU: 1
; AccumOffset: 4
; Occupancy: 8
; WaveLimiterHint : 0
; COMPUTE_PGM_RSRC2:SCRATCH_EN: 0
; COMPUTE_PGM_RSRC2:USER_SGPR: 6
; COMPUTE_PGM_RSRC2:TRAP_HANDLER: 0
; COMPUTE_PGM_RSRC2:TGID_X_EN: 1
; COMPUTE_PGM_RSRC2:TGID_Y_EN: 0
; COMPUTE_PGM_RSRC2:TGID_Z_EN: 0
; COMPUTE_PGM_RSRC2:TIDIG_COMP_CNT: 0
; COMPUTE_PGM_RSRC3_GFX90A:ACCUM_OFFSET: 0
; COMPUTE_PGM_RSRC3_GFX90A:TG_SPLIT: 0
	.section	.text._ZN7rocprim17ROCPRIM_400000_NS6detail17trampoline_kernelINS0_14default_configENS1_27lower_bound_config_selectorIdlEEZNS1_14transform_implILb0ES3_S5_N6thrust23THRUST_200600_302600_NS17counting_iteratorIdNS8_11use_defaultESA_SA_EEPlZNS1_13binary_searchIS3_S5_PdSB_SC_NS1_21lower_bound_search_opENS8_6detail16wrapped_functionI11custom_lessbEEEE10hipError_tPvRmT1_T2_T3_mmT4_T5_P12ihipStream_tbEUlRKdE_EESK_SO_SP_mSQ_ST_bEUlT_E_NS1_11comp_targetILNS1_3genE10ELNS1_11target_archE1201ELNS1_3gpuE5ELNS1_3repE0EEENS1_30default_config_static_selectorELNS0_4arch9wavefront6targetE1EEEvSN_,"axG",@progbits,_ZN7rocprim17ROCPRIM_400000_NS6detail17trampoline_kernelINS0_14default_configENS1_27lower_bound_config_selectorIdlEEZNS1_14transform_implILb0ES3_S5_N6thrust23THRUST_200600_302600_NS17counting_iteratorIdNS8_11use_defaultESA_SA_EEPlZNS1_13binary_searchIS3_S5_PdSB_SC_NS1_21lower_bound_search_opENS8_6detail16wrapped_functionI11custom_lessbEEEE10hipError_tPvRmT1_T2_T3_mmT4_T5_P12ihipStream_tbEUlRKdE_EESK_SO_SP_mSQ_ST_bEUlT_E_NS1_11comp_targetILNS1_3genE10ELNS1_11target_archE1201ELNS1_3gpuE5ELNS1_3repE0EEENS1_30default_config_static_selectorELNS0_4arch9wavefront6targetE1EEEvSN_,comdat
	.protected	_ZN7rocprim17ROCPRIM_400000_NS6detail17trampoline_kernelINS0_14default_configENS1_27lower_bound_config_selectorIdlEEZNS1_14transform_implILb0ES3_S5_N6thrust23THRUST_200600_302600_NS17counting_iteratorIdNS8_11use_defaultESA_SA_EEPlZNS1_13binary_searchIS3_S5_PdSB_SC_NS1_21lower_bound_search_opENS8_6detail16wrapped_functionI11custom_lessbEEEE10hipError_tPvRmT1_T2_T3_mmT4_T5_P12ihipStream_tbEUlRKdE_EESK_SO_SP_mSQ_ST_bEUlT_E_NS1_11comp_targetILNS1_3genE10ELNS1_11target_archE1201ELNS1_3gpuE5ELNS1_3repE0EEENS1_30default_config_static_selectorELNS0_4arch9wavefront6targetE1EEEvSN_ ; -- Begin function _ZN7rocprim17ROCPRIM_400000_NS6detail17trampoline_kernelINS0_14default_configENS1_27lower_bound_config_selectorIdlEEZNS1_14transform_implILb0ES3_S5_N6thrust23THRUST_200600_302600_NS17counting_iteratorIdNS8_11use_defaultESA_SA_EEPlZNS1_13binary_searchIS3_S5_PdSB_SC_NS1_21lower_bound_search_opENS8_6detail16wrapped_functionI11custom_lessbEEEE10hipError_tPvRmT1_T2_T3_mmT4_T5_P12ihipStream_tbEUlRKdE_EESK_SO_SP_mSQ_ST_bEUlT_E_NS1_11comp_targetILNS1_3genE10ELNS1_11target_archE1201ELNS1_3gpuE5ELNS1_3repE0EEENS1_30default_config_static_selectorELNS0_4arch9wavefront6targetE1EEEvSN_
	.globl	_ZN7rocprim17ROCPRIM_400000_NS6detail17trampoline_kernelINS0_14default_configENS1_27lower_bound_config_selectorIdlEEZNS1_14transform_implILb0ES3_S5_N6thrust23THRUST_200600_302600_NS17counting_iteratorIdNS8_11use_defaultESA_SA_EEPlZNS1_13binary_searchIS3_S5_PdSB_SC_NS1_21lower_bound_search_opENS8_6detail16wrapped_functionI11custom_lessbEEEE10hipError_tPvRmT1_T2_T3_mmT4_T5_P12ihipStream_tbEUlRKdE_EESK_SO_SP_mSQ_ST_bEUlT_E_NS1_11comp_targetILNS1_3genE10ELNS1_11target_archE1201ELNS1_3gpuE5ELNS1_3repE0EEENS1_30default_config_static_selectorELNS0_4arch9wavefront6targetE1EEEvSN_
	.p2align	8
	.type	_ZN7rocprim17ROCPRIM_400000_NS6detail17trampoline_kernelINS0_14default_configENS1_27lower_bound_config_selectorIdlEEZNS1_14transform_implILb0ES3_S5_N6thrust23THRUST_200600_302600_NS17counting_iteratorIdNS8_11use_defaultESA_SA_EEPlZNS1_13binary_searchIS3_S5_PdSB_SC_NS1_21lower_bound_search_opENS8_6detail16wrapped_functionI11custom_lessbEEEE10hipError_tPvRmT1_T2_T3_mmT4_T5_P12ihipStream_tbEUlRKdE_EESK_SO_SP_mSQ_ST_bEUlT_E_NS1_11comp_targetILNS1_3genE10ELNS1_11target_archE1201ELNS1_3gpuE5ELNS1_3repE0EEENS1_30default_config_static_selectorELNS0_4arch9wavefront6targetE1EEEvSN_,@function
_ZN7rocprim17ROCPRIM_400000_NS6detail17trampoline_kernelINS0_14default_configENS1_27lower_bound_config_selectorIdlEEZNS1_14transform_implILb0ES3_S5_N6thrust23THRUST_200600_302600_NS17counting_iteratorIdNS8_11use_defaultESA_SA_EEPlZNS1_13binary_searchIS3_S5_PdSB_SC_NS1_21lower_bound_search_opENS8_6detail16wrapped_functionI11custom_lessbEEEE10hipError_tPvRmT1_T2_T3_mmT4_T5_P12ihipStream_tbEUlRKdE_EESK_SO_SP_mSQ_ST_bEUlT_E_NS1_11comp_targetILNS1_3genE10ELNS1_11target_archE1201ELNS1_3gpuE5ELNS1_3repE0EEENS1_30default_config_static_selectorELNS0_4arch9wavefront6targetE1EEEvSN_: ; @_ZN7rocprim17ROCPRIM_400000_NS6detail17trampoline_kernelINS0_14default_configENS1_27lower_bound_config_selectorIdlEEZNS1_14transform_implILb0ES3_S5_N6thrust23THRUST_200600_302600_NS17counting_iteratorIdNS8_11use_defaultESA_SA_EEPlZNS1_13binary_searchIS3_S5_PdSB_SC_NS1_21lower_bound_search_opENS8_6detail16wrapped_functionI11custom_lessbEEEE10hipError_tPvRmT1_T2_T3_mmT4_T5_P12ihipStream_tbEUlRKdE_EESK_SO_SP_mSQ_ST_bEUlT_E_NS1_11comp_targetILNS1_3genE10ELNS1_11target_archE1201ELNS1_3gpuE5ELNS1_3repE0EEENS1_30default_config_static_selectorELNS0_4arch9wavefront6targetE1EEEvSN_
; %bb.0:
	.section	.rodata,"a",@progbits
	.p2align	6, 0x0
	.amdhsa_kernel _ZN7rocprim17ROCPRIM_400000_NS6detail17trampoline_kernelINS0_14default_configENS1_27lower_bound_config_selectorIdlEEZNS1_14transform_implILb0ES3_S5_N6thrust23THRUST_200600_302600_NS17counting_iteratorIdNS8_11use_defaultESA_SA_EEPlZNS1_13binary_searchIS3_S5_PdSB_SC_NS1_21lower_bound_search_opENS8_6detail16wrapped_functionI11custom_lessbEEEE10hipError_tPvRmT1_T2_T3_mmT4_T5_P12ihipStream_tbEUlRKdE_EESK_SO_SP_mSQ_ST_bEUlT_E_NS1_11comp_targetILNS1_3genE10ELNS1_11target_archE1201ELNS1_3gpuE5ELNS1_3repE0EEENS1_30default_config_static_selectorELNS0_4arch9wavefront6targetE1EEEvSN_
		.amdhsa_group_segment_fixed_size 0
		.amdhsa_private_segment_fixed_size 0
		.amdhsa_kernarg_size 56
		.amdhsa_user_sgpr_count 6
		.amdhsa_user_sgpr_private_segment_buffer 1
		.amdhsa_user_sgpr_dispatch_ptr 0
		.amdhsa_user_sgpr_queue_ptr 0
		.amdhsa_user_sgpr_kernarg_segment_ptr 1
		.amdhsa_user_sgpr_dispatch_id 0
		.amdhsa_user_sgpr_flat_scratch_init 0
		.amdhsa_user_sgpr_kernarg_preload_length 0
		.amdhsa_user_sgpr_kernarg_preload_offset 0
		.amdhsa_user_sgpr_private_segment_size 0
		.amdhsa_uses_dynamic_stack 0
		.amdhsa_system_sgpr_private_segment_wavefront_offset 0
		.amdhsa_system_sgpr_workgroup_id_x 1
		.amdhsa_system_sgpr_workgroup_id_y 0
		.amdhsa_system_sgpr_workgroup_id_z 0
		.amdhsa_system_sgpr_workgroup_info 0
		.amdhsa_system_vgpr_workitem_id 0
		.amdhsa_next_free_vgpr 1
		.amdhsa_next_free_sgpr 0
		.amdhsa_accum_offset 4
		.amdhsa_reserve_vcc 0
		.amdhsa_reserve_flat_scratch 0
		.amdhsa_float_round_mode_32 0
		.amdhsa_float_round_mode_16_64 0
		.amdhsa_float_denorm_mode_32 3
		.amdhsa_float_denorm_mode_16_64 3
		.amdhsa_dx10_clamp 1
		.amdhsa_ieee_mode 1
		.amdhsa_fp16_overflow 0
		.amdhsa_tg_split 0
		.amdhsa_exception_fp_ieee_invalid_op 0
		.amdhsa_exception_fp_denorm_src 0
		.amdhsa_exception_fp_ieee_div_zero 0
		.amdhsa_exception_fp_ieee_overflow 0
		.amdhsa_exception_fp_ieee_underflow 0
		.amdhsa_exception_fp_ieee_inexact 0
		.amdhsa_exception_int_div_zero 0
	.end_amdhsa_kernel
	.section	.text._ZN7rocprim17ROCPRIM_400000_NS6detail17trampoline_kernelINS0_14default_configENS1_27lower_bound_config_selectorIdlEEZNS1_14transform_implILb0ES3_S5_N6thrust23THRUST_200600_302600_NS17counting_iteratorIdNS8_11use_defaultESA_SA_EEPlZNS1_13binary_searchIS3_S5_PdSB_SC_NS1_21lower_bound_search_opENS8_6detail16wrapped_functionI11custom_lessbEEEE10hipError_tPvRmT1_T2_T3_mmT4_T5_P12ihipStream_tbEUlRKdE_EESK_SO_SP_mSQ_ST_bEUlT_E_NS1_11comp_targetILNS1_3genE10ELNS1_11target_archE1201ELNS1_3gpuE5ELNS1_3repE0EEENS1_30default_config_static_selectorELNS0_4arch9wavefront6targetE1EEEvSN_,"axG",@progbits,_ZN7rocprim17ROCPRIM_400000_NS6detail17trampoline_kernelINS0_14default_configENS1_27lower_bound_config_selectorIdlEEZNS1_14transform_implILb0ES3_S5_N6thrust23THRUST_200600_302600_NS17counting_iteratorIdNS8_11use_defaultESA_SA_EEPlZNS1_13binary_searchIS3_S5_PdSB_SC_NS1_21lower_bound_search_opENS8_6detail16wrapped_functionI11custom_lessbEEEE10hipError_tPvRmT1_T2_T3_mmT4_T5_P12ihipStream_tbEUlRKdE_EESK_SO_SP_mSQ_ST_bEUlT_E_NS1_11comp_targetILNS1_3genE10ELNS1_11target_archE1201ELNS1_3gpuE5ELNS1_3repE0EEENS1_30default_config_static_selectorELNS0_4arch9wavefront6targetE1EEEvSN_,comdat
.Lfunc_end8:
	.size	_ZN7rocprim17ROCPRIM_400000_NS6detail17trampoline_kernelINS0_14default_configENS1_27lower_bound_config_selectorIdlEEZNS1_14transform_implILb0ES3_S5_N6thrust23THRUST_200600_302600_NS17counting_iteratorIdNS8_11use_defaultESA_SA_EEPlZNS1_13binary_searchIS3_S5_PdSB_SC_NS1_21lower_bound_search_opENS8_6detail16wrapped_functionI11custom_lessbEEEE10hipError_tPvRmT1_T2_T3_mmT4_T5_P12ihipStream_tbEUlRKdE_EESK_SO_SP_mSQ_ST_bEUlT_E_NS1_11comp_targetILNS1_3genE10ELNS1_11target_archE1201ELNS1_3gpuE5ELNS1_3repE0EEENS1_30default_config_static_selectorELNS0_4arch9wavefront6targetE1EEEvSN_, .Lfunc_end8-_ZN7rocprim17ROCPRIM_400000_NS6detail17trampoline_kernelINS0_14default_configENS1_27lower_bound_config_selectorIdlEEZNS1_14transform_implILb0ES3_S5_N6thrust23THRUST_200600_302600_NS17counting_iteratorIdNS8_11use_defaultESA_SA_EEPlZNS1_13binary_searchIS3_S5_PdSB_SC_NS1_21lower_bound_search_opENS8_6detail16wrapped_functionI11custom_lessbEEEE10hipError_tPvRmT1_T2_T3_mmT4_T5_P12ihipStream_tbEUlRKdE_EESK_SO_SP_mSQ_ST_bEUlT_E_NS1_11comp_targetILNS1_3genE10ELNS1_11target_archE1201ELNS1_3gpuE5ELNS1_3repE0EEENS1_30default_config_static_selectorELNS0_4arch9wavefront6targetE1EEEvSN_
                                        ; -- End function
	.section	.AMDGPU.csdata,"",@progbits
; Kernel info:
; codeLenInByte = 0
; NumSgprs: 4
; NumVgprs: 0
; NumAgprs: 0
; TotalNumVgprs: 0
; ScratchSize: 0
; MemoryBound: 0
; FloatMode: 240
; IeeeMode: 1
; LDSByteSize: 0 bytes/workgroup (compile time only)
; SGPRBlocks: 0
; VGPRBlocks: 0
; NumSGPRsForWavesPerEU: 4
; NumVGPRsForWavesPerEU: 1
; AccumOffset: 4
; Occupancy: 8
; WaveLimiterHint : 0
; COMPUTE_PGM_RSRC2:SCRATCH_EN: 0
; COMPUTE_PGM_RSRC2:USER_SGPR: 6
; COMPUTE_PGM_RSRC2:TRAP_HANDLER: 0
; COMPUTE_PGM_RSRC2:TGID_X_EN: 1
; COMPUTE_PGM_RSRC2:TGID_Y_EN: 0
; COMPUTE_PGM_RSRC2:TGID_Z_EN: 0
; COMPUTE_PGM_RSRC2:TIDIG_COMP_CNT: 0
; COMPUTE_PGM_RSRC3_GFX90A:ACCUM_OFFSET: 0
; COMPUTE_PGM_RSRC3_GFX90A:TG_SPLIT: 0
	.section	.text._ZN7rocprim17ROCPRIM_400000_NS6detail17trampoline_kernelINS0_14default_configENS1_27lower_bound_config_selectorIdlEEZNS1_14transform_implILb0ES3_S5_N6thrust23THRUST_200600_302600_NS17counting_iteratorIdNS8_11use_defaultESA_SA_EEPlZNS1_13binary_searchIS3_S5_PdSB_SC_NS1_21lower_bound_search_opENS8_6detail16wrapped_functionI11custom_lessbEEEE10hipError_tPvRmT1_T2_T3_mmT4_T5_P12ihipStream_tbEUlRKdE_EESK_SO_SP_mSQ_ST_bEUlT_E_NS1_11comp_targetILNS1_3genE10ELNS1_11target_archE1200ELNS1_3gpuE4ELNS1_3repE0EEENS1_30default_config_static_selectorELNS0_4arch9wavefront6targetE1EEEvSN_,"axG",@progbits,_ZN7rocprim17ROCPRIM_400000_NS6detail17trampoline_kernelINS0_14default_configENS1_27lower_bound_config_selectorIdlEEZNS1_14transform_implILb0ES3_S5_N6thrust23THRUST_200600_302600_NS17counting_iteratorIdNS8_11use_defaultESA_SA_EEPlZNS1_13binary_searchIS3_S5_PdSB_SC_NS1_21lower_bound_search_opENS8_6detail16wrapped_functionI11custom_lessbEEEE10hipError_tPvRmT1_T2_T3_mmT4_T5_P12ihipStream_tbEUlRKdE_EESK_SO_SP_mSQ_ST_bEUlT_E_NS1_11comp_targetILNS1_3genE10ELNS1_11target_archE1200ELNS1_3gpuE4ELNS1_3repE0EEENS1_30default_config_static_selectorELNS0_4arch9wavefront6targetE1EEEvSN_,comdat
	.protected	_ZN7rocprim17ROCPRIM_400000_NS6detail17trampoline_kernelINS0_14default_configENS1_27lower_bound_config_selectorIdlEEZNS1_14transform_implILb0ES3_S5_N6thrust23THRUST_200600_302600_NS17counting_iteratorIdNS8_11use_defaultESA_SA_EEPlZNS1_13binary_searchIS3_S5_PdSB_SC_NS1_21lower_bound_search_opENS8_6detail16wrapped_functionI11custom_lessbEEEE10hipError_tPvRmT1_T2_T3_mmT4_T5_P12ihipStream_tbEUlRKdE_EESK_SO_SP_mSQ_ST_bEUlT_E_NS1_11comp_targetILNS1_3genE10ELNS1_11target_archE1200ELNS1_3gpuE4ELNS1_3repE0EEENS1_30default_config_static_selectorELNS0_4arch9wavefront6targetE1EEEvSN_ ; -- Begin function _ZN7rocprim17ROCPRIM_400000_NS6detail17trampoline_kernelINS0_14default_configENS1_27lower_bound_config_selectorIdlEEZNS1_14transform_implILb0ES3_S5_N6thrust23THRUST_200600_302600_NS17counting_iteratorIdNS8_11use_defaultESA_SA_EEPlZNS1_13binary_searchIS3_S5_PdSB_SC_NS1_21lower_bound_search_opENS8_6detail16wrapped_functionI11custom_lessbEEEE10hipError_tPvRmT1_T2_T3_mmT4_T5_P12ihipStream_tbEUlRKdE_EESK_SO_SP_mSQ_ST_bEUlT_E_NS1_11comp_targetILNS1_3genE10ELNS1_11target_archE1200ELNS1_3gpuE4ELNS1_3repE0EEENS1_30default_config_static_selectorELNS0_4arch9wavefront6targetE1EEEvSN_
	.globl	_ZN7rocprim17ROCPRIM_400000_NS6detail17trampoline_kernelINS0_14default_configENS1_27lower_bound_config_selectorIdlEEZNS1_14transform_implILb0ES3_S5_N6thrust23THRUST_200600_302600_NS17counting_iteratorIdNS8_11use_defaultESA_SA_EEPlZNS1_13binary_searchIS3_S5_PdSB_SC_NS1_21lower_bound_search_opENS8_6detail16wrapped_functionI11custom_lessbEEEE10hipError_tPvRmT1_T2_T3_mmT4_T5_P12ihipStream_tbEUlRKdE_EESK_SO_SP_mSQ_ST_bEUlT_E_NS1_11comp_targetILNS1_3genE10ELNS1_11target_archE1200ELNS1_3gpuE4ELNS1_3repE0EEENS1_30default_config_static_selectorELNS0_4arch9wavefront6targetE1EEEvSN_
	.p2align	8
	.type	_ZN7rocprim17ROCPRIM_400000_NS6detail17trampoline_kernelINS0_14default_configENS1_27lower_bound_config_selectorIdlEEZNS1_14transform_implILb0ES3_S5_N6thrust23THRUST_200600_302600_NS17counting_iteratorIdNS8_11use_defaultESA_SA_EEPlZNS1_13binary_searchIS3_S5_PdSB_SC_NS1_21lower_bound_search_opENS8_6detail16wrapped_functionI11custom_lessbEEEE10hipError_tPvRmT1_T2_T3_mmT4_T5_P12ihipStream_tbEUlRKdE_EESK_SO_SP_mSQ_ST_bEUlT_E_NS1_11comp_targetILNS1_3genE10ELNS1_11target_archE1200ELNS1_3gpuE4ELNS1_3repE0EEENS1_30default_config_static_selectorELNS0_4arch9wavefront6targetE1EEEvSN_,@function
_ZN7rocprim17ROCPRIM_400000_NS6detail17trampoline_kernelINS0_14default_configENS1_27lower_bound_config_selectorIdlEEZNS1_14transform_implILb0ES3_S5_N6thrust23THRUST_200600_302600_NS17counting_iteratorIdNS8_11use_defaultESA_SA_EEPlZNS1_13binary_searchIS3_S5_PdSB_SC_NS1_21lower_bound_search_opENS8_6detail16wrapped_functionI11custom_lessbEEEE10hipError_tPvRmT1_T2_T3_mmT4_T5_P12ihipStream_tbEUlRKdE_EESK_SO_SP_mSQ_ST_bEUlT_E_NS1_11comp_targetILNS1_3genE10ELNS1_11target_archE1200ELNS1_3gpuE4ELNS1_3repE0EEENS1_30default_config_static_selectorELNS0_4arch9wavefront6targetE1EEEvSN_: ; @_ZN7rocprim17ROCPRIM_400000_NS6detail17trampoline_kernelINS0_14default_configENS1_27lower_bound_config_selectorIdlEEZNS1_14transform_implILb0ES3_S5_N6thrust23THRUST_200600_302600_NS17counting_iteratorIdNS8_11use_defaultESA_SA_EEPlZNS1_13binary_searchIS3_S5_PdSB_SC_NS1_21lower_bound_search_opENS8_6detail16wrapped_functionI11custom_lessbEEEE10hipError_tPvRmT1_T2_T3_mmT4_T5_P12ihipStream_tbEUlRKdE_EESK_SO_SP_mSQ_ST_bEUlT_E_NS1_11comp_targetILNS1_3genE10ELNS1_11target_archE1200ELNS1_3gpuE4ELNS1_3repE0EEENS1_30default_config_static_selectorELNS0_4arch9wavefront6targetE1EEEvSN_
; %bb.0:
	.section	.rodata,"a",@progbits
	.p2align	6, 0x0
	.amdhsa_kernel _ZN7rocprim17ROCPRIM_400000_NS6detail17trampoline_kernelINS0_14default_configENS1_27lower_bound_config_selectorIdlEEZNS1_14transform_implILb0ES3_S5_N6thrust23THRUST_200600_302600_NS17counting_iteratorIdNS8_11use_defaultESA_SA_EEPlZNS1_13binary_searchIS3_S5_PdSB_SC_NS1_21lower_bound_search_opENS8_6detail16wrapped_functionI11custom_lessbEEEE10hipError_tPvRmT1_T2_T3_mmT4_T5_P12ihipStream_tbEUlRKdE_EESK_SO_SP_mSQ_ST_bEUlT_E_NS1_11comp_targetILNS1_3genE10ELNS1_11target_archE1200ELNS1_3gpuE4ELNS1_3repE0EEENS1_30default_config_static_selectorELNS0_4arch9wavefront6targetE1EEEvSN_
		.amdhsa_group_segment_fixed_size 0
		.amdhsa_private_segment_fixed_size 0
		.amdhsa_kernarg_size 56
		.amdhsa_user_sgpr_count 6
		.amdhsa_user_sgpr_private_segment_buffer 1
		.amdhsa_user_sgpr_dispatch_ptr 0
		.amdhsa_user_sgpr_queue_ptr 0
		.amdhsa_user_sgpr_kernarg_segment_ptr 1
		.amdhsa_user_sgpr_dispatch_id 0
		.amdhsa_user_sgpr_flat_scratch_init 0
		.amdhsa_user_sgpr_kernarg_preload_length 0
		.amdhsa_user_sgpr_kernarg_preload_offset 0
		.amdhsa_user_sgpr_private_segment_size 0
		.amdhsa_uses_dynamic_stack 0
		.amdhsa_system_sgpr_private_segment_wavefront_offset 0
		.amdhsa_system_sgpr_workgroup_id_x 1
		.amdhsa_system_sgpr_workgroup_id_y 0
		.amdhsa_system_sgpr_workgroup_id_z 0
		.amdhsa_system_sgpr_workgroup_info 0
		.amdhsa_system_vgpr_workitem_id 0
		.amdhsa_next_free_vgpr 1
		.amdhsa_next_free_sgpr 0
		.amdhsa_accum_offset 4
		.amdhsa_reserve_vcc 0
		.amdhsa_reserve_flat_scratch 0
		.amdhsa_float_round_mode_32 0
		.amdhsa_float_round_mode_16_64 0
		.amdhsa_float_denorm_mode_32 3
		.amdhsa_float_denorm_mode_16_64 3
		.amdhsa_dx10_clamp 1
		.amdhsa_ieee_mode 1
		.amdhsa_fp16_overflow 0
		.amdhsa_tg_split 0
		.amdhsa_exception_fp_ieee_invalid_op 0
		.amdhsa_exception_fp_denorm_src 0
		.amdhsa_exception_fp_ieee_div_zero 0
		.amdhsa_exception_fp_ieee_overflow 0
		.amdhsa_exception_fp_ieee_underflow 0
		.amdhsa_exception_fp_ieee_inexact 0
		.amdhsa_exception_int_div_zero 0
	.end_amdhsa_kernel
	.section	.text._ZN7rocprim17ROCPRIM_400000_NS6detail17trampoline_kernelINS0_14default_configENS1_27lower_bound_config_selectorIdlEEZNS1_14transform_implILb0ES3_S5_N6thrust23THRUST_200600_302600_NS17counting_iteratorIdNS8_11use_defaultESA_SA_EEPlZNS1_13binary_searchIS3_S5_PdSB_SC_NS1_21lower_bound_search_opENS8_6detail16wrapped_functionI11custom_lessbEEEE10hipError_tPvRmT1_T2_T3_mmT4_T5_P12ihipStream_tbEUlRKdE_EESK_SO_SP_mSQ_ST_bEUlT_E_NS1_11comp_targetILNS1_3genE10ELNS1_11target_archE1200ELNS1_3gpuE4ELNS1_3repE0EEENS1_30default_config_static_selectorELNS0_4arch9wavefront6targetE1EEEvSN_,"axG",@progbits,_ZN7rocprim17ROCPRIM_400000_NS6detail17trampoline_kernelINS0_14default_configENS1_27lower_bound_config_selectorIdlEEZNS1_14transform_implILb0ES3_S5_N6thrust23THRUST_200600_302600_NS17counting_iteratorIdNS8_11use_defaultESA_SA_EEPlZNS1_13binary_searchIS3_S5_PdSB_SC_NS1_21lower_bound_search_opENS8_6detail16wrapped_functionI11custom_lessbEEEE10hipError_tPvRmT1_T2_T3_mmT4_T5_P12ihipStream_tbEUlRKdE_EESK_SO_SP_mSQ_ST_bEUlT_E_NS1_11comp_targetILNS1_3genE10ELNS1_11target_archE1200ELNS1_3gpuE4ELNS1_3repE0EEENS1_30default_config_static_selectorELNS0_4arch9wavefront6targetE1EEEvSN_,comdat
.Lfunc_end9:
	.size	_ZN7rocprim17ROCPRIM_400000_NS6detail17trampoline_kernelINS0_14default_configENS1_27lower_bound_config_selectorIdlEEZNS1_14transform_implILb0ES3_S5_N6thrust23THRUST_200600_302600_NS17counting_iteratorIdNS8_11use_defaultESA_SA_EEPlZNS1_13binary_searchIS3_S5_PdSB_SC_NS1_21lower_bound_search_opENS8_6detail16wrapped_functionI11custom_lessbEEEE10hipError_tPvRmT1_T2_T3_mmT4_T5_P12ihipStream_tbEUlRKdE_EESK_SO_SP_mSQ_ST_bEUlT_E_NS1_11comp_targetILNS1_3genE10ELNS1_11target_archE1200ELNS1_3gpuE4ELNS1_3repE0EEENS1_30default_config_static_selectorELNS0_4arch9wavefront6targetE1EEEvSN_, .Lfunc_end9-_ZN7rocprim17ROCPRIM_400000_NS6detail17trampoline_kernelINS0_14default_configENS1_27lower_bound_config_selectorIdlEEZNS1_14transform_implILb0ES3_S5_N6thrust23THRUST_200600_302600_NS17counting_iteratorIdNS8_11use_defaultESA_SA_EEPlZNS1_13binary_searchIS3_S5_PdSB_SC_NS1_21lower_bound_search_opENS8_6detail16wrapped_functionI11custom_lessbEEEE10hipError_tPvRmT1_T2_T3_mmT4_T5_P12ihipStream_tbEUlRKdE_EESK_SO_SP_mSQ_ST_bEUlT_E_NS1_11comp_targetILNS1_3genE10ELNS1_11target_archE1200ELNS1_3gpuE4ELNS1_3repE0EEENS1_30default_config_static_selectorELNS0_4arch9wavefront6targetE1EEEvSN_
                                        ; -- End function
	.section	.AMDGPU.csdata,"",@progbits
; Kernel info:
; codeLenInByte = 0
; NumSgprs: 4
; NumVgprs: 0
; NumAgprs: 0
; TotalNumVgprs: 0
; ScratchSize: 0
; MemoryBound: 0
; FloatMode: 240
; IeeeMode: 1
; LDSByteSize: 0 bytes/workgroup (compile time only)
; SGPRBlocks: 0
; VGPRBlocks: 0
; NumSGPRsForWavesPerEU: 4
; NumVGPRsForWavesPerEU: 1
; AccumOffset: 4
; Occupancy: 8
; WaveLimiterHint : 0
; COMPUTE_PGM_RSRC2:SCRATCH_EN: 0
; COMPUTE_PGM_RSRC2:USER_SGPR: 6
; COMPUTE_PGM_RSRC2:TRAP_HANDLER: 0
; COMPUTE_PGM_RSRC2:TGID_X_EN: 1
; COMPUTE_PGM_RSRC2:TGID_Y_EN: 0
; COMPUTE_PGM_RSRC2:TGID_Z_EN: 0
; COMPUTE_PGM_RSRC2:TIDIG_COMP_CNT: 0
; COMPUTE_PGM_RSRC3_GFX90A:ACCUM_OFFSET: 0
; COMPUTE_PGM_RSRC3_GFX90A:TG_SPLIT: 0
	.section	.text._ZN7rocprim17ROCPRIM_400000_NS6detail17trampoline_kernelINS0_14default_configENS1_27lower_bound_config_selectorIdlEEZNS1_14transform_implILb0ES3_S5_N6thrust23THRUST_200600_302600_NS17counting_iteratorIdNS8_11use_defaultESA_SA_EEPlZNS1_13binary_searchIS3_S5_PdSB_SC_NS1_21lower_bound_search_opENS8_6detail16wrapped_functionI11custom_lessbEEEE10hipError_tPvRmT1_T2_T3_mmT4_T5_P12ihipStream_tbEUlRKdE_EESK_SO_SP_mSQ_ST_bEUlT_E_NS1_11comp_targetILNS1_3genE9ELNS1_11target_archE1100ELNS1_3gpuE3ELNS1_3repE0EEENS1_30default_config_static_selectorELNS0_4arch9wavefront6targetE1EEEvSN_,"axG",@progbits,_ZN7rocprim17ROCPRIM_400000_NS6detail17trampoline_kernelINS0_14default_configENS1_27lower_bound_config_selectorIdlEEZNS1_14transform_implILb0ES3_S5_N6thrust23THRUST_200600_302600_NS17counting_iteratorIdNS8_11use_defaultESA_SA_EEPlZNS1_13binary_searchIS3_S5_PdSB_SC_NS1_21lower_bound_search_opENS8_6detail16wrapped_functionI11custom_lessbEEEE10hipError_tPvRmT1_T2_T3_mmT4_T5_P12ihipStream_tbEUlRKdE_EESK_SO_SP_mSQ_ST_bEUlT_E_NS1_11comp_targetILNS1_3genE9ELNS1_11target_archE1100ELNS1_3gpuE3ELNS1_3repE0EEENS1_30default_config_static_selectorELNS0_4arch9wavefront6targetE1EEEvSN_,comdat
	.protected	_ZN7rocprim17ROCPRIM_400000_NS6detail17trampoline_kernelINS0_14default_configENS1_27lower_bound_config_selectorIdlEEZNS1_14transform_implILb0ES3_S5_N6thrust23THRUST_200600_302600_NS17counting_iteratorIdNS8_11use_defaultESA_SA_EEPlZNS1_13binary_searchIS3_S5_PdSB_SC_NS1_21lower_bound_search_opENS8_6detail16wrapped_functionI11custom_lessbEEEE10hipError_tPvRmT1_T2_T3_mmT4_T5_P12ihipStream_tbEUlRKdE_EESK_SO_SP_mSQ_ST_bEUlT_E_NS1_11comp_targetILNS1_3genE9ELNS1_11target_archE1100ELNS1_3gpuE3ELNS1_3repE0EEENS1_30default_config_static_selectorELNS0_4arch9wavefront6targetE1EEEvSN_ ; -- Begin function _ZN7rocprim17ROCPRIM_400000_NS6detail17trampoline_kernelINS0_14default_configENS1_27lower_bound_config_selectorIdlEEZNS1_14transform_implILb0ES3_S5_N6thrust23THRUST_200600_302600_NS17counting_iteratorIdNS8_11use_defaultESA_SA_EEPlZNS1_13binary_searchIS3_S5_PdSB_SC_NS1_21lower_bound_search_opENS8_6detail16wrapped_functionI11custom_lessbEEEE10hipError_tPvRmT1_T2_T3_mmT4_T5_P12ihipStream_tbEUlRKdE_EESK_SO_SP_mSQ_ST_bEUlT_E_NS1_11comp_targetILNS1_3genE9ELNS1_11target_archE1100ELNS1_3gpuE3ELNS1_3repE0EEENS1_30default_config_static_selectorELNS0_4arch9wavefront6targetE1EEEvSN_
	.globl	_ZN7rocprim17ROCPRIM_400000_NS6detail17trampoline_kernelINS0_14default_configENS1_27lower_bound_config_selectorIdlEEZNS1_14transform_implILb0ES3_S5_N6thrust23THRUST_200600_302600_NS17counting_iteratorIdNS8_11use_defaultESA_SA_EEPlZNS1_13binary_searchIS3_S5_PdSB_SC_NS1_21lower_bound_search_opENS8_6detail16wrapped_functionI11custom_lessbEEEE10hipError_tPvRmT1_T2_T3_mmT4_T5_P12ihipStream_tbEUlRKdE_EESK_SO_SP_mSQ_ST_bEUlT_E_NS1_11comp_targetILNS1_3genE9ELNS1_11target_archE1100ELNS1_3gpuE3ELNS1_3repE0EEENS1_30default_config_static_selectorELNS0_4arch9wavefront6targetE1EEEvSN_
	.p2align	8
	.type	_ZN7rocprim17ROCPRIM_400000_NS6detail17trampoline_kernelINS0_14default_configENS1_27lower_bound_config_selectorIdlEEZNS1_14transform_implILb0ES3_S5_N6thrust23THRUST_200600_302600_NS17counting_iteratorIdNS8_11use_defaultESA_SA_EEPlZNS1_13binary_searchIS3_S5_PdSB_SC_NS1_21lower_bound_search_opENS8_6detail16wrapped_functionI11custom_lessbEEEE10hipError_tPvRmT1_T2_T3_mmT4_T5_P12ihipStream_tbEUlRKdE_EESK_SO_SP_mSQ_ST_bEUlT_E_NS1_11comp_targetILNS1_3genE9ELNS1_11target_archE1100ELNS1_3gpuE3ELNS1_3repE0EEENS1_30default_config_static_selectorELNS0_4arch9wavefront6targetE1EEEvSN_,@function
_ZN7rocprim17ROCPRIM_400000_NS6detail17trampoline_kernelINS0_14default_configENS1_27lower_bound_config_selectorIdlEEZNS1_14transform_implILb0ES3_S5_N6thrust23THRUST_200600_302600_NS17counting_iteratorIdNS8_11use_defaultESA_SA_EEPlZNS1_13binary_searchIS3_S5_PdSB_SC_NS1_21lower_bound_search_opENS8_6detail16wrapped_functionI11custom_lessbEEEE10hipError_tPvRmT1_T2_T3_mmT4_T5_P12ihipStream_tbEUlRKdE_EESK_SO_SP_mSQ_ST_bEUlT_E_NS1_11comp_targetILNS1_3genE9ELNS1_11target_archE1100ELNS1_3gpuE3ELNS1_3repE0EEENS1_30default_config_static_selectorELNS0_4arch9wavefront6targetE1EEEvSN_: ; @_ZN7rocprim17ROCPRIM_400000_NS6detail17trampoline_kernelINS0_14default_configENS1_27lower_bound_config_selectorIdlEEZNS1_14transform_implILb0ES3_S5_N6thrust23THRUST_200600_302600_NS17counting_iteratorIdNS8_11use_defaultESA_SA_EEPlZNS1_13binary_searchIS3_S5_PdSB_SC_NS1_21lower_bound_search_opENS8_6detail16wrapped_functionI11custom_lessbEEEE10hipError_tPvRmT1_T2_T3_mmT4_T5_P12ihipStream_tbEUlRKdE_EESK_SO_SP_mSQ_ST_bEUlT_E_NS1_11comp_targetILNS1_3genE9ELNS1_11target_archE1100ELNS1_3gpuE3ELNS1_3repE0EEENS1_30default_config_static_selectorELNS0_4arch9wavefront6targetE1EEEvSN_
; %bb.0:
	.section	.rodata,"a",@progbits
	.p2align	6, 0x0
	.amdhsa_kernel _ZN7rocprim17ROCPRIM_400000_NS6detail17trampoline_kernelINS0_14default_configENS1_27lower_bound_config_selectorIdlEEZNS1_14transform_implILb0ES3_S5_N6thrust23THRUST_200600_302600_NS17counting_iteratorIdNS8_11use_defaultESA_SA_EEPlZNS1_13binary_searchIS3_S5_PdSB_SC_NS1_21lower_bound_search_opENS8_6detail16wrapped_functionI11custom_lessbEEEE10hipError_tPvRmT1_T2_T3_mmT4_T5_P12ihipStream_tbEUlRKdE_EESK_SO_SP_mSQ_ST_bEUlT_E_NS1_11comp_targetILNS1_3genE9ELNS1_11target_archE1100ELNS1_3gpuE3ELNS1_3repE0EEENS1_30default_config_static_selectorELNS0_4arch9wavefront6targetE1EEEvSN_
		.amdhsa_group_segment_fixed_size 0
		.amdhsa_private_segment_fixed_size 0
		.amdhsa_kernarg_size 56
		.amdhsa_user_sgpr_count 6
		.amdhsa_user_sgpr_private_segment_buffer 1
		.amdhsa_user_sgpr_dispatch_ptr 0
		.amdhsa_user_sgpr_queue_ptr 0
		.amdhsa_user_sgpr_kernarg_segment_ptr 1
		.amdhsa_user_sgpr_dispatch_id 0
		.amdhsa_user_sgpr_flat_scratch_init 0
		.amdhsa_user_sgpr_kernarg_preload_length 0
		.amdhsa_user_sgpr_kernarg_preload_offset 0
		.amdhsa_user_sgpr_private_segment_size 0
		.amdhsa_uses_dynamic_stack 0
		.amdhsa_system_sgpr_private_segment_wavefront_offset 0
		.amdhsa_system_sgpr_workgroup_id_x 1
		.amdhsa_system_sgpr_workgroup_id_y 0
		.amdhsa_system_sgpr_workgroup_id_z 0
		.amdhsa_system_sgpr_workgroup_info 0
		.amdhsa_system_vgpr_workitem_id 0
		.amdhsa_next_free_vgpr 1
		.amdhsa_next_free_sgpr 0
		.amdhsa_accum_offset 4
		.amdhsa_reserve_vcc 0
		.amdhsa_reserve_flat_scratch 0
		.amdhsa_float_round_mode_32 0
		.amdhsa_float_round_mode_16_64 0
		.amdhsa_float_denorm_mode_32 3
		.amdhsa_float_denorm_mode_16_64 3
		.amdhsa_dx10_clamp 1
		.amdhsa_ieee_mode 1
		.amdhsa_fp16_overflow 0
		.amdhsa_tg_split 0
		.amdhsa_exception_fp_ieee_invalid_op 0
		.amdhsa_exception_fp_denorm_src 0
		.amdhsa_exception_fp_ieee_div_zero 0
		.amdhsa_exception_fp_ieee_overflow 0
		.amdhsa_exception_fp_ieee_underflow 0
		.amdhsa_exception_fp_ieee_inexact 0
		.amdhsa_exception_int_div_zero 0
	.end_amdhsa_kernel
	.section	.text._ZN7rocprim17ROCPRIM_400000_NS6detail17trampoline_kernelINS0_14default_configENS1_27lower_bound_config_selectorIdlEEZNS1_14transform_implILb0ES3_S5_N6thrust23THRUST_200600_302600_NS17counting_iteratorIdNS8_11use_defaultESA_SA_EEPlZNS1_13binary_searchIS3_S5_PdSB_SC_NS1_21lower_bound_search_opENS8_6detail16wrapped_functionI11custom_lessbEEEE10hipError_tPvRmT1_T2_T3_mmT4_T5_P12ihipStream_tbEUlRKdE_EESK_SO_SP_mSQ_ST_bEUlT_E_NS1_11comp_targetILNS1_3genE9ELNS1_11target_archE1100ELNS1_3gpuE3ELNS1_3repE0EEENS1_30default_config_static_selectorELNS0_4arch9wavefront6targetE1EEEvSN_,"axG",@progbits,_ZN7rocprim17ROCPRIM_400000_NS6detail17trampoline_kernelINS0_14default_configENS1_27lower_bound_config_selectorIdlEEZNS1_14transform_implILb0ES3_S5_N6thrust23THRUST_200600_302600_NS17counting_iteratorIdNS8_11use_defaultESA_SA_EEPlZNS1_13binary_searchIS3_S5_PdSB_SC_NS1_21lower_bound_search_opENS8_6detail16wrapped_functionI11custom_lessbEEEE10hipError_tPvRmT1_T2_T3_mmT4_T5_P12ihipStream_tbEUlRKdE_EESK_SO_SP_mSQ_ST_bEUlT_E_NS1_11comp_targetILNS1_3genE9ELNS1_11target_archE1100ELNS1_3gpuE3ELNS1_3repE0EEENS1_30default_config_static_selectorELNS0_4arch9wavefront6targetE1EEEvSN_,comdat
.Lfunc_end10:
	.size	_ZN7rocprim17ROCPRIM_400000_NS6detail17trampoline_kernelINS0_14default_configENS1_27lower_bound_config_selectorIdlEEZNS1_14transform_implILb0ES3_S5_N6thrust23THRUST_200600_302600_NS17counting_iteratorIdNS8_11use_defaultESA_SA_EEPlZNS1_13binary_searchIS3_S5_PdSB_SC_NS1_21lower_bound_search_opENS8_6detail16wrapped_functionI11custom_lessbEEEE10hipError_tPvRmT1_T2_T3_mmT4_T5_P12ihipStream_tbEUlRKdE_EESK_SO_SP_mSQ_ST_bEUlT_E_NS1_11comp_targetILNS1_3genE9ELNS1_11target_archE1100ELNS1_3gpuE3ELNS1_3repE0EEENS1_30default_config_static_selectorELNS0_4arch9wavefront6targetE1EEEvSN_, .Lfunc_end10-_ZN7rocprim17ROCPRIM_400000_NS6detail17trampoline_kernelINS0_14default_configENS1_27lower_bound_config_selectorIdlEEZNS1_14transform_implILb0ES3_S5_N6thrust23THRUST_200600_302600_NS17counting_iteratorIdNS8_11use_defaultESA_SA_EEPlZNS1_13binary_searchIS3_S5_PdSB_SC_NS1_21lower_bound_search_opENS8_6detail16wrapped_functionI11custom_lessbEEEE10hipError_tPvRmT1_T2_T3_mmT4_T5_P12ihipStream_tbEUlRKdE_EESK_SO_SP_mSQ_ST_bEUlT_E_NS1_11comp_targetILNS1_3genE9ELNS1_11target_archE1100ELNS1_3gpuE3ELNS1_3repE0EEENS1_30default_config_static_selectorELNS0_4arch9wavefront6targetE1EEEvSN_
                                        ; -- End function
	.section	.AMDGPU.csdata,"",@progbits
; Kernel info:
; codeLenInByte = 0
; NumSgprs: 4
; NumVgprs: 0
; NumAgprs: 0
; TotalNumVgprs: 0
; ScratchSize: 0
; MemoryBound: 0
; FloatMode: 240
; IeeeMode: 1
; LDSByteSize: 0 bytes/workgroup (compile time only)
; SGPRBlocks: 0
; VGPRBlocks: 0
; NumSGPRsForWavesPerEU: 4
; NumVGPRsForWavesPerEU: 1
; AccumOffset: 4
; Occupancy: 8
; WaveLimiterHint : 0
; COMPUTE_PGM_RSRC2:SCRATCH_EN: 0
; COMPUTE_PGM_RSRC2:USER_SGPR: 6
; COMPUTE_PGM_RSRC2:TRAP_HANDLER: 0
; COMPUTE_PGM_RSRC2:TGID_X_EN: 1
; COMPUTE_PGM_RSRC2:TGID_Y_EN: 0
; COMPUTE_PGM_RSRC2:TGID_Z_EN: 0
; COMPUTE_PGM_RSRC2:TIDIG_COMP_CNT: 0
; COMPUTE_PGM_RSRC3_GFX90A:ACCUM_OFFSET: 0
; COMPUTE_PGM_RSRC3_GFX90A:TG_SPLIT: 0
	.section	.text._ZN7rocprim17ROCPRIM_400000_NS6detail17trampoline_kernelINS0_14default_configENS1_27lower_bound_config_selectorIdlEEZNS1_14transform_implILb0ES3_S5_N6thrust23THRUST_200600_302600_NS17counting_iteratorIdNS8_11use_defaultESA_SA_EEPlZNS1_13binary_searchIS3_S5_PdSB_SC_NS1_21lower_bound_search_opENS8_6detail16wrapped_functionI11custom_lessbEEEE10hipError_tPvRmT1_T2_T3_mmT4_T5_P12ihipStream_tbEUlRKdE_EESK_SO_SP_mSQ_ST_bEUlT_E_NS1_11comp_targetILNS1_3genE8ELNS1_11target_archE1030ELNS1_3gpuE2ELNS1_3repE0EEENS1_30default_config_static_selectorELNS0_4arch9wavefront6targetE1EEEvSN_,"axG",@progbits,_ZN7rocprim17ROCPRIM_400000_NS6detail17trampoline_kernelINS0_14default_configENS1_27lower_bound_config_selectorIdlEEZNS1_14transform_implILb0ES3_S5_N6thrust23THRUST_200600_302600_NS17counting_iteratorIdNS8_11use_defaultESA_SA_EEPlZNS1_13binary_searchIS3_S5_PdSB_SC_NS1_21lower_bound_search_opENS8_6detail16wrapped_functionI11custom_lessbEEEE10hipError_tPvRmT1_T2_T3_mmT4_T5_P12ihipStream_tbEUlRKdE_EESK_SO_SP_mSQ_ST_bEUlT_E_NS1_11comp_targetILNS1_3genE8ELNS1_11target_archE1030ELNS1_3gpuE2ELNS1_3repE0EEENS1_30default_config_static_selectorELNS0_4arch9wavefront6targetE1EEEvSN_,comdat
	.protected	_ZN7rocprim17ROCPRIM_400000_NS6detail17trampoline_kernelINS0_14default_configENS1_27lower_bound_config_selectorIdlEEZNS1_14transform_implILb0ES3_S5_N6thrust23THRUST_200600_302600_NS17counting_iteratorIdNS8_11use_defaultESA_SA_EEPlZNS1_13binary_searchIS3_S5_PdSB_SC_NS1_21lower_bound_search_opENS8_6detail16wrapped_functionI11custom_lessbEEEE10hipError_tPvRmT1_T2_T3_mmT4_T5_P12ihipStream_tbEUlRKdE_EESK_SO_SP_mSQ_ST_bEUlT_E_NS1_11comp_targetILNS1_3genE8ELNS1_11target_archE1030ELNS1_3gpuE2ELNS1_3repE0EEENS1_30default_config_static_selectorELNS0_4arch9wavefront6targetE1EEEvSN_ ; -- Begin function _ZN7rocprim17ROCPRIM_400000_NS6detail17trampoline_kernelINS0_14default_configENS1_27lower_bound_config_selectorIdlEEZNS1_14transform_implILb0ES3_S5_N6thrust23THRUST_200600_302600_NS17counting_iteratorIdNS8_11use_defaultESA_SA_EEPlZNS1_13binary_searchIS3_S5_PdSB_SC_NS1_21lower_bound_search_opENS8_6detail16wrapped_functionI11custom_lessbEEEE10hipError_tPvRmT1_T2_T3_mmT4_T5_P12ihipStream_tbEUlRKdE_EESK_SO_SP_mSQ_ST_bEUlT_E_NS1_11comp_targetILNS1_3genE8ELNS1_11target_archE1030ELNS1_3gpuE2ELNS1_3repE0EEENS1_30default_config_static_selectorELNS0_4arch9wavefront6targetE1EEEvSN_
	.globl	_ZN7rocprim17ROCPRIM_400000_NS6detail17trampoline_kernelINS0_14default_configENS1_27lower_bound_config_selectorIdlEEZNS1_14transform_implILb0ES3_S5_N6thrust23THRUST_200600_302600_NS17counting_iteratorIdNS8_11use_defaultESA_SA_EEPlZNS1_13binary_searchIS3_S5_PdSB_SC_NS1_21lower_bound_search_opENS8_6detail16wrapped_functionI11custom_lessbEEEE10hipError_tPvRmT1_T2_T3_mmT4_T5_P12ihipStream_tbEUlRKdE_EESK_SO_SP_mSQ_ST_bEUlT_E_NS1_11comp_targetILNS1_3genE8ELNS1_11target_archE1030ELNS1_3gpuE2ELNS1_3repE0EEENS1_30default_config_static_selectorELNS0_4arch9wavefront6targetE1EEEvSN_
	.p2align	8
	.type	_ZN7rocprim17ROCPRIM_400000_NS6detail17trampoline_kernelINS0_14default_configENS1_27lower_bound_config_selectorIdlEEZNS1_14transform_implILb0ES3_S5_N6thrust23THRUST_200600_302600_NS17counting_iteratorIdNS8_11use_defaultESA_SA_EEPlZNS1_13binary_searchIS3_S5_PdSB_SC_NS1_21lower_bound_search_opENS8_6detail16wrapped_functionI11custom_lessbEEEE10hipError_tPvRmT1_T2_T3_mmT4_T5_P12ihipStream_tbEUlRKdE_EESK_SO_SP_mSQ_ST_bEUlT_E_NS1_11comp_targetILNS1_3genE8ELNS1_11target_archE1030ELNS1_3gpuE2ELNS1_3repE0EEENS1_30default_config_static_selectorELNS0_4arch9wavefront6targetE1EEEvSN_,@function
_ZN7rocprim17ROCPRIM_400000_NS6detail17trampoline_kernelINS0_14default_configENS1_27lower_bound_config_selectorIdlEEZNS1_14transform_implILb0ES3_S5_N6thrust23THRUST_200600_302600_NS17counting_iteratorIdNS8_11use_defaultESA_SA_EEPlZNS1_13binary_searchIS3_S5_PdSB_SC_NS1_21lower_bound_search_opENS8_6detail16wrapped_functionI11custom_lessbEEEE10hipError_tPvRmT1_T2_T3_mmT4_T5_P12ihipStream_tbEUlRKdE_EESK_SO_SP_mSQ_ST_bEUlT_E_NS1_11comp_targetILNS1_3genE8ELNS1_11target_archE1030ELNS1_3gpuE2ELNS1_3repE0EEENS1_30default_config_static_selectorELNS0_4arch9wavefront6targetE1EEEvSN_: ; @_ZN7rocprim17ROCPRIM_400000_NS6detail17trampoline_kernelINS0_14default_configENS1_27lower_bound_config_selectorIdlEEZNS1_14transform_implILb0ES3_S5_N6thrust23THRUST_200600_302600_NS17counting_iteratorIdNS8_11use_defaultESA_SA_EEPlZNS1_13binary_searchIS3_S5_PdSB_SC_NS1_21lower_bound_search_opENS8_6detail16wrapped_functionI11custom_lessbEEEE10hipError_tPvRmT1_T2_T3_mmT4_T5_P12ihipStream_tbEUlRKdE_EESK_SO_SP_mSQ_ST_bEUlT_E_NS1_11comp_targetILNS1_3genE8ELNS1_11target_archE1030ELNS1_3gpuE2ELNS1_3repE0EEENS1_30default_config_static_selectorELNS0_4arch9wavefront6targetE1EEEvSN_
; %bb.0:
	.section	.rodata,"a",@progbits
	.p2align	6, 0x0
	.amdhsa_kernel _ZN7rocprim17ROCPRIM_400000_NS6detail17trampoline_kernelINS0_14default_configENS1_27lower_bound_config_selectorIdlEEZNS1_14transform_implILb0ES3_S5_N6thrust23THRUST_200600_302600_NS17counting_iteratorIdNS8_11use_defaultESA_SA_EEPlZNS1_13binary_searchIS3_S5_PdSB_SC_NS1_21lower_bound_search_opENS8_6detail16wrapped_functionI11custom_lessbEEEE10hipError_tPvRmT1_T2_T3_mmT4_T5_P12ihipStream_tbEUlRKdE_EESK_SO_SP_mSQ_ST_bEUlT_E_NS1_11comp_targetILNS1_3genE8ELNS1_11target_archE1030ELNS1_3gpuE2ELNS1_3repE0EEENS1_30default_config_static_selectorELNS0_4arch9wavefront6targetE1EEEvSN_
		.amdhsa_group_segment_fixed_size 0
		.amdhsa_private_segment_fixed_size 0
		.amdhsa_kernarg_size 56
		.amdhsa_user_sgpr_count 6
		.amdhsa_user_sgpr_private_segment_buffer 1
		.amdhsa_user_sgpr_dispatch_ptr 0
		.amdhsa_user_sgpr_queue_ptr 0
		.amdhsa_user_sgpr_kernarg_segment_ptr 1
		.amdhsa_user_sgpr_dispatch_id 0
		.amdhsa_user_sgpr_flat_scratch_init 0
		.amdhsa_user_sgpr_kernarg_preload_length 0
		.amdhsa_user_sgpr_kernarg_preload_offset 0
		.amdhsa_user_sgpr_private_segment_size 0
		.amdhsa_uses_dynamic_stack 0
		.amdhsa_system_sgpr_private_segment_wavefront_offset 0
		.amdhsa_system_sgpr_workgroup_id_x 1
		.amdhsa_system_sgpr_workgroup_id_y 0
		.amdhsa_system_sgpr_workgroup_id_z 0
		.amdhsa_system_sgpr_workgroup_info 0
		.amdhsa_system_vgpr_workitem_id 0
		.amdhsa_next_free_vgpr 1
		.amdhsa_next_free_sgpr 0
		.amdhsa_accum_offset 4
		.amdhsa_reserve_vcc 0
		.amdhsa_reserve_flat_scratch 0
		.amdhsa_float_round_mode_32 0
		.amdhsa_float_round_mode_16_64 0
		.amdhsa_float_denorm_mode_32 3
		.amdhsa_float_denorm_mode_16_64 3
		.amdhsa_dx10_clamp 1
		.amdhsa_ieee_mode 1
		.amdhsa_fp16_overflow 0
		.amdhsa_tg_split 0
		.amdhsa_exception_fp_ieee_invalid_op 0
		.amdhsa_exception_fp_denorm_src 0
		.amdhsa_exception_fp_ieee_div_zero 0
		.amdhsa_exception_fp_ieee_overflow 0
		.amdhsa_exception_fp_ieee_underflow 0
		.amdhsa_exception_fp_ieee_inexact 0
		.amdhsa_exception_int_div_zero 0
	.end_amdhsa_kernel
	.section	.text._ZN7rocprim17ROCPRIM_400000_NS6detail17trampoline_kernelINS0_14default_configENS1_27lower_bound_config_selectorIdlEEZNS1_14transform_implILb0ES3_S5_N6thrust23THRUST_200600_302600_NS17counting_iteratorIdNS8_11use_defaultESA_SA_EEPlZNS1_13binary_searchIS3_S5_PdSB_SC_NS1_21lower_bound_search_opENS8_6detail16wrapped_functionI11custom_lessbEEEE10hipError_tPvRmT1_T2_T3_mmT4_T5_P12ihipStream_tbEUlRKdE_EESK_SO_SP_mSQ_ST_bEUlT_E_NS1_11comp_targetILNS1_3genE8ELNS1_11target_archE1030ELNS1_3gpuE2ELNS1_3repE0EEENS1_30default_config_static_selectorELNS0_4arch9wavefront6targetE1EEEvSN_,"axG",@progbits,_ZN7rocprim17ROCPRIM_400000_NS6detail17trampoline_kernelINS0_14default_configENS1_27lower_bound_config_selectorIdlEEZNS1_14transform_implILb0ES3_S5_N6thrust23THRUST_200600_302600_NS17counting_iteratorIdNS8_11use_defaultESA_SA_EEPlZNS1_13binary_searchIS3_S5_PdSB_SC_NS1_21lower_bound_search_opENS8_6detail16wrapped_functionI11custom_lessbEEEE10hipError_tPvRmT1_T2_T3_mmT4_T5_P12ihipStream_tbEUlRKdE_EESK_SO_SP_mSQ_ST_bEUlT_E_NS1_11comp_targetILNS1_3genE8ELNS1_11target_archE1030ELNS1_3gpuE2ELNS1_3repE0EEENS1_30default_config_static_selectorELNS0_4arch9wavefront6targetE1EEEvSN_,comdat
.Lfunc_end11:
	.size	_ZN7rocprim17ROCPRIM_400000_NS6detail17trampoline_kernelINS0_14default_configENS1_27lower_bound_config_selectorIdlEEZNS1_14transform_implILb0ES3_S5_N6thrust23THRUST_200600_302600_NS17counting_iteratorIdNS8_11use_defaultESA_SA_EEPlZNS1_13binary_searchIS3_S5_PdSB_SC_NS1_21lower_bound_search_opENS8_6detail16wrapped_functionI11custom_lessbEEEE10hipError_tPvRmT1_T2_T3_mmT4_T5_P12ihipStream_tbEUlRKdE_EESK_SO_SP_mSQ_ST_bEUlT_E_NS1_11comp_targetILNS1_3genE8ELNS1_11target_archE1030ELNS1_3gpuE2ELNS1_3repE0EEENS1_30default_config_static_selectorELNS0_4arch9wavefront6targetE1EEEvSN_, .Lfunc_end11-_ZN7rocprim17ROCPRIM_400000_NS6detail17trampoline_kernelINS0_14default_configENS1_27lower_bound_config_selectorIdlEEZNS1_14transform_implILb0ES3_S5_N6thrust23THRUST_200600_302600_NS17counting_iteratorIdNS8_11use_defaultESA_SA_EEPlZNS1_13binary_searchIS3_S5_PdSB_SC_NS1_21lower_bound_search_opENS8_6detail16wrapped_functionI11custom_lessbEEEE10hipError_tPvRmT1_T2_T3_mmT4_T5_P12ihipStream_tbEUlRKdE_EESK_SO_SP_mSQ_ST_bEUlT_E_NS1_11comp_targetILNS1_3genE8ELNS1_11target_archE1030ELNS1_3gpuE2ELNS1_3repE0EEENS1_30default_config_static_selectorELNS0_4arch9wavefront6targetE1EEEvSN_
                                        ; -- End function
	.section	.AMDGPU.csdata,"",@progbits
; Kernel info:
; codeLenInByte = 0
; NumSgprs: 4
; NumVgprs: 0
; NumAgprs: 0
; TotalNumVgprs: 0
; ScratchSize: 0
; MemoryBound: 0
; FloatMode: 240
; IeeeMode: 1
; LDSByteSize: 0 bytes/workgroup (compile time only)
; SGPRBlocks: 0
; VGPRBlocks: 0
; NumSGPRsForWavesPerEU: 4
; NumVGPRsForWavesPerEU: 1
; AccumOffset: 4
; Occupancy: 8
; WaveLimiterHint : 0
; COMPUTE_PGM_RSRC2:SCRATCH_EN: 0
; COMPUTE_PGM_RSRC2:USER_SGPR: 6
; COMPUTE_PGM_RSRC2:TRAP_HANDLER: 0
; COMPUTE_PGM_RSRC2:TGID_X_EN: 1
; COMPUTE_PGM_RSRC2:TGID_Y_EN: 0
; COMPUTE_PGM_RSRC2:TGID_Z_EN: 0
; COMPUTE_PGM_RSRC2:TIDIG_COMP_CNT: 0
; COMPUTE_PGM_RSRC3_GFX90A:ACCUM_OFFSET: 0
; COMPUTE_PGM_RSRC3_GFX90A:TG_SPLIT: 0
	.section	.text._ZN6thrust23THRUST_200600_302600_NS11hip_rocprim14__parallel_for6kernelILj256ENS1_20__uninitialized_fill7functorINS0_10device_ptrIfEEfEEmLj1EEEvT0_T1_SA_,"axG",@progbits,_ZN6thrust23THRUST_200600_302600_NS11hip_rocprim14__parallel_for6kernelILj256ENS1_20__uninitialized_fill7functorINS0_10device_ptrIfEEfEEmLj1EEEvT0_T1_SA_,comdat
	.protected	_ZN6thrust23THRUST_200600_302600_NS11hip_rocprim14__parallel_for6kernelILj256ENS1_20__uninitialized_fill7functorINS0_10device_ptrIfEEfEEmLj1EEEvT0_T1_SA_ ; -- Begin function _ZN6thrust23THRUST_200600_302600_NS11hip_rocprim14__parallel_for6kernelILj256ENS1_20__uninitialized_fill7functorINS0_10device_ptrIfEEfEEmLj1EEEvT0_T1_SA_
	.globl	_ZN6thrust23THRUST_200600_302600_NS11hip_rocprim14__parallel_for6kernelILj256ENS1_20__uninitialized_fill7functorINS0_10device_ptrIfEEfEEmLj1EEEvT0_T1_SA_
	.p2align	8
	.type	_ZN6thrust23THRUST_200600_302600_NS11hip_rocprim14__parallel_for6kernelILj256ENS1_20__uninitialized_fill7functorINS0_10device_ptrIfEEfEEmLj1EEEvT0_T1_SA_,@function
_ZN6thrust23THRUST_200600_302600_NS11hip_rocprim14__parallel_for6kernelILj256ENS1_20__uninitialized_fill7functorINS0_10device_ptrIfEEfEEmLj1EEEvT0_T1_SA_: ; @_ZN6thrust23THRUST_200600_302600_NS11hip_rocprim14__parallel_for6kernelILj256ENS1_20__uninitialized_fill7functorINS0_10device_ptrIfEEfEEmLj1EEEvT0_T1_SA_
; %bb.0:
	s_load_dwordx4 s[8:11], s[4:5], 0x10
	s_lshl_b32 s0, s6, 8
	v_mov_b32_e32 v2, 0x100
	v_mov_b32_e32 v3, 0
	s_waitcnt lgkmcnt(0)
	s_add_u32 s0, s0, s10
	s_addc_u32 s1, 0, s11
	s_sub_u32 s2, s8, s0
	s_subb_u32 s3, s9, s1
	v_cmp_lt_u64_e32 vcc, s[2:3], v[2:3]
	s_cbranch_vccz .LBB12_2
; %bb.1:
	v_cmp_gt_u32_e32 vcc, s2, v0
	s_and_b64 s[2:3], vcc, exec
	s_cbranch_execz .LBB12_3
	s_branch .LBB12_4
.LBB12_2:
	s_mov_b64 s[2:3], 0
.LBB12_3:
	s_or_b64 s[2:3], s[2:3], exec
.LBB12_4:
	s_and_saveexec_b64 s[6:7], s[2:3]
	s_cbranch_execnz .LBB12_6
; %bb.5:
	s_endpgm
.LBB12_6:
	s_load_dwordx2 s[2:3], s[4:5], 0x0
	s_load_dword s6, s[4:5], 0x8
	s_lshl_b64 s[0:1], s[0:1], 2
	v_mov_b32_e32 v1, 0
	v_lshlrev_b64 v[0:1], 2, v[0:1]
	s_waitcnt lgkmcnt(0)
	s_add_u32 s0, s2, s0
	s_addc_u32 s1, s3, s1
	v_mov_b32_e32 v2, s1
	v_add_co_u32_e32 v0, vcc, s0, v0
	v_addc_co_u32_e32 v1, vcc, v2, v1, vcc
	v_mov_b32_e32 v2, s6
	flat_store_dword v[0:1], v2
	s_endpgm
	.section	.rodata,"a",@progbits
	.p2align	6, 0x0
	.amdhsa_kernel _ZN6thrust23THRUST_200600_302600_NS11hip_rocprim14__parallel_for6kernelILj256ENS1_20__uninitialized_fill7functorINS0_10device_ptrIfEEfEEmLj1EEEvT0_T1_SA_
		.amdhsa_group_segment_fixed_size 0
		.amdhsa_private_segment_fixed_size 0
		.amdhsa_kernarg_size 32
		.amdhsa_user_sgpr_count 6
		.amdhsa_user_sgpr_private_segment_buffer 1
		.amdhsa_user_sgpr_dispatch_ptr 0
		.amdhsa_user_sgpr_queue_ptr 0
		.amdhsa_user_sgpr_kernarg_segment_ptr 1
		.amdhsa_user_sgpr_dispatch_id 0
		.amdhsa_user_sgpr_flat_scratch_init 0
		.amdhsa_user_sgpr_kernarg_preload_length 0
		.amdhsa_user_sgpr_kernarg_preload_offset 0
		.amdhsa_user_sgpr_private_segment_size 0
		.amdhsa_uses_dynamic_stack 0
		.amdhsa_system_sgpr_private_segment_wavefront_offset 0
		.amdhsa_system_sgpr_workgroup_id_x 1
		.amdhsa_system_sgpr_workgroup_id_y 0
		.amdhsa_system_sgpr_workgroup_id_z 0
		.amdhsa_system_sgpr_workgroup_info 0
		.amdhsa_system_vgpr_workitem_id 0
		.amdhsa_next_free_vgpr 4
		.amdhsa_next_free_sgpr 12
		.amdhsa_accum_offset 4
		.amdhsa_reserve_vcc 1
		.amdhsa_reserve_flat_scratch 0
		.amdhsa_float_round_mode_32 0
		.amdhsa_float_round_mode_16_64 0
		.amdhsa_float_denorm_mode_32 3
		.amdhsa_float_denorm_mode_16_64 3
		.amdhsa_dx10_clamp 1
		.amdhsa_ieee_mode 1
		.amdhsa_fp16_overflow 0
		.amdhsa_tg_split 0
		.amdhsa_exception_fp_ieee_invalid_op 0
		.amdhsa_exception_fp_denorm_src 0
		.amdhsa_exception_fp_ieee_div_zero 0
		.amdhsa_exception_fp_ieee_overflow 0
		.amdhsa_exception_fp_ieee_underflow 0
		.amdhsa_exception_fp_ieee_inexact 0
		.amdhsa_exception_int_div_zero 0
	.end_amdhsa_kernel
	.section	.text._ZN6thrust23THRUST_200600_302600_NS11hip_rocprim14__parallel_for6kernelILj256ENS1_20__uninitialized_fill7functorINS0_10device_ptrIfEEfEEmLj1EEEvT0_T1_SA_,"axG",@progbits,_ZN6thrust23THRUST_200600_302600_NS11hip_rocprim14__parallel_for6kernelILj256ENS1_20__uninitialized_fill7functorINS0_10device_ptrIfEEfEEmLj1EEEvT0_T1_SA_,comdat
.Lfunc_end12:
	.size	_ZN6thrust23THRUST_200600_302600_NS11hip_rocprim14__parallel_for6kernelILj256ENS1_20__uninitialized_fill7functorINS0_10device_ptrIfEEfEEmLj1EEEvT0_T1_SA_, .Lfunc_end12-_ZN6thrust23THRUST_200600_302600_NS11hip_rocprim14__parallel_for6kernelILj256ENS1_20__uninitialized_fill7functorINS0_10device_ptrIfEEfEEmLj1EEEvT0_T1_SA_
                                        ; -- End function
	.section	.AMDGPU.csdata,"",@progbits
; Kernel info:
; codeLenInByte = 160
; NumSgprs: 16
; NumVgprs: 4
; NumAgprs: 0
; TotalNumVgprs: 4
; ScratchSize: 0
; MemoryBound: 0
; FloatMode: 240
; IeeeMode: 1
; LDSByteSize: 0 bytes/workgroup (compile time only)
; SGPRBlocks: 1
; VGPRBlocks: 0
; NumSGPRsForWavesPerEU: 16
; NumVGPRsForWavesPerEU: 4
; AccumOffset: 4
; Occupancy: 8
; WaveLimiterHint : 0
; COMPUTE_PGM_RSRC2:SCRATCH_EN: 0
; COMPUTE_PGM_RSRC2:USER_SGPR: 6
; COMPUTE_PGM_RSRC2:TRAP_HANDLER: 0
; COMPUTE_PGM_RSRC2:TGID_X_EN: 1
; COMPUTE_PGM_RSRC2:TGID_Y_EN: 0
; COMPUTE_PGM_RSRC2:TGID_Z_EN: 0
; COMPUTE_PGM_RSRC2:TIDIG_COMP_CNT: 0
; COMPUTE_PGM_RSRC3_GFX90A:ACCUM_OFFSET: 0
; COMPUTE_PGM_RSRC3_GFX90A:TG_SPLIT: 0
	.section	.text._Z18lower_bound_kernelIfEvmPT_Pl,"axG",@progbits,_Z18lower_bound_kernelIfEvmPT_Pl,comdat
	.protected	_Z18lower_bound_kernelIfEvmPT_Pl ; -- Begin function _Z18lower_bound_kernelIfEvmPT_Pl
	.globl	_Z18lower_bound_kernelIfEvmPT_Pl
	.p2align	8
	.type	_Z18lower_bound_kernelIfEvmPT_Pl,@function
_Z18lower_bound_kernelIfEvmPT_Pl:       ; @_Z18lower_bound_kernelIfEvmPT_Pl
; %bb.0:
	s_load_dwordx4 s[8:11], s[4:5], 0x0
	s_load_dwordx2 s[2:3], s[4:5], 0x10
	v_mov_b32_e32 v0, 0
	s_mov_b32 s12, 0x2f800000
	s_mov_b32 s13, 0xcf800000
	s_waitcnt lgkmcnt(0)
	v_cmp_gt_i64_e64 s[0:1], s[8:9], 0
	v_cndmask_b32_e64 v1, 0, 1, s[0:1]
	v_cmp_ne_u32_e64 s[0:1], 1, v1
	v_mov_b32_e32 v1, 0
	s_branch .LBB13_2
.LBB13_1:                               ;   in Loop: Header=BB13_2 Depth=1
	v_pk_mov_b32 v[2:3], s[4:5], s[4:5] op_sel:[0,1]
	v_add_f32_e32 v1, 1.0, v1
	global_store_dwordx2 v0, v[2:3], s[2:3]
	v_sub_f32_e32 v2, 0x41200000, v1
	v_trunc_f32_e32 v2, v2
	v_mul_f32_e64 v3, |v2|, s12
	v_floor_f32_e32 v3, v3
	v_fma_f32 v4, v3, s13, |v2|
	v_cvt_u32_f32_e32 v4, v4
	v_cvt_u32_f32_e32 v3, v3
	v_ashrrev_i32_e32 v5, 31, v2
	s_add_u32 s2, s2, 8
	v_xor_b32_e32 v2, v4, v5
	v_xor_b32_e32 v3, v3, v5
	v_sub_co_u32_e32 v2, vcc, v2, v5
	v_subb_co_u32_e32 v3, vcc, v3, v5, vcc
	v_cmp_ne_u64_e32 vcc, 0, v[2:3]
	s_addc_u32 s3, s3, 0
	s_cbranch_vccz .LBB13_5
.LBB13_2:                               ; =>This Loop Header: Depth=1
                                        ;     Child Loop BB13_4 Depth 2
	s_and_b64 vcc, exec, s[0:1]
	s_mov_b64 s[4:5], 0
	s_cbranch_vccnz .LBB13_1
; %bb.3:                                ;   in Loop: Header=BB13_2 Depth=1
	s_mov_b64 s[6:7], s[8:9]
.LBB13_4:                               ;   Parent Loop BB13_2 Depth=1
                                        ; =>  This Inner Loop Header: Depth=2
	s_sub_u32 s14, s6, s4
	s_subb_u32 s15, s7, s5
	s_lshr_b32 s16, s15, 31
	s_add_u32 s14, s14, s16
	s_addc_u32 s15, s15, 0
	s_ashr_i64 s[14:15], s[14:15], 1
	s_add_u32 s14, s14, s4
	s_addc_u32 s15, s15, s5
	s_lshl_b64 s[16:17], s[14:15], 2
	s_add_u32 s16, s10, s16
	s_addc_u32 s17, s11, s17
	s_load_dword s16, s[16:17], 0x0
	s_add_u32 s18, s14, 1
	s_addc_u32 s19, s15, 0
	s_waitcnt lgkmcnt(0)
	v_cmp_lt_f32_e32 vcc, s16, v1
	s_and_b64 s[16:17], vcc, exec
	s_cselect_b32 s7, s7, s15
	s_cselect_b32 s6, s6, s14
	;; [unrolled: 1-line block ×4, first 2 shown]
	v_pk_mov_b32 v[2:3], s[6:7], s[6:7] op_sel:[0,1]
	v_cmp_lt_i64_e32 vcc, s[4:5], v[2:3]
	s_cbranch_vccnz .LBB13_4
	s_branch .LBB13_1
.LBB13_5:
	s_endpgm
	.section	.rodata,"a",@progbits
	.p2align	6, 0x0
	.amdhsa_kernel _Z18lower_bound_kernelIfEvmPT_Pl
		.amdhsa_group_segment_fixed_size 0
		.amdhsa_private_segment_fixed_size 0
		.amdhsa_kernarg_size 24
		.amdhsa_user_sgpr_count 6
		.amdhsa_user_sgpr_private_segment_buffer 1
		.amdhsa_user_sgpr_dispatch_ptr 0
		.amdhsa_user_sgpr_queue_ptr 0
		.amdhsa_user_sgpr_kernarg_segment_ptr 1
		.amdhsa_user_sgpr_dispatch_id 0
		.amdhsa_user_sgpr_flat_scratch_init 0
		.amdhsa_user_sgpr_kernarg_preload_length 0
		.amdhsa_user_sgpr_kernarg_preload_offset 0
		.amdhsa_user_sgpr_private_segment_size 0
		.amdhsa_uses_dynamic_stack 0
		.amdhsa_system_sgpr_private_segment_wavefront_offset 0
		.amdhsa_system_sgpr_workgroup_id_x 1
		.amdhsa_system_sgpr_workgroup_id_y 0
		.amdhsa_system_sgpr_workgroup_id_z 0
		.amdhsa_system_sgpr_workgroup_info 0
		.amdhsa_system_vgpr_workitem_id 0
		.amdhsa_next_free_vgpr 6
		.amdhsa_next_free_sgpr 20
		.amdhsa_accum_offset 8
		.amdhsa_reserve_vcc 1
		.amdhsa_reserve_flat_scratch 0
		.amdhsa_float_round_mode_32 0
		.amdhsa_float_round_mode_16_64 0
		.amdhsa_float_denorm_mode_32 3
		.amdhsa_float_denorm_mode_16_64 3
		.amdhsa_dx10_clamp 1
		.amdhsa_ieee_mode 1
		.amdhsa_fp16_overflow 0
		.amdhsa_tg_split 0
		.amdhsa_exception_fp_ieee_invalid_op 0
		.amdhsa_exception_fp_denorm_src 0
		.amdhsa_exception_fp_ieee_div_zero 0
		.amdhsa_exception_fp_ieee_overflow 0
		.amdhsa_exception_fp_ieee_underflow 0
		.amdhsa_exception_fp_ieee_inexact 0
		.amdhsa_exception_int_div_zero 0
	.end_amdhsa_kernel
	.section	.text._Z18lower_bound_kernelIfEvmPT_Pl,"axG",@progbits,_Z18lower_bound_kernelIfEvmPT_Pl,comdat
.Lfunc_end13:
	.size	_Z18lower_bound_kernelIfEvmPT_Pl, .Lfunc_end13-_Z18lower_bound_kernelIfEvmPT_Pl
                                        ; -- End function
	.section	.AMDGPU.csdata,"",@progbits
; Kernel info:
; codeLenInByte = 296
; NumSgprs: 24
; NumVgprs: 6
; NumAgprs: 0
; TotalNumVgprs: 6
; ScratchSize: 0
; MemoryBound: 0
; FloatMode: 240
; IeeeMode: 1
; LDSByteSize: 0 bytes/workgroup (compile time only)
; SGPRBlocks: 2
; VGPRBlocks: 0
; NumSGPRsForWavesPerEU: 24
; NumVGPRsForWavesPerEU: 6
; AccumOffset: 8
; Occupancy: 8
; WaveLimiterHint : 0
; COMPUTE_PGM_RSRC2:SCRATCH_EN: 0
; COMPUTE_PGM_RSRC2:USER_SGPR: 6
; COMPUTE_PGM_RSRC2:TRAP_HANDLER: 0
; COMPUTE_PGM_RSRC2:TGID_X_EN: 1
; COMPUTE_PGM_RSRC2:TGID_Y_EN: 0
; COMPUTE_PGM_RSRC2:TGID_Z_EN: 0
; COMPUTE_PGM_RSRC2:TIDIG_COMP_CNT: 0
; COMPUTE_PGM_RSRC3_GFX90A:ACCUM_OFFSET: 1
; COMPUTE_PGM_RSRC3_GFX90A:TG_SPLIT: 0
	.section	.text._ZN7rocprim17ROCPRIM_400000_NS6detail17trampoline_kernelINS0_14default_configENS1_27lower_bound_config_selectorIflEEZNS1_14transform_implILb0ES3_S5_N6thrust23THRUST_200600_302600_NS17counting_iteratorIfNS8_11use_defaultESA_SA_EEPlZNS1_13binary_searchIS3_S5_PfSB_SC_NS1_21lower_bound_search_opENS8_6detail16wrapped_functionI11custom_lessbEEEE10hipError_tPvRmT1_T2_T3_mmT4_T5_P12ihipStream_tbEUlRKfE_EESK_SO_SP_mSQ_ST_bEUlT_E_NS1_11comp_targetILNS1_3genE0ELNS1_11target_archE4294967295ELNS1_3gpuE0ELNS1_3repE0EEENS1_30default_config_static_selectorELNS0_4arch9wavefront6targetE1EEEvSN_,"axG",@progbits,_ZN7rocprim17ROCPRIM_400000_NS6detail17trampoline_kernelINS0_14default_configENS1_27lower_bound_config_selectorIflEEZNS1_14transform_implILb0ES3_S5_N6thrust23THRUST_200600_302600_NS17counting_iteratorIfNS8_11use_defaultESA_SA_EEPlZNS1_13binary_searchIS3_S5_PfSB_SC_NS1_21lower_bound_search_opENS8_6detail16wrapped_functionI11custom_lessbEEEE10hipError_tPvRmT1_T2_T3_mmT4_T5_P12ihipStream_tbEUlRKfE_EESK_SO_SP_mSQ_ST_bEUlT_E_NS1_11comp_targetILNS1_3genE0ELNS1_11target_archE4294967295ELNS1_3gpuE0ELNS1_3repE0EEENS1_30default_config_static_selectorELNS0_4arch9wavefront6targetE1EEEvSN_,comdat
	.protected	_ZN7rocprim17ROCPRIM_400000_NS6detail17trampoline_kernelINS0_14default_configENS1_27lower_bound_config_selectorIflEEZNS1_14transform_implILb0ES3_S5_N6thrust23THRUST_200600_302600_NS17counting_iteratorIfNS8_11use_defaultESA_SA_EEPlZNS1_13binary_searchIS3_S5_PfSB_SC_NS1_21lower_bound_search_opENS8_6detail16wrapped_functionI11custom_lessbEEEE10hipError_tPvRmT1_T2_T3_mmT4_T5_P12ihipStream_tbEUlRKfE_EESK_SO_SP_mSQ_ST_bEUlT_E_NS1_11comp_targetILNS1_3genE0ELNS1_11target_archE4294967295ELNS1_3gpuE0ELNS1_3repE0EEENS1_30default_config_static_selectorELNS0_4arch9wavefront6targetE1EEEvSN_ ; -- Begin function _ZN7rocprim17ROCPRIM_400000_NS6detail17trampoline_kernelINS0_14default_configENS1_27lower_bound_config_selectorIflEEZNS1_14transform_implILb0ES3_S5_N6thrust23THRUST_200600_302600_NS17counting_iteratorIfNS8_11use_defaultESA_SA_EEPlZNS1_13binary_searchIS3_S5_PfSB_SC_NS1_21lower_bound_search_opENS8_6detail16wrapped_functionI11custom_lessbEEEE10hipError_tPvRmT1_T2_T3_mmT4_T5_P12ihipStream_tbEUlRKfE_EESK_SO_SP_mSQ_ST_bEUlT_E_NS1_11comp_targetILNS1_3genE0ELNS1_11target_archE4294967295ELNS1_3gpuE0ELNS1_3repE0EEENS1_30default_config_static_selectorELNS0_4arch9wavefront6targetE1EEEvSN_
	.globl	_ZN7rocprim17ROCPRIM_400000_NS6detail17trampoline_kernelINS0_14default_configENS1_27lower_bound_config_selectorIflEEZNS1_14transform_implILb0ES3_S5_N6thrust23THRUST_200600_302600_NS17counting_iteratorIfNS8_11use_defaultESA_SA_EEPlZNS1_13binary_searchIS3_S5_PfSB_SC_NS1_21lower_bound_search_opENS8_6detail16wrapped_functionI11custom_lessbEEEE10hipError_tPvRmT1_T2_T3_mmT4_T5_P12ihipStream_tbEUlRKfE_EESK_SO_SP_mSQ_ST_bEUlT_E_NS1_11comp_targetILNS1_3genE0ELNS1_11target_archE4294967295ELNS1_3gpuE0ELNS1_3repE0EEENS1_30default_config_static_selectorELNS0_4arch9wavefront6targetE1EEEvSN_
	.p2align	8
	.type	_ZN7rocprim17ROCPRIM_400000_NS6detail17trampoline_kernelINS0_14default_configENS1_27lower_bound_config_selectorIflEEZNS1_14transform_implILb0ES3_S5_N6thrust23THRUST_200600_302600_NS17counting_iteratorIfNS8_11use_defaultESA_SA_EEPlZNS1_13binary_searchIS3_S5_PfSB_SC_NS1_21lower_bound_search_opENS8_6detail16wrapped_functionI11custom_lessbEEEE10hipError_tPvRmT1_T2_T3_mmT4_T5_P12ihipStream_tbEUlRKfE_EESK_SO_SP_mSQ_ST_bEUlT_E_NS1_11comp_targetILNS1_3genE0ELNS1_11target_archE4294967295ELNS1_3gpuE0ELNS1_3repE0EEENS1_30default_config_static_selectorELNS0_4arch9wavefront6targetE1EEEvSN_,@function
_ZN7rocprim17ROCPRIM_400000_NS6detail17trampoline_kernelINS0_14default_configENS1_27lower_bound_config_selectorIflEEZNS1_14transform_implILb0ES3_S5_N6thrust23THRUST_200600_302600_NS17counting_iteratorIfNS8_11use_defaultESA_SA_EEPlZNS1_13binary_searchIS3_S5_PfSB_SC_NS1_21lower_bound_search_opENS8_6detail16wrapped_functionI11custom_lessbEEEE10hipError_tPvRmT1_T2_T3_mmT4_T5_P12ihipStream_tbEUlRKfE_EESK_SO_SP_mSQ_ST_bEUlT_E_NS1_11comp_targetILNS1_3genE0ELNS1_11target_archE4294967295ELNS1_3gpuE0ELNS1_3repE0EEENS1_30default_config_static_selectorELNS0_4arch9wavefront6targetE1EEEvSN_: ; @_ZN7rocprim17ROCPRIM_400000_NS6detail17trampoline_kernelINS0_14default_configENS1_27lower_bound_config_selectorIflEEZNS1_14transform_implILb0ES3_S5_N6thrust23THRUST_200600_302600_NS17counting_iteratorIfNS8_11use_defaultESA_SA_EEPlZNS1_13binary_searchIS3_S5_PfSB_SC_NS1_21lower_bound_search_opENS8_6detail16wrapped_functionI11custom_lessbEEEE10hipError_tPvRmT1_T2_T3_mmT4_T5_P12ihipStream_tbEUlRKfE_EESK_SO_SP_mSQ_ST_bEUlT_E_NS1_11comp_targetILNS1_3genE0ELNS1_11target_archE4294967295ELNS1_3gpuE0ELNS1_3repE0EEENS1_30default_config_static_selectorELNS0_4arch9wavefront6targetE1EEEvSN_
; %bb.0:
	.section	.rodata,"a",@progbits
	.p2align	6, 0x0
	.amdhsa_kernel _ZN7rocprim17ROCPRIM_400000_NS6detail17trampoline_kernelINS0_14default_configENS1_27lower_bound_config_selectorIflEEZNS1_14transform_implILb0ES3_S5_N6thrust23THRUST_200600_302600_NS17counting_iteratorIfNS8_11use_defaultESA_SA_EEPlZNS1_13binary_searchIS3_S5_PfSB_SC_NS1_21lower_bound_search_opENS8_6detail16wrapped_functionI11custom_lessbEEEE10hipError_tPvRmT1_T2_T3_mmT4_T5_P12ihipStream_tbEUlRKfE_EESK_SO_SP_mSQ_ST_bEUlT_E_NS1_11comp_targetILNS1_3genE0ELNS1_11target_archE4294967295ELNS1_3gpuE0ELNS1_3repE0EEENS1_30default_config_static_selectorELNS0_4arch9wavefront6targetE1EEEvSN_
		.amdhsa_group_segment_fixed_size 0
		.amdhsa_private_segment_fixed_size 0
		.amdhsa_kernarg_size 56
		.amdhsa_user_sgpr_count 6
		.amdhsa_user_sgpr_private_segment_buffer 1
		.amdhsa_user_sgpr_dispatch_ptr 0
		.amdhsa_user_sgpr_queue_ptr 0
		.amdhsa_user_sgpr_kernarg_segment_ptr 1
		.amdhsa_user_sgpr_dispatch_id 0
		.amdhsa_user_sgpr_flat_scratch_init 0
		.amdhsa_user_sgpr_kernarg_preload_length 0
		.amdhsa_user_sgpr_kernarg_preload_offset 0
		.amdhsa_user_sgpr_private_segment_size 0
		.amdhsa_uses_dynamic_stack 0
		.amdhsa_system_sgpr_private_segment_wavefront_offset 0
		.amdhsa_system_sgpr_workgroup_id_x 1
		.amdhsa_system_sgpr_workgroup_id_y 0
		.amdhsa_system_sgpr_workgroup_id_z 0
		.amdhsa_system_sgpr_workgroup_info 0
		.amdhsa_system_vgpr_workitem_id 0
		.amdhsa_next_free_vgpr 1
		.amdhsa_next_free_sgpr 0
		.amdhsa_accum_offset 4
		.amdhsa_reserve_vcc 0
		.amdhsa_reserve_flat_scratch 0
		.amdhsa_float_round_mode_32 0
		.amdhsa_float_round_mode_16_64 0
		.amdhsa_float_denorm_mode_32 3
		.amdhsa_float_denorm_mode_16_64 3
		.amdhsa_dx10_clamp 1
		.amdhsa_ieee_mode 1
		.amdhsa_fp16_overflow 0
		.amdhsa_tg_split 0
		.amdhsa_exception_fp_ieee_invalid_op 0
		.amdhsa_exception_fp_denorm_src 0
		.amdhsa_exception_fp_ieee_div_zero 0
		.amdhsa_exception_fp_ieee_overflow 0
		.amdhsa_exception_fp_ieee_underflow 0
		.amdhsa_exception_fp_ieee_inexact 0
		.amdhsa_exception_int_div_zero 0
	.end_amdhsa_kernel
	.section	.text._ZN7rocprim17ROCPRIM_400000_NS6detail17trampoline_kernelINS0_14default_configENS1_27lower_bound_config_selectorIflEEZNS1_14transform_implILb0ES3_S5_N6thrust23THRUST_200600_302600_NS17counting_iteratorIfNS8_11use_defaultESA_SA_EEPlZNS1_13binary_searchIS3_S5_PfSB_SC_NS1_21lower_bound_search_opENS8_6detail16wrapped_functionI11custom_lessbEEEE10hipError_tPvRmT1_T2_T3_mmT4_T5_P12ihipStream_tbEUlRKfE_EESK_SO_SP_mSQ_ST_bEUlT_E_NS1_11comp_targetILNS1_3genE0ELNS1_11target_archE4294967295ELNS1_3gpuE0ELNS1_3repE0EEENS1_30default_config_static_selectorELNS0_4arch9wavefront6targetE1EEEvSN_,"axG",@progbits,_ZN7rocprim17ROCPRIM_400000_NS6detail17trampoline_kernelINS0_14default_configENS1_27lower_bound_config_selectorIflEEZNS1_14transform_implILb0ES3_S5_N6thrust23THRUST_200600_302600_NS17counting_iteratorIfNS8_11use_defaultESA_SA_EEPlZNS1_13binary_searchIS3_S5_PfSB_SC_NS1_21lower_bound_search_opENS8_6detail16wrapped_functionI11custom_lessbEEEE10hipError_tPvRmT1_T2_T3_mmT4_T5_P12ihipStream_tbEUlRKfE_EESK_SO_SP_mSQ_ST_bEUlT_E_NS1_11comp_targetILNS1_3genE0ELNS1_11target_archE4294967295ELNS1_3gpuE0ELNS1_3repE0EEENS1_30default_config_static_selectorELNS0_4arch9wavefront6targetE1EEEvSN_,comdat
.Lfunc_end14:
	.size	_ZN7rocprim17ROCPRIM_400000_NS6detail17trampoline_kernelINS0_14default_configENS1_27lower_bound_config_selectorIflEEZNS1_14transform_implILb0ES3_S5_N6thrust23THRUST_200600_302600_NS17counting_iteratorIfNS8_11use_defaultESA_SA_EEPlZNS1_13binary_searchIS3_S5_PfSB_SC_NS1_21lower_bound_search_opENS8_6detail16wrapped_functionI11custom_lessbEEEE10hipError_tPvRmT1_T2_T3_mmT4_T5_P12ihipStream_tbEUlRKfE_EESK_SO_SP_mSQ_ST_bEUlT_E_NS1_11comp_targetILNS1_3genE0ELNS1_11target_archE4294967295ELNS1_3gpuE0ELNS1_3repE0EEENS1_30default_config_static_selectorELNS0_4arch9wavefront6targetE1EEEvSN_, .Lfunc_end14-_ZN7rocprim17ROCPRIM_400000_NS6detail17trampoline_kernelINS0_14default_configENS1_27lower_bound_config_selectorIflEEZNS1_14transform_implILb0ES3_S5_N6thrust23THRUST_200600_302600_NS17counting_iteratorIfNS8_11use_defaultESA_SA_EEPlZNS1_13binary_searchIS3_S5_PfSB_SC_NS1_21lower_bound_search_opENS8_6detail16wrapped_functionI11custom_lessbEEEE10hipError_tPvRmT1_T2_T3_mmT4_T5_P12ihipStream_tbEUlRKfE_EESK_SO_SP_mSQ_ST_bEUlT_E_NS1_11comp_targetILNS1_3genE0ELNS1_11target_archE4294967295ELNS1_3gpuE0ELNS1_3repE0EEENS1_30default_config_static_selectorELNS0_4arch9wavefront6targetE1EEEvSN_
                                        ; -- End function
	.section	.AMDGPU.csdata,"",@progbits
; Kernel info:
; codeLenInByte = 0
; NumSgprs: 4
; NumVgprs: 0
; NumAgprs: 0
; TotalNumVgprs: 0
; ScratchSize: 0
; MemoryBound: 0
; FloatMode: 240
; IeeeMode: 1
; LDSByteSize: 0 bytes/workgroup (compile time only)
; SGPRBlocks: 0
; VGPRBlocks: 0
; NumSGPRsForWavesPerEU: 4
; NumVGPRsForWavesPerEU: 1
; AccumOffset: 4
; Occupancy: 8
; WaveLimiterHint : 0
; COMPUTE_PGM_RSRC2:SCRATCH_EN: 0
; COMPUTE_PGM_RSRC2:USER_SGPR: 6
; COMPUTE_PGM_RSRC2:TRAP_HANDLER: 0
; COMPUTE_PGM_RSRC2:TGID_X_EN: 1
; COMPUTE_PGM_RSRC2:TGID_Y_EN: 0
; COMPUTE_PGM_RSRC2:TGID_Z_EN: 0
; COMPUTE_PGM_RSRC2:TIDIG_COMP_CNT: 0
; COMPUTE_PGM_RSRC3_GFX90A:ACCUM_OFFSET: 0
; COMPUTE_PGM_RSRC3_GFX90A:TG_SPLIT: 0
	.section	.text._ZN7rocprim17ROCPRIM_400000_NS6detail17trampoline_kernelINS0_14default_configENS1_27lower_bound_config_selectorIflEEZNS1_14transform_implILb0ES3_S5_N6thrust23THRUST_200600_302600_NS17counting_iteratorIfNS8_11use_defaultESA_SA_EEPlZNS1_13binary_searchIS3_S5_PfSB_SC_NS1_21lower_bound_search_opENS8_6detail16wrapped_functionI11custom_lessbEEEE10hipError_tPvRmT1_T2_T3_mmT4_T5_P12ihipStream_tbEUlRKfE_EESK_SO_SP_mSQ_ST_bEUlT_E_NS1_11comp_targetILNS1_3genE5ELNS1_11target_archE942ELNS1_3gpuE9ELNS1_3repE0EEENS1_30default_config_static_selectorELNS0_4arch9wavefront6targetE1EEEvSN_,"axG",@progbits,_ZN7rocprim17ROCPRIM_400000_NS6detail17trampoline_kernelINS0_14default_configENS1_27lower_bound_config_selectorIflEEZNS1_14transform_implILb0ES3_S5_N6thrust23THRUST_200600_302600_NS17counting_iteratorIfNS8_11use_defaultESA_SA_EEPlZNS1_13binary_searchIS3_S5_PfSB_SC_NS1_21lower_bound_search_opENS8_6detail16wrapped_functionI11custom_lessbEEEE10hipError_tPvRmT1_T2_T3_mmT4_T5_P12ihipStream_tbEUlRKfE_EESK_SO_SP_mSQ_ST_bEUlT_E_NS1_11comp_targetILNS1_3genE5ELNS1_11target_archE942ELNS1_3gpuE9ELNS1_3repE0EEENS1_30default_config_static_selectorELNS0_4arch9wavefront6targetE1EEEvSN_,comdat
	.protected	_ZN7rocprim17ROCPRIM_400000_NS6detail17trampoline_kernelINS0_14default_configENS1_27lower_bound_config_selectorIflEEZNS1_14transform_implILb0ES3_S5_N6thrust23THRUST_200600_302600_NS17counting_iteratorIfNS8_11use_defaultESA_SA_EEPlZNS1_13binary_searchIS3_S5_PfSB_SC_NS1_21lower_bound_search_opENS8_6detail16wrapped_functionI11custom_lessbEEEE10hipError_tPvRmT1_T2_T3_mmT4_T5_P12ihipStream_tbEUlRKfE_EESK_SO_SP_mSQ_ST_bEUlT_E_NS1_11comp_targetILNS1_3genE5ELNS1_11target_archE942ELNS1_3gpuE9ELNS1_3repE0EEENS1_30default_config_static_selectorELNS0_4arch9wavefront6targetE1EEEvSN_ ; -- Begin function _ZN7rocprim17ROCPRIM_400000_NS6detail17trampoline_kernelINS0_14default_configENS1_27lower_bound_config_selectorIflEEZNS1_14transform_implILb0ES3_S5_N6thrust23THRUST_200600_302600_NS17counting_iteratorIfNS8_11use_defaultESA_SA_EEPlZNS1_13binary_searchIS3_S5_PfSB_SC_NS1_21lower_bound_search_opENS8_6detail16wrapped_functionI11custom_lessbEEEE10hipError_tPvRmT1_T2_T3_mmT4_T5_P12ihipStream_tbEUlRKfE_EESK_SO_SP_mSQ_ST_bEUlT_E_NS1_11comp_targetILNS1_3genE5ELNS1_11target_archE942ELNS1_3gpuE9ELNS1_3repE0EEENS1_30default_config_static_selectorELNS0_4arch9wavefront6targetE1EEEvSN_
	.globl	_ZN7rocprim17ROCPRIM_400000_NS6detail17trampoline_kernelINS0_14default_configENS1_27lower_bound_config_selectorIflEEZNS1_14transform_implILb0ES3_S5_N6thrust23THRUST_200600_302600_NS17counting_iteratorIfNS8_11use_defaultESA_SA_EEPlZNS1_13binary_searchIS3_S5_PfSB_SC_NS1_21lower_bound_search_opENS8_6detail16wrapped_functionI11custom_lessbEEEE10hipError_tPvRmT1_T2_T3_mmT4_T5_P12ihipStream_tbEUlRKfE_EESK_SO_SP_mSQ_ST_bEUlT_E_NS1_11comp_targetILNS1_3genE5ELNS1_11target_archE942ELNS1_3gpuE9ELNS1_3repE0EEENS1_30default_config_static_selectorELNS0_4arch9wavefront6targetE1EEEvSN_
	.p2align	8
	.type	_ZN7rocprim17ROCPRIM_400000_NS6detail17trampoline_kernelINS0_14default_configENS1_27lower_bound_config_selectorIflEEZNS1_14transform_implILb0ES3_S5_N6thrust23THRUST_200600_302600_NS17counting_iteratorIfNS8_11use_defaultESA_SA_EEPlZNS1_13binary_searchIS3_S5_PfSB_SC_NS1_21lower_bound_search_opENS8_6detail16wrapped_functionI11custom_lessbEEEE10hipError_tPvRmT1_T2_T3_mmT4_T5_P12ihipStream_tbEUlRKfE_EESK_SO_SP_mSQ_ST_bEUlT_E_NS1_11comp_targetILNS1_3genE5ELNS1_11target_archE942ELNS1_3gpuE9ELNS1_3repE0EEENS1_30default_config_static_selectorELNS0_4arch9wavefront6targetE1EEEvSN_,@function
_ZN7rocprim17ROCPRIM_400000_NS6detail17trampoline_kernelINS0_14default_configENS1_27lower_bound_config_selectorIflEEZNS1_14transform_implILb0ES3_S5_N6thrust23THRUST_200600_302600_NS17counting_iteratorIfNS8_11use_defaultESA_SA_EEPlZNS1_13binary_searchIS3_S5_PfSB_SC_NS1_21lower_bound_search_opENS8_6detail16wrapped_functionI11custom_lessbEEEE10hipError_tPvRmT1_T2_T3_mmT4_T5_P12ihipStream_tbEUlRKfE_EESK_SO_SP_mSQ_ST_bEUlT_E_NS1_11comp_targetILNS1_3genE5ELNS1_11target_archE942ELNS1_3gpuE9ELNS1_3repE0EEENS1_30default_config_static_selectorELNS0_4arch9wavefront6targetE1EEEvSN_: ; @_ZN7rocprim17ROCPRIM_400000_NS6detail17trampoline_kernelINS0_14default_configENS1_27lower_bound_config_selectorIflEEZNS1_14transform_implILb0ES3_S5_N6thrust23THRUST_200600_302600_NS17counting_iteratorIfNS8_11use_defaultESA_SA_EEPlZNS1_13binary_searchIS3_S5_PfSB_SC_NS1_21lower_bound_search_opENS8_6detail16wrapped_functionI11custom_lessbEEEE10hipError_tPvRmT1_T2_T3_mmT4_T5_P12ihipStream_tbEUlRKfE_EESK_SO_SP_mSQ_ST_bEUlT_E_NS1_11comp_targetILNS1_3genE5ELNS1_11target_archE942ELNS1_3gpuE9ELNS1_3repE0EEENS1_30default_config_static_selectorELNS0_4arch9wavefront6targetE1EEEvSN_
; %bb.0:
	.section	.rodata,"a",@progbits
	.p2align	6, 0x0
	.amdhsa_kernel _ZN7rocprim17ROCPRIM_400000_NS6detail17trampoline_kernelINS0_14default_configENS1_27lower_bound_config_selectorIflEEZNS1_14transform_implILb0ES3_S5_N6thrust23THRUST_200600_302600_NS17counting_iteratorIfNS8_11use_defaultESA_SA_EEPlZNS1_13binary_searchIS3_S5_PfSB_SC_NS1_21lower_bound_search_opENS8_6detail16wrapped_functionI11custom_lessbEEEE10hipError_tPvRmT1_T2_T3_mmT4_T5_P12ihipStream_tbEUlRKfE_EESK_SO_SP_mSQ_ST_bEUlT_E_NS1_11comp_targetILNS1_3genE5ELNS1_11target_archE942ELNS1_3gpuE9ELNS1_3repE0EEENS1_30default_config_static_selectorELNS0_4arch9wavefront6targetE1EEEvSN_
		.amdhsa_group_segment_fixed_size 0
		.amdhsa_private_segment_fixed_size 0
		.amdhsa_kernarg_size 56
		.amdhsa_user_sgpr_count 6
		.amdhsa_user_sgpr_private_segment_buffer 1
		.amdhsa_user_sgpr_dispatch_ptr 0
		.amdhsa_user_sgpr_queue_ptr 0
		.amdhsa_user_sgpr_kernarg_segment_ptr 1
		.amdhsa_user_sgpr_dispatch_id 0
		.amdhsa_user_sgpr_flat_scratch_init 0
		.amdhsa_user_sgpr_kernarg_preload_length 0
		.amdhsa_user_sgpr_kernarg_preload_offset 0
		.amdhsa_user_sgpr_private_segment_size 0
		.amdhsa_uses_dynamic_stack 0
		.amdhsa_system_sgpr_private_segment_wavefront_offset 0
		.amdhsa_system_sgpr_workgroup_id_x 1
		.amdhsa_system_sgpr_workgroup_id_y 0
		.amdhsa_system_sgpr_workgroup_id_z 0
		.amdhsa_system_sgpr_workgroup_info 0
		.amdhsa_system_vgpr_workitem_id 0
		.amdhsa_next_free_vgpr 1
		.amdhsa_next_free_sgpr 0
		.amdhsa_accum_offset 4
		.amdhsa_reserve_vcc 0
		.amdhsa_reserve_flat_scratch 0
		.amdhsa_float_round_mode_32 0
		.amdhsa_float_round_mode_16_64 0
		.amdhsa_float_denorm_mode_32 3
		.amdhsa_float_denorm_mode_16_64 3
		.amdhsa_dx10_clamp 1
		.amdhsa_ieee_mode 1
		.amdhsa_fp16_overflow 0
		.amdhsa_tg_split 0
		.amdhsa_exception_fp_ieee_invalid_op 0
		.amdhsa_exception_fp_denorm_src 0
		.amdhsa_exception_fp_ieee_div_zero 0
		.amdhsa_exception_fp_ieee_overflow 0
		.amdhsa_exception_fp_ieee_underflow 0
		.amdhsa_exception_fp_ieee_inexact 0
		.amdhsa_exception_int_div_zero 0
	.end_amdhsa_kernel
	.section	.text._ZN7rocprim17ROCPRIM_400000_NS6detail17trampoline_kernelINS0_14default_configENS1_27lower_bound_config_selectorIflEEZNS1_14transform_implILb0ES3_S5_N6thrust23THRUST_200600_302600_NS17counting_iteratorIfNS8_11use_defaultESA_SA_EEPlZNS1_13binary_searchIS3_S5_PfSB_SC_NS1_21lower_bound_search_opENS8_6detail16wrapped_functionI11custom_lessbEEEE10hipError_tPvRmT1_T2_T3_mmT4_T5_P12ihipStream_tbEUlRKfE_EESK_SO_SP_mSQ_ST_bEUlT_E_NS1_11comp_targetILNS1_3genE5ELNS1_11target_archE942ELNS1_3gpuE9ELNS1_3repE0EEENS1_30default_config_static_selectorELNS0_4arch9wavefront6targetE1EEEvSN_,"axG",@progbits,_ZN7rocprim17ROCPRIM_400000_NS6detail17trampoline_kernelINS0_14default_configENS1_27lower_bound_config_selectorIflEEZNS1_14transform_implILb0ES3_S5_N6thrust23THRUST_200600_302600_NS17counting_iteratorIfNS8_11use_defaultESA_SA_EEPlZNS1_13binary_searchIS3_S5_PfSB_SC_NS1_21lower_bound_search_opENS8_6detail16wrapped_functionI11custom_lessbEEEE10hipError_tPvRmT1_T2_T3_mmT4_T5_P12ihipStream_tbEUlRKfE_EESK_SO_SP_mSQ_ST_bEUlT_E_NS1_11comp_targetILNS1_3genE5ELNS1_11target_archE942ELNS1_3gpuE9ELNS1_3repE0EEENS1_30default_config_static_selectorELNS0_4arch9wavefront6targetE1EEEvSN_,comdat
.Lfunc_end15:
	.size	_ZN7rocprim17ROCPRIM_400000_NS6detail17trampoline_kernelINS0_14default_configENS1_27lower_bound_config_selectorIflEEZNS1_14transform_implILb0ES3_S5_N6thrust23THRUST_200600_302600_NS17counting_iteratorIfNS8_11use_defaultESA_SA_EEPlZNS1_13binary_searchIS3_S5_PfSB_SC_NS1_21lower_bound_search_opENS8_6detail16wrapped_functionI11custom_lessbEEEE10hipError_tPvRmT1_T2_T3_mmT4_T5_P12ihipStream_tbEUlRKfE_EESK_SO_SP_mSQ_ST_bEUlT_E_NS1_11comp_targetILNS1_3genE5ELNS1_11target_archE942ELNS1_3gpuE9ELNS1_3repE0EEENS1_30default_config_static_selectorELNS0_4arch9wavefront6targetE1EEEvSN_, .Lfunc_end15-_ZN7rocprim17ROCPRIM_400000_NS6detail17trampoline_kernelINS0_14default_configENS1_27lower_bound_config_selectorIflEEZNS1_14transform_implILb0ES3_S5_N6thrust23THRUST_200600_302600_NS17counting_iteratorIfNS8_11use_defaultESA_SA_EEPlZNS1_13binary_searchIS3_S5_PfSB_SC_NS1_21lower_bound_search_opENS8_6detail16wrapped_functionI11custom_lessbEEEE10hipError_tPvRmT1_T2_T3_mmT4_T5_P12ihipStream_tbEUlRKfE_EESK_SO_SP_mSQ_ST_bEUlT_E_NS1_11comp_targetILNS1_3genE5ELNS1_11target_archE942ELNS1_3gpuE9ELNS1_3repE0EEENS1_30default_config_static_selectorELNS0_4arch9wavefront6targetE1EEEvSN_
                                        ; -- End function
	.section	.AMDGPU.csdata,"",@progbits
; Kernel info:
; codeLenInByte = 0
; NumSgprs: 4
; NumVgprs: 0
; NumAgprs: 0
; TotalNumVgprs: 0
; ScratchSize: 0
; MemoryBound: 0
; FloatMode: 240
; IeeeMode: 1
; LDSByteSize: 0 bytes/workgroup (compile time only)
; SGPRBlocks: 0
; VGPRBlocks: 0
; NumSGPRsForWavesPerEU: 4
; NumVGPRsForWavesPerEU: 1
; AccumOffset: 4
; Occupancy: 8
; WaveLimiterHint : 0
; COMPUTE_PGM_RSRC2:SCRATCH_EN: 0
; COMPUTE_PGM_RSRC2:USER_SGPR: 6
; COMPUTE_PGM_RSRC2:TRAP_HANDLER: 0
; COMPUTE_PGM_RSRC2:TGID_X_EN: 1
; COMPUTE_PGM_RSRC2:TGID_Y_EN: 0
; COMPUTE_PGM_RSRC2:TGID_Z_EN: 0
; COMPUTE_PGM_RSRC2:TIDIG_COMP_CNT: 0
; COMPUTE_PGM_RSRC3_GFX90A:ACCUM_OFFSET: 0
; COMPUTE_PGM_RSRC3_GFX90A:TG_SPLIT: 0
	.section	.text._ZN7rocprim17ROCPRIM_400000_NS6detail17trampoline_kernelINS0_14default_configENS1_27lower_bound_config_selectorIflEEZNS1_14transform_implILb0ES3_S5_N6thrust23THRUST_200600_302600_NS17counting_iteratorIfNS8_11use_defaultESA_SA_EEPlZNS1_13binary_searchIS3_S5_PfSB_SC_NS1_21lower_bound_search_opENS8_6detail16wrapped_functionI11custom_lessbEEEE10hipError_tPvRmT1_T2_T3_mmT4_T5_P12ihipStream_tbEUlRKfE_EESK_SO_SP_mSQ_ST_bEUlT_E_NS1_11comp_targetILNS1_3genE4ELNS1_11target_archE910ELNS1_3gpuE8ELNS1_3repE0EEENS1_30default_config_static_selectorELNS0_4arch9wavefront6targetE1EEEvSN_,"axG",@progbits,_ZN7rocprim17ROCPRIM_400000_NS6detail17trampoline_kernelINS0_14default_configENS1_27lower_bound_config_selectorIflEEZNS1_14transform_implILb0ES3_S5_N6thrust23THRUST_200600_302600_NS17counting_iteratorIfNS8_11use_defaultESA_SA_EEPlZNS1_13binary_searchIS3_S5_PfSB_SC_NS1_21lower_bound_search_opENS8_6detail16wrapped_functionI11custom_lessbEEEE10hipError_tPvRmT1_T2_T3_mmT4_T5_P12ihipStream_tbEUlRKfE_EESK_SO_SP_mSQ_ST_bEUlT_E_NS1_11comp_targetILNS1_3genE4ELNS1_11target_archE910ELNS1_3gpuE8ELNS1_3repE0EEENS1_30default_config_static_selectorELNS0_4arch9wavefront6targetE1EEEvSN_,comdat
	.protected	_ZN7rocprim17ROCPRIM_400000_NS6detail17trampoline_kernelINS0_14default_configENS1_27lower_bound_config_selectorIflEEZNS1_14transform_implILb0ES3_S5_N6thrust23THRUST_200600_302600_NS17counting_iteratorIfNS8_11use_defaultESA_SA_EEPlZNS1_13binary_searchIS3_S5_PfSB_SC_NS1_21lower_bound_search_opENS8_6detail16wrapped_functionI11custom_lessbEEEE10hipError_tPvRmT1_T2_T3_mmT4_T5_P12ihipStream_tbEUlRKfE_EESK_SO_SP_mSQ_ST_bEUlT_E_NS1_11comp_targetILNS1_3genE4ELNS1_11target_archE910ELNS1_3gpuE8ELNS1_3repE0EEENS1_30default_config_static_selectorELNS0_4arch9wavefront6targetE1EEEvSN_ ; -- Begin function _ZN7rocprim17ROCPRIM_400000_NS6detail17trampoline_kernelINS0_14default_configENS1_27lower_bound_config_selectorIflEEZNS1_14transform_implILb0ES3_S5_N6thrust23THRUST_200600_302600_NS17counting_iteratorIfNS8_11use_defaultESA_SA_EEPlZNS1_13binary_searchIS3_S5_PfSB_SC_NS1_21lower_bound_search_opENS8_6detail16wrapped_functionI11custom_lessbEEEE10hipError_tPvRmT1_T2_T3_mmT4_T5_P12ihipStream_tbEUlRKfE_EESK_SO_SP_mSQ_ST_bEUlT_E_NS1_11comp_targetILNS1_3genE4ELNS1_11target_archE910ELNS1_3gpuE8ELNS1_3repE0EEENS1_30default_config_static_selectorELNS0_4arch9wavefront6targetE1EEEvSN_
	.globl	_ZN7rocprim17ROCPRIM_400000_NS6detail17trampoline_kernelINS0_14default_configENS1_27lower_bound_config_selectorIflEEZNS1_14transform_implILb0ES3_S5_N6thrust23THRUST_200600_302600_NS17counting_iteratorIfNS8_11use_defaultESA_SA_EEPlZNS1_13binary_searchIS3_S5_PfSB_SC_NS1_21lower_bound_search_opENS8_6detail16wrapped_functionI11custom_lessbEEEE10hipError_tPvRmT1_T2_T3_mmT4_T5_P12ihipStream_tbEUlRKfE_EESK_SO_SP_mSQ_ST_bEUlT_E_NS1_11comp_targetILNS1_3genE4ELNS1_11target_archE910ELNS1_3gpuE8ELNS1_3repE0EEENS1_30default_config_static_selectorELNS0_4arch9wavefront6targetE1EEEvSN_
	.p2align	8
	.type	_ZN7rocprim17ROCPRIM_400000_NS6detail17trampoline_kernelINS0_14default_configENS1_27lower_bound_config_selectorIflEEZNS1_14transform_implILb0ES3_S5_N6thrust23THRUST_200600_302600_NS17counting_iteratorIfNS8_11use_defaultESA_SA_EEPlZNS1_13binary_searchIS3_S5_PfSB_SC_NS1_21lower_bound_search_opENS8_6detail16wrapped_functionI11custom_lessbEEEE10hipError_tPvRmT1_T2_T3_mmT4_T5_P12ihipStream_tbEUlRKfE_EESK_SO_SP_mSQ_ST_bEUlT_E_NS1_11comp_targetILNS1_3genE4ELNS1_11target_archE910ELNS1_3gpuE8ELNS1_3repE0EEENS1_30default_config_static_selectorELNS0_4arch9wavefront6targetE1EEEvSN_,@function
_ZN7rocprim17ROCPRIM_400000_NS6detail17trampoline_kernelINS0_14default_configENS1_27lower_bound_config_selectorIflEEZNS1_14transform_implILb0ES3_S5_N6thrust23THRUST_200600_302600_NS17counting_iteratorIfNS8_11use_defaultESA_SA_EEPlZNS1_13binary_searchIS3_S5_PfSB_SC_NS1_21lower_bound_search_opENS8_6detail16wrapped_functionI11custom_lessbEEEE10hipError_tPvRmT1_T2_T3_mmT4_T5_P12ihipStream_tbEUlRKfE_EESK_SO_SP_mSQ_ST_bEUlT_E_NS1_11comp_targetILNS1_3genE4ELNS1_11target_archE910ELNS1_3gpuE8ELNS1_3repE0EEENS1_30default_config_static_selectorELNS0_4arch9wavefront6targetE1EEEvSN_: ; @_ZN7rocprim17ROCPRIM_400000_NS6detail17trampoline_kernelINS0_14default_configENS1_27lower_bound_config_selectorIflEEZNS1_14transform_implILb0ES3_S5_N6thrust23THRUST_200600_302600_NS17counting_iteratorIfNS8_11use_defaultESA_SA_EEPlZNS1_13binary_searchIS3_S5_PfSB_SC_NS1_21lower_bound_search_opENS8_6detail16wrapped_functionI11custom_lessbEEEE10hipError_tPvRmT1_T2_T3_mmT4_T5_P12ihipStream_tbEUlRKfE_EESK_SO_SP_mSQ_ST_bEUlT_E_NS1_11comp_targetILNS1_3genE4ELNS1_11target_archE910ELNS1_3gpuE8ELNS1_3repE0EEENS1_30default_config_static_selectorELNS0_4arch9wavefront6targetE1EEEvSN_
; %bb.0:
	s_load_dwordx2 s[8:9], s[4:5], 0x8
	s_load_dword s7, s[4:5], 0x0
	s_waitcnt lgkmcnt(0)
	s_xor_b32 s1, s8, s9
	s_flbit_i32 s0, s9
	s_ashr_i32 s1, s1, 31
	s_add_i32 s0, s0, -1
	s_add_i32 s1, s1, 32
	s_min_u32 s10, s0, s1
	s_lshl_b64 s[0:1], s[8:9], s10
	s_min_u32 s0, s0, 1
	s_or_b32 s0, s1, s0
	v_cvt_f32_i32_e32 v1, s0
	s_load_dwordx4 s[0:3], s[4:5], 0x18
	s_load_dwordx2 s[12:13], s[4:5], 0x28
	s_load_dword s11, s[4:5], 0x38
	s_sub_i32 s10, 32, s10
	v_ldexp_f32 v1, v1, s10
	s_lshl_b32 s10, s6, 8
	s_waitcnt lgkmcnt(0)
	s_add_i32 s11, s11, -1
	v_add_f32_e32 v1, s7, v1
	s_cmp_lg_u32 s6, s11
	s_mov_b32 s11, 0
	s_cbranch_scc0 .LBB16_6
; %bb.1:
	s_mov_b64 s[14:15], 0
	s_cmp_eq_u64 s[12:13], 0
	v_pk_mov_b32 v[2:3], 0, 0
	s_cbranch_scc1 .LBB16_5
; %bb.2:
	v_cvt_f32_u32_e32 v4, s10
	v_cvt_f32_ubyte0_e32 v5, v0
	s_mov_b64 s[6:7], 0
	v_pk_mov_b32 v[2:3], 0, 0
	v_add_f32_e32 v4, v1, v4
	v_add_f32_e32 v6, v4, v5
	v_pk_mov_b32 v[4:5], s[12:13], s[12:13] op_sel:[0,1]
	v_mov_b32_e32 v7, s3
.LBB16_3:                               ; =>This Inner Loop Header: Depth=1
	v_sub_co_u32_e32 v8, vcc, v4, v2
	v_subb_co_u32_e32 v9, vcc, v5, v3, vcc
	v_lshrrev_b64 v[10:11], 1, v[8:9]
	v_add_co_u32_e32 v10, vcc, v10, v2
	v_lshrrev_b64 v[8:9], 6, v[8:9]
	v_addc_co_u32_e32 v11, vcc, v11, v3, vcc
	v_add_co_u32_e32 v8, vcc, v10, v8
	v_addc_co_u32_e32 v9, vcc, v11, v9, vcc
	v_lshlrev_b64 v[10:11], 2, v[8:9]
	v_add_co_u32_e32 v10, vcc, s2, v10
	v_addc_co_u32_e32 v11, vcc, v7, v11, vcc
	global_load_dword v10, v[10:11], off
	v_add_co_u32_e32 v11, vcc, 1, v8
	v_addc_co_u32_e32 v12, vcc, 0, v9, vcc
	s_waitcnt vmcnt(0)
	v_cmp_lt_f32_e32 vcc, v10, v6
	v_cndmask_b32_e32 v5, v9, v5, vcc
	v_cndmask_b32_e32 v4, v8, v4, vcc
	;; [unrolled: 1-line block ×4, first 2 shown]
	v_cmp_ge_u64_e32 vcc, v[2:3], v[4:5]
	s_or_b64 s[6:7], vcc, s[6:7]
	s_andn2_b64 exec, exec, s[6:7]
	s_cbranch_execnz .LBB16_3
; %bb.4:
	s_or_b64 exec, exec, s[6:7]
.LBB16_5:
	s_mov_b64 s[6:7], -1
	s_andn2_b64 vcc, exec, s[14:15]
	s_cbranch_vccz .LBB16_7
	s_branch .LBB16_13
.LBB16_6:
	s_mov_b64 s[6:7], 0
                                        ; implicit-def: $vgpr2_vgpr3
.LBB16_7:
	s_load_dword s4, s[4:5], 0x10
                                        ; implicit-def: $vgpr2_vgpr3
	s_waitcnt lgkmcnt(0)
	s_sub_i32 s4, s4, s10
	v_cmp_gt_u32_e64 s[6:7], s4, v0
	s_and_saveexec_b64 s[4:5], s[6:7]
	s_cbranch_execz .LBB16_12
; %bb.8:
	s_mov_b64 s[14:15], 0
	s_cmp_eq_u64 s[12:13], 0
	v_pk_mov_b32 v[2:3], 0, 0
	s_cbranch_scc1 .LBB16_12
; %bb.9:
	v_cvt_f32_u32_e32 v6, s10
	v_cvt_f32_ubyte0_e32 v7, v0
	v_pk_mov_b32 v[2:3], 0, 0
	v_pk_mov_b32 v[4:5], s[12:13], s[12:13] op_sel:[0,1]
	v_add_f32_e32 v1, v1, v6
	v_add_f32_e32 v1, v1, v7
	v_mov_b32_e32 v6, s3
.LBB16_10:                              ; =>This Inner Loop Header: Depth=1
	v_sub_co_u32_e32 v8, vcc, v4, v2
	v_subb_co_u32_e32 v9, vcc, v5, v3, vcc
	v_lshrrev_b64 v[10:11], 1, v[8:9]
	v_add_co_u32_e32 v7, vcc, v10, v2
	v_lshrrev_b64 v[8:9], 6, v[8:9]
	v_addc_co_u32_e32 v10, vcc, v11, v3, vcc
	v_add_co_u32_e32 v8, vcc, v7, v8
	v_addc_co_u32_e32 v9, vcc, v10, v9, vcc
	v_lshlrev_b64 v[10:11], 2, v[8:9]
	v_add_co_u32_e32 v10, vcc, s2, v10
	v_addc_co_u32_e32 v11, vcc, v6, v11, vcc
	global_load_dword v7, v[10:11], off
	v_add_co_u32_e32 v10, vcc, 1, v8
	v_addc_co_u32_e32 v11, vcc, 0, v9, vcc
	s_waitcnt vmcnt(0)
	v_cmp_lt_f32_e32 vcc, v7, v1
	v_cndmask_b32_e32 v5, v9, v5, vcc
	v_cndmask_b32_e32 v4, v8, v4, vcc
	;; [unrolled: 1-line block ×4, first 2 shown]
	v_cmp_ge_u64_e32 vcc, v[2:3], v[4:5]
	s_or_b64 s[14:15], vcc, s[14:15]
	s_andn2_b64 exec, exec, s[14:15]
	s_cbranch_execnz .LBB16_10
; %bb.11:
	s_or_b64 exec, exec, s[14:15]
.LBB16_12:
	s_or_b64 exec, exec, s[4:5]
.LBB16_13:
	s_and_saveexec_b64 s[2:3], s[6:7]
	s_cbranch_execnz .LBB16_15
; %bb.14:
	s_endpgm
.LBB16_15:
	s_lshl_b64 s[2:3], s[8:9], 3
	s_add_u32 s2, s0, s2
	s_addc_u32 s3, s1, s3
	s_lshl_b64 s[0:1], s[10:11], 3
	s_add_u32 s0, s2, s0
	s_addc_u32 s1, s3, s1
	v_lshlrev_b32_e32 v0, 3, v0
	global_store_dwordx2 v0, v[2:3], s[0:1]
	s_endpgm
	.section	.rodata,"a",@progbits
	.p2align	6, 0x0
	.amdhsa_kernel _ZN7rocprim17ROCPRIM_400000_NS6detail17trampoline_kernelINS0_14default_configENS1_27lower_bound_config_selectorIflEEZNS1_14transform_implILb0ES3_S5_N6thrust23THRUST_200600_302600_NS17counting_iteratorIfNS8_11use_defaultESA_SA_EEPlZNS1_13binary_searchIS3_S5_PfSB_SC_NS1_21lower_bound_search_opENS8_6detail16wrapped_functionI11custom_lessbEEEE10hipError_tPvRmT1_T2_T3_mmT4_T5_P12ihipStream_tbEUlRKfE_EESK_SO_SP_mSQ_ST_bEUlT_E_NS1_11comp_targetILNS1_3genE4ELNS1_11target_archE910ELNS1_3gpuE8ELNS1_3repE0EEENS1_30default_config_static_selectorELNS0_4arch9wavefront6targetE1EEEvSN_
		.amdhsa_group_segment_fixed_size 0
		.amdhsa_private_segment_fixed_size 0
		.amdhsa_kernarg_size 312
		.amdhsa_user_sgpr_count 6
		.amdhsa_user_sgpr_private_segment_buffer 1
		.amdhsa_user_sgpr_dispatch_ptr 0
		.amdhsa_user_sgpr_queue_ptr 0
		.amdhsa_user_sgpr_kernarg_segment_ptr 1
		.amdhsa_user_sgpr_dispatch_id 0
		.amdhsa_user_sgpr_flat_scratch_init 0
		.amdhsa_user_sgpr_kernarg_preload_length 0
		.amdhsa_user_sgpr_kernarg_preload_offset 0
		.amdhsa_user_sgpr_private_segment_size 0
		.amdhsa_uses_dynamic_stack 0
		.amdhsa_system_sgpr_private_segment_wavefront_offset 0
		.amdhsa_system_sgpr_workgroup_id_x 1
		.amdhsa_system_sgpr_workgroup_id_y 0
		.amdhsa_system_sgpr_workgroup_id_z 0
		.amdhsa_system_sgpr_workgroup_info 0
		.amdhsa_system_vgpr_workitem_id 0
		.amdhsa_next_free_vgpr 13
		.amdhsa_next_free_sgpr 16
		.amdhsa_accum_offset 16
		.amdhsa_reserve_vcc 1
		.amdhsa_reserve_flat_scratch 0
		.amdhsa_float_round_mode_32 0
		.amdhsa_float_round_mode_16_64 0
		.amdhsa_float_denorm_mode_32 3
		.amdhsa_float_denorm_mode_16_64 3
		.amdhsa_dx10_clamp 1
		.amdhsa_ieee_mode 1
		.amdhsa_fp16_overflow 0
		.amdhsa_tg_split 0
		.amdhsa_exception_fp_ieee_invalid_op 0
		.amdhsa_exception_fp_denorm_src 0
		.amdhsa_exception_fp_ieee_div_zero 0
		.amdhsa_exception_fp_ieee_overflow 0
		.amdhsa_exception_fp_ieee_underflow 0
		.amdhsa_exception_fp_ieee_inexact 0
		.amdhsa_exception_int_div_zero 0
	.end_amdhsa_kernel
	.section	.text._ZN7rocprim17ROCPRIM_400000_NS6detail17trampoline_kernelINS0_14default_configENS1_27lower_bound_config_selectorIflEEZNS1_14transform_implILb0ES3_S5_N6thrust23THRUST_200600_302600_NS17counting_iteratorIfNS8_11use_defaultESA_SA_EEPlZNS1_13binary_searchIS3_S5_PfSB_SC_NS1_21lower_bound_search_opENS8_6detail16wrapped_functionI11custom_lessbEEEE10hipError_tPvRmT1_T2_T3_mmT4_T5_P12ihipStream_tbEUlRKfE_EESK_SO_SP_mSQ_ST_bEUlT_E_NS1_11comp_targetILNS1_3genE4ELNS1_11target_archE910ELNS1_3gpuE8ELNS1_3repE0EEENS1_30default_config_static_selectorELNS0_4arch9wavefront6targetE1EEEvSN_,"axG",@progbits,_ZN7rocprim17ROCPRIM_400000_NS6detail17trampoline_kernelINS0_14default_configENS1_27lower_bound_config_selectorIflEEZNS1_14transform_implILb0ES3_S5_N6thrust23THRUST_200600_302600_NS17counting_iteratorIfNS8_11use_defaultESA_SA_EEPlZNS1_13binary_searchIS3_S5_PfSB_SC_NS1_21lower_bound_search_opENS8_6detail16wrapped_functionI11custom_lessbEEEE10hipError_tPvRmT1_T2_T3_mmT4_T5_P12ihipStream_tbEUlRKfE_EESK_SO_SP_mSQ_ST_bEUlT_E_NS1_11comp_targetILNS1_3genE4ELNS1_11target_archE910ELNS1_3gpuE8ELNS1_3repE0EEENS1_30default_config_static_selectorELNS0_4arch9wavefront6targetE1EEEvSN_,comdat
.Lfunc_end16:
	.size	_ZN7rocprim17ROCPRIM_400000_NS6detail17trampoline_kernelINS0_14default_configENS1_27lower_bound_config_selectorIflEEZNS1_14transform_implILb0ES3_S5_N6thrust23THRUST_200600_302600_NS17counting_iteratorIfNS8_11use_defaultESA_SA_EEPlZNS1_13binary_searchIS3_S5_PfSB_SC_NS1_21lower_bound_search_opENS8_6detail16wrapped_functionI11custom_lessbEEEE10hipError_tPvRmT1_T2_T3_mmT4_T5_P12ihipStream_tbEUlRKfE_EESK_SO_SP_mSQ_ST_bEUlT_E_NS1_11comp_targetILNS1_3genE4ELNS1_11target_archE910ELNS1_3gpuE8ELNS1_3repE0EEENS1_30default_config_static_selectorELNS0_4arch9wavefront6targetE1EEEvSN_, .Lfunc_end16-_ZN7rocprim17ROCPRIM_400000_NS6detail17trampoline_kernelINS0_14default_configENS1_27lower_bound_config_selectorIflEEZNS1_14transform_implILb0ES3_S5_N6thrust23THRUST_200600_302600_NS17counting_iteratorIfNS8_11use_defaultESA_SA_EEPlZNS1_13binary_searchIS3_S5_PfSB_SC_NS1_21lower_bound_search_opENS8_6detail16wrapped_functionI11custom_lessbEEEE10hipError_tPvRmT1_T2_T3_mmT4_T5_P12ihipStream_tbEUlRKfE_EESK_SO_SP_mSQ_ST_bEUlT_E_NS1_11comp_targetILNS1_3genE4ELNS1_11target_archE910ELNS1_3gpuE8ELNS1_3repE0EEENS1_30default_config_static_selectorELNS0_4arch9wavefront6targetE1EEEvSN_
                                        ; -- End function
	.section	.AMDGPU.csdata,"",@progbits
; Kernel info:
; codeLenInByte = 580
; NumSgprs: 20
; NumVgprs: 13
; NumAgprs: 0
; TotalNumVgprs: 13
; ScratchSize: 0
; MemoryBound: 0
; FloatMode: 240
; IeeeMode: 1
; LDSByteSize: 0 bytes/workgroup (compile time only)
; SGPRBlocks: 2
; VGPRBlocks: 1
; NumSGPRsForWavesPerEU: 20
; NumVGPRsForWavesPerEU: 13
; AccumOffset: 16
; Occupancy: 8
; WaveLimiterHint : 0
; COMPUTE_PGM_RSRC2:SCRATCH_EN: 0
; COMPUTE_PGM_RSRC2:USER_SGPR: 6
; COMPUTE_PGM_RSRC2:TRAP_HANDLER: 0
; COMPUTE_PGM_RSRC2:TGID_X_EN: 1
; COMPUTE_PGM_RSRC2:TGID_Y_EN: 0
; COMPUTE_PGM_RSRC2:TGID_Z_EN: 0
; COMPUTE_PGM_RSRC2:TIDIG_COMP_CNT: 0
; COMPUTE_PGM_RSRC3_GFX90A:ACCUM_OFFSET: 3
; COMPUTE_PGM_RSRC3_GFX90A:TG_SPLIT: 0
	.section	.text._ZN7rocprim17ROCPRIM_400000_NS6detail17trampoline_kernelINS0_14default_configENS1_27lower_bound_config_selectorIflEEZNS1_14transform_implILb0ES3_S5_N6thrust23THRUST_200600_302600_NS17counting_iteratorIfNS8_11use_defaultESA_SA_EEPlZNS1_13binary_searchIS3_S5_PfSB_SC_NS1_21lower_bound_search_opENS8_6detail16wrapped_functionI11custom_lessbEEEE10hipError_tPvRmT1_T2_T3_mmT4_T5_P12ihipStream_tbEUlRKfE_EESK_SO_SP_mSQ_ST_bEUlT_E_NS1_11comp_targetILNS1_3genE3ELNS1_11target_archE908ELNS1_3gpuE7ELNS1_3repE0EEENS1_30default_config_static_selectorELNS0_4arch9wavefront6targetE1EEEvSN_,"axG",@progbits,_ZN7rocprim17ROCPRIM_400000_NS6detail17trampoline_kernelINS0_14default_configENS1_27lower_bound_config_selectorIflEEZNS1_14transform_implILb0ES3_S5_N6thrust23THRUST_200600_302600_NS17counting_iteratorIfNS8_11use_defaultESA_SA_EEPlZNS1_13binary_searchIS3_S5_PfSB_SC_NS1_21lower_bound_search_opENS8_6detail16wrapped_functionI11custom_lessbEEEE10hipError_tPvRmT1_T2_T3_mmT4_T5_P12ihipStream_tbEUlRKfE_EESK_SO_SP_mSQ_ST_bEUlT_E_NS1_11comp_targetILNS1_3genE3ELNS1_11target_archE908ELNS1_3gpuE7ELNS1_3repE0EEENS1_30default_config_static_selectorELNS0_4arch9wavefront6targetE1EEEvSN_,comdat
	.protected	_ZN7rocprim17ROCPRIM_400000_NS6detail17trampoline_kernelINS0_14default_configENS1_27lower_bound_config_selectorIflEEZNS1_14transform_implILb0ES3_S5_N6thrust23THRUST_200600_302600_NS17counting_iteratorIfNS8_11use_defaultESA_SA_EEPlZNS1_13binary_searchIS3_S5_PfSB_SC_NS1_21lower_bound_search_opENS8_6detail16wrapped_functionI11custom_lessbEEEE10hipError_tPvRmT1_T2_T3_mmT4_T5_P12ihipStream_tbEUlRKfE_EESK_SO_SP_mSQ_ST_bEUlT_E_NS1_11comp_targetILNS1_3genE3ELNS1_11target_archE908ELNS1_3gpuE7ELNS1_3repE0EEENS1_30default_config_static_selectorELNS0_4arch9wavefront6targetE1EEEvSN_ ; -- Begin function _ZN7rocprim17ROCPRIM_400000_NS6detail17trampoline_kernelINS0_14default_configENS1_27lower_bound_config_selectorIflEEZNS1_14transform_implILb0ES3_S5_N6thrust23THRUST_200600_302600_NS17counting_iteratorIfNS8_11use_defaultESA_SA_EEPlZNS1_13binary_searchIS3_S5_PfSB_SC_NS1_21lower_bound_search_opENS8_6detail16wrapped_functionI11custom_lessbEEEE10hipError_tPvRmT1_T2_T3_mmT4_T5_P12ihipStream_tbEUlRKfE_EESK_SO_SP_mSQ_ST_bEUlT_E_NS1_11comp_targetILNS1_3genE3ELNS1_11target_archE908ELNS1_3gpuE7ELNS1_3repE0EEENS1_30default_config_static_selectorELNS0_4arch9wavefront6targetE1EEEvSN_
	.globl	_ZN7rocprim17ROCPRIM_400000_NS6detail17trampoline_kernelINS0_14default_configENS1_27lower_bound_config_selectorIflEEZNS1_14transform_implILb0ES3_S5_N6thrust23THRUST_200600_302600_NS17counting_iteratorIfNS8_11use_defaultESA_SA_EEPlZNS1_13binary_searchIS3_S5_PfSB_SC_NS1_21lower_bound_search_opENS8_6detail16wrapped_functionI11custom_lessbEEEE10hipError_tPvRmT1_T2_T3_mmT4_T5_P12ihipStream_tbEUlRKfE_EESK_SO_SP_mSQ_ST_bEUlT_E_NS1_11comp_targetILNS1_3genE3ELNS1_11target_archE908ELNS1_3gpuE7ELNS1_3repE0EEENS1_30default_config_static_selectorELNS0_4arch9wavefront6targetE1EEEvSN_
	.p2align	8
	.type	_ZN7rocprim17ROCPRIM_400000_NS6detail17trampoline_kernelINS0_14default_configENS1_27lower_bound_config_selectorIflEEZNS1_14transform_implILb0ES3_S5_N6thrust23THRUST_200600_302600_NS17counting_iteratorIfNS8_11use_defaultESA_SA_EEPlZNS1_13binary_searchIS3_S5_PfSB_SC_NS1_21lower_bound_search_opENS8_6detail16wrapped_functionI11custom_lessbEEEE10hipError_tPvRmT1_T2_T3_mmT4_T5_P12ihipStream_tbEUlRKfE_EESK_SO_SP_mSQ_ST_bEUlT_E_NS1_11comp_targetILNS1_3genE3ELNS1_11target_archE908ELNS1_3gpuE7ELNS1_3repE0EEENS1_30default_config_static_selectorELNS0_4arch9wavefront6targetE1EEEvSN_,@function
_ZN7rocprim17ROCPRIM_400000_NS6detail17trampoline_kernelINS0_14default_configENS1_27lower_bound_config_selectorIflEEZNS1_14transform_implILb0ES3_S5_N6thrust23THRUST_200600_302600_NS17counting_iteratorIfNS8_11use_defaultESA_SA_EEPlZNS1_13binary_searchIS3_S5_PfSB_SC_NS1_21lower_bound_search_opENS8_6detail16wrapped_functionI11custom_lessbEEEE10hipError_tPvRmT1_T2_T3_mmT4_T5_P12ihipStream_tbEUlRKfE_EESK_SO_SP_mSQ_ST_bEUlT_E_NS1_11comp_targetILNS1_3genE3ELNS1_11target_archE908ELNS1_3gpuE7ELNS1_3repE0EEENS1_30default_config_static_selectorELNS0_4arch9wavefront6targetE1EEEvSN_: ; @_ZN7rocprim17ROCPRIM_400000_NS6detail17trampoline_kernelINS0_14default_configENS1_27lower_bound_config_selectorIflEEZNS1_14transform_implILb0ES3_S5_N6thrust23THRUST_200600_302600_NS17counting_iteratorIfNS8_11use_defaultESA_SA_EEPlZNS1_13binary_searchIS3_S5_PfSB_SC_NS1_21lower_bound_search_opENS8_6detail16wrapped_functionI11custom_lessbEEEE10hipError_tPvRmT1_T2_T3_mmT4_T5_P12ihipStream_tbEUlRKfE_EESK_SO_SP_mSQ_ST_bEUlT_E_NS1_11comp_targetILNS1_3genE3ELNS1_11target_archE908ELNS1_3gpuE7ELNS1_3repE0EEENS1_30default_config_static_selectorELNS0_4arch9wavefront6targetE1EEEvSN_
; %bb.0:
	.section	.rodata,"a",@progbits
	.p2align	6, 0x0
	.amdhsa_kernel _ZN7rocprim17ROCPRIM_400000_NS6detail17trampoline_kernelINS0_14default_configENS1_27lower_bound_config_selectorIflEEZNS1_14transform_implILb0ES3_S5_N6thrust23THRUST_200600_302600_NS17counting_iteratorIfNS8_11use_defaultESA_SA_EEPlZNS1_13binary_searchIS3_S5_PfSB_SC_NS1_21lower_bound_search_opENS8_6detail16wrapped_functionI11custom_lessbEEEE10hipError_tPvRmT1_T2_T3_mmT4_T5_P12ihipStream_tbEUlRKfE_EESK_SO_SP_mSQ_ST_bEUlT_E_NS1_11comp_targetILNS1_3genE3ELNS1_11target_archE908ELNS1_3gpuE7ELNS1_3repE0EEENS1_30default_config_static_selectorELNS0_4arch9wavefront6targetE1EEEvSN_
		.amdhsa_group_segment_fixed_size 0
		.amdhsa_private_segment_fixed_size 0
		.amdhsa_kernarg_size 56
		.amdhsa_user_sgpr_count 6
		.amdhsa_user_sgpr_private_segment_buffer 1
		.amdhsa_user_sgpr_dispatch_ptr 0
		.amdhsa_user_sgpr_queue_ptr 0
		.amdhsa_user_sgpr_kernarg_segment_ptr 1
		.amdhsa_user_sgpr_dispatch_id 0
		.amdhsa_user_sgpr_flat_scratch_init 0
		.amdhsa_user_sgpr_kernarg_preload_length 0
		.amdhsa_user_sgpr_kernarg_preload_offset 0
		.amdhsa_user_sgpr_private_segment_size 0
		.amdhsa_uses_dynamic_stack 0
		.amdhsa_system_sgpr_private_segment_wavefront_offset 0
		.amdhsa_system_sgpr_workgroup_id_x 1
		.amdhsa_system_sgpr_workgroup_id_y 0
		.amdhsa_system_sgpr_workgroup_id_z 0
		.amdhsa_system_sgpr_workgroup_info 0
		.amdhsa_system_vgpr_workitem_id 0
		.amdhsa_next_free_vgpr 1
		.amdhsa_next_free_sgpr 0
		.amdhsa_accum_offset 4
		.amdhsa_reserve_vcc 0
		.amdhsa_reserve_flat_scratch 0
		.amdhsa_float_round_mode_32 0
		.amdhsa_float_round_mode_16_64 0
		.amdhsa_float_denorm_mode_32 3
		.amdhsa_float_denorm_mode_16_64 3
		.amdhsa_dx10_clamp 1
		.amdhsa_ieee_mode 1
		.amdhsa_fp16_overflow 0
		.amdhsa_tg_split 0
		.amdhsa_exception_fp_ieee_invalid_op 0
		.amdhsa_exception_fp_denorm_src 0
		.amdhsa_exception_fp_ieee_div_zero 0
		.amdhsa_exception_fp_ieee_overflow 0
		.amdhsa_exception_fp_ieee_underflow 0
		.amdhsa_exception_fp_ieee_inexact 0
		.amdhsa_exception_int_div_zero 0
	.end_amdhsa_kernel
	.section	.text._ZN7rocprim17ROCPRIM_400000_NS6detail17trampoline_kernelINS0_14default_configENS1_27lower_bound_config_selectorIflEEZNS1_14transform_implILb0ES3_S5_N6thrust23THRUST_200600_302600_NS17counting_iteratorIfNS8_11use_defaultESA_SA_EEPlZNS1_13binary_searchIS3_S5_PfSB_SC_NS1_21lower_bound_search_opENS8_6detail16wrapped_functionI11custom_lessbEEEE10hipError_tPvRmT1_T2_T3_mmT4_T5_P12ihipStream_tbEUlRKfE_EESK_SO_SP_mSQ_ST_bEUlT_E_NS1_11comp_targetILNS1_3genE3ELNS1_11target_archE908ELNS1_3gpuE7ELNS1_3repE0EEENS1_30default_config_static_selectorELNS0_4arch9wavefront6targetE1EEEvSN_,"axG",@progbits,_ZN7rocprim17ROCPRIM_400000_NS6detail17trampoline_kernelINS0_14default_configENS1_27lower_bound_config_selectorIflEEZNS1_14transform_implILb0ES3_S5_N6thrust23THRUST_200600_302600_NS17counting_iteratorIfNS8_11use_defaultESA_SA_EEPlZNS1_13binary_searchIS3_S5_PfSB_SC_NS1_21lower_bound_search_opENS8_6detail16wrapped_functionI11custom_lessbEEEE10hipError_tPvRmT1_T2_T3_mmT4_T5_P12ihipStream_tbEUlRKfE_EESK_SO_SP_mSQ_ST_bEUlT_E_NS1_11comp_targetILNS1_3genE3ELNS1_11target_archE908ELNS1_3gpuE7ELNS1_3repE0EEENS1_30default_config_static_selectorELNS0_4arch9wavefront6targetE1EEEvSN_,comdat
.Lfunc_end17:
	.size	_ZN7rocprim17ROCPRIM_400000_NS6detail17trampoline_kernelINS0_14default_configENS1_27lower_bound_config_selectorIflEEZNS1_14transform_implILb0ES3_S5_N6thrust23THRUST_200600_302600_NS17counting_iteratorIfNS8_11use_defaultESA_SA_EEPlZNS1_13binary_searchIS3_S5_PfSB_SC_NS1_21lower_bound_search_opENS8_6detail16wrapped_functionI11custom_lessbEEEE10hipError_tPvRmT1_T2_T3_mmT4_T5_P12ihipStream_tbEUlRKfE_EESK_SO_SP_mSQ_ST_bEUlT_E_NS1_11comp_targetILNS1_3genE3ELNS1_11target_archE908ELNS1_3gpuE7ELNS1_3repE0EEENS1_30default_config_static_selectorELNS0_4arch9wavefront6targetE1EEEvSN_, .Lfunc_end17-_ZN7rocprim17ROCPRIM_400000_NS6detail17trampoline_kernelINS0_14default_configENS1_27lower_bound_config_selectorIflEEZNS1_14transform_implILb0ES3_S5_N6thrust23THRUST_200600_302600_NS17counting_iteratorIfNS8_11use_defaultESA_SA_EEPlZNS1_13binary_searchIS3_S5_PfSB_SC_NS1_21lower_bound_search_opENS8_6detail16wrapped_functionI11custom_lessbEEEE10hipError_tPvRmT1_T2_T3_mmT4_T5_P12ihipStream_tbEUlRKfE_EESK_SO_SP_mSQ_ST_bEUlT_E_NS1_11comp_targetILNS1_3genE3ELNS1_11target_archE908ELNS1_3gpuE7ELNS1_3repE0EEENS1_30default_config_static_selectorELNS0_4arch9wavefront6targetE1EEEvSN_
                                        ; -- End function
	.section	.AMDGPU.csdata,"",@progbits
; Kernel info:
; codeLenInByte = 0
; NumSgprs: 4
; NumVgprs: 0
; NumAgprs: 0
; TotalNumVgprs: 0
; ScratchSize: 0
; MemoryBound: 0
; FloatMode: 240
; IeeeMode: 1
; LDSByteSize: 0 bytes/workgroup (compile time only)
; SGPRBlocks: 0
; VGPRBlocks: 0
; NumSGPRsForWavesPerEU: 4
; NumVGPRsForWavesPerEU: 1
; AccumOffset: 4
; Occupancy: 8
; WaveLimiterHint : 0
; COMPUTE_PGM_RSRC2:SCRATCH_EN: 0
; COMPUTE_PGM_RSRC2:USER_SGPR: 6
; COMPUTE_PGM_RSRC2:TRAP_HANDLER: 0
; COMPUTE_PGM_RSRC2:TGID_X_EN: 1
; COMPUTE_PGM_RSRC2:TGID_Y_EN: 0
; COMPUTE_PGM_RSRC2:TGID_Z_EN: 0
; COMPUTE_PGM_RSRC2:TIDIG_COMP_CNT: 0
; COMPUTE_PGM_RSRC3_GFX90A:ACCUM_OFFSET: 0
; COMPUTE_PGM_RSRC3_GFX90A:TG_SPLIT: 0
	.section	.text._ZN7rocprim17ROCPRIM_400000_NS6detail17trampoline_kernelINS0_14default_configENS1_27lower_bound_config_selectorIflEEZNS1_14transform_implILb0ES3_S5_N6thrust23THRUST_200600_302600_NS17counting_iteratorIfNS8_11use_defaultESA_SA_EEPlZNS1_13binary_searchIS3_S5_PfSB_SC_NS1_21lower_bound_search_opENS8_6detail16wrapped_functionI11custom_lessbEEEE10hipError_tPvRmT1_T2_T3_mmT4_T5_P12ihipStream_tbEUlRKfE_EESK_SO_SP_mSQ_ST_bEUlT_E_NS1_11comp_targetILNS1_3genE2ELNS1_11target_archE906ELNS1_3gpuE6ELNS1_3repE0EEENS1_30default_config_static_selectorELNS0_4arch9wavefront6targetE1EEEvSN_,"axG",@progbits,_ZN7rocprim17ROCPRIM_400000_NS6detail17trampoline_kernelINS0_14default_configENS1_27lower_bound_config_selectorIflEEZNS1_14transform_implILb0ES3_S5_N6thrust23THRUST_200600_302600_NS17counting_iteratorIfNS8_11use_defaultESA_SA_EEPlZNS1_13binary_searchIS3_S5_PfSB_SC_NS1_21lower_bound_search_opENS8_6detail16wrapped_functionI11custom_lessbEEEE10hipError_tPvRmT1_T2_T3_mmT4_T5_P12ihipStream_tbEUlRKfE_EESK_SO_SP_mSQ_ST_bEUlT_E_NS1_11comp_targetILNS1_3genE2ELNS1_11target_archE906ELNS1_3gpuE6ELNS1_3repE0EEENS1_30default_config_static_selectorELNS0_4arch9wavefront6targetE1EEEvSN_,comdat
	.protected	_ZN7rocprim17ROCPRIM_400000_NS6detail17trampoline_kernelINS0_14default_configENS1_27lower_bound_config_selectorIflEEZNS1_14transform_implILb0ES3_S5_N6thrust23THRUST_200600_302600_NS17counting_iteratorIfNS8_11use_defaultESA_SA_EEPlZNS1_13binary_searchIS3_S5_PfSB_SC_NS1_21lower_bound_search_opENS8_6detail16wrapped_functionI11custom_lessbEEEE10hipError_tPvRmT1_T2_T3_mmT4_T5_P12ihipStream_tbEUlRKfE_EESK_SO_SP_mSQ_ST_bEUlT_E_NS1_11comp_targetILNS1_3genE2ELNS1_11target_archE906ELNS1_3gpuE6ELNS1_3repE0EEENS1_30default_config_static_selectorELNS0_4arch9wavefront6targetE1EEEvSN_ ; -- Begin function _ZN7rocprim17ROCPRIM_400000_NS6detail17trampoline_kernelINS0_14default_configENS1_27lower_bound_config_selectorIflEEZNS1_14transform_implILb0ES3_S5_N6thrust23THRUST_200600_302600_NS17counting_iteratorIfNS8_11use_defaultESA_SA_EEPlZNS1_13binary_searchIS3_S5_PfSB_SC_NS1_21lower_bound_search_opENS8_6detail16wrapped_functionI11custom_lessbEEEE10hipError_tPvRmT1_T2_T3_mmT4_T5_P12ihipStream_tbEUlRKfE_EESK_SO_SP_mSQ_ST_bEUlT_E_NS1_11comp_targetILNS1_3genE2ELNS1_11target_archE906ELNS1_3gpuE6ELNS1_3repE0EEENS1_30default_config_static_selectorELNS0_4arch9wavefront6targetE1EEEvSN_
	.globl	_ZN7rocprim17ROCPRIM_400000_NS6detail17trampoline_kernelINS0_14default_configENS1_27lower_bound_config_selectorIflEEZNS1_14transform_implILb0ES3_S5_N6thrust23THRUST_200600_302600_NS17counting_iteratorIfNS8_11use_defaultESA_SA_EEPlZNS1_13binary_searchIS3_S5_PfSB_SC_NS1_21lower_bound_search_opENS8_6detail16wrapped_functionI11custom_lessbEEEE10hipError_tPvRmT1_T2_T3_mmT4_T5_P12ihipStream_tbEUlRKfE_EESK_SO_SP_mSQ_ST_bEUlT_E_NS1_11comp_targetILNS1_3genE2ELNS1_11target_archE906ELNS1_3gpuE6ELNS1_3repE0EEENS1_30default_config_static_selectorELNS0_4arch9wavefront6targetE1EEEvSN_
	.p2align	8
	.type	_ZN7rocprim17ROCPRIM_400000_NS6detail17trampoline_kernelINS0_14default_configENS1_27lower_bound_config_selectorIflEEZNS1_14transform_implILb0ES3_S5_N6thrust23THRUST_200600_302600_NS17counting_iteratorIfNS8_11use_defaultESA_SA_EEPlZNS1_13binary_searchIS3_S5_PfSB_SC_NS1_21lower_bound_search_opENS8_6detail16wrapped_functionI11custom_lessbEEEE10hipError_tPvRmT1_T2_T3_mmT4_T5_P12ihipStream_tbEUlRKfE_EESK_SO_SP_mSQ_ST_bEUlT_E_NS1_11comp_targetILNS1_3genE2ELNS1_11target_archE906ELNS1_3gpuE6ELNS1_3repE0EEENS1_30default_config_static_selectorELNS0_4arch9wavefront6targetE1EEEvSN_,@function
_ZN7rocprim17ROCPRIM_400000_NS6detail17trampoline_kernelINS0_14default_configENS1_27lower_bound_config_selectorIflEEZNS1_14transform_implILb0ES3_S5_N6thrust23THRUST_200600_302600_NS17counting_iteratorIfNS8_11use_defaultESA_SA_EEPlZNS1_13binary_searchIS3_S5_PfSB_SC_NS1_21lower_bound_search_opENS8_6detail16wrapped_functionI11custom_lessbEEEE10hipError_tPvRmT1_T2_T3_mmT4_T5_P12ihipStream_tbEUlRKfE_EESK_SO_SP_mSQ_ST_bEUlT_E_NS1_11comp_targetILNS1_3genE2ELNS1_11target_archE906ELNS1_3gpuE6ELNS1_3repE0EEENS1_30default_config_static_selectorELNS0_4arch9wavefront6targetE1EEEvSN_: ; @_ZN7rocprim17ROCPRIM_400000_NS6detail17trampoline_kernelINS0_14default_configENS1_27lower_bound_config_selectorIflEEZNS1_14transform_implILb0ES3_S5_N6thrust23THRUST_200600_302600_NS17counting_iteratorIfNS8_11use_defaultESA_SA_EEPlZNS1_13binary_searchIS3_S5_PfSB_SC_NS1_21lower_bound_search_opENS8_6detail16wrapped_functionI11custom_lessbEEEE10hipError_tPvRmT1_T2_T3_mmT4_T5_P12ihipStream_tbEUlRKfE_EESK_SO_SP_mSQ_ST_bEUlT_E_NS1_11comp_targetILNS1_3genE2ELNS1_11target_archE906ELNS1_3gpuE6ELNS1_3repE0EEENS1_30default_config_static_selectorELNS0_4arch9wavefront6targetE1EEEvSN_
; %bb.0:
	.section	.rodata,"a",@progbits
	.p2align	6, 0x0
	.amdhsa_kernel _ZN7rocprim17ROCPRIM_400000_NS6detail17trampoline_kernelINS0_14default_configENS1_27lower_bound_config_selectorIflEEZNS1_14transform_implILb0ES3_S5_N6thrust23THRUST_200600_302600_NS17counting_iteratorIfNS8_11use_defaultESA_SA_EEPlZNS1_13binary_searchIS3_S5_PfSB_SC_NS1_21lower_bound_search_opENS8_6detail16wrapped_functionI11custom_lessbEEEE10hipError_tPvRmT1_T2_T3_mmT4_T5_P12ihipStream_tbEUlRKfE_EESK_SO_SP_mSQ_ST_bEUlT_E_NS1_11comp_targetILNS1_3genE2ELNS1_11target_archE906ELNS1_3gpuE6ELNS1_3repE0EEENS1_30default_config_static_selectorELNS0_4arch9wavefront6targetE1EEEvSN_
		.amdhsa_group_segment_fixed_size 0
		.amdhsa_private_segment_fixed_size 0
		.amdhsa_kernarg_size 56
		.amdhsa_user_sgpr_count 6
		.amdhsa_user_sgpr_private_segment_buffer 1
		.amdhsa_user_sgpr_dispatch_ptr 0
		.amdhsa_user_sgpr_queue_ptr 0
		.amdhsa_user_sgpr_kernarg_segment_ptr 1
		.amdhsa_user_sgpr_dispatch_id 0
		.amdhsa_user_sgpr_flat_scratch_init 0
		.amdhsa_user_sgpr_kernarg_preload_length 0
		.amdhsa_user_sgpr_kernarg_preload_offset 0
		.amdhsa_user_sgpr_private_segment_size 0
		.amdhsa_uses_dynamic_stack 0
		.amdhsa_system_sgpr_private_segment_wavefront_offset 0
		.amdhsa_system_sgpr_workgroup_id_x 1
		.amdhsa_system_sgpr_workgroup_id_y 0
		.amdhsa_system_sgpr_workgroup_id_z 0
		.amdhsa_system_sgpr_workgroup_info 0
		.amdhsa_system_vgpr_workitem_id 0
		.amdhsa_next_free_vgpr 1
		.amdhsa_next_free_sgpr 0
		.amdhsa_accum_offset 4
		.amdhsa_reserve_vcc 0
		.amdhsa_reserve_flat_scratch 0
		.amdhsa_float_round_mode_32 0
		.amdhsa_float_round_mode_16_64 0
		.amdhsa_float_denorm_mode_32 3
		.amdhsa_float_denorm_mode_16_64 3
		.amdhsa_dx10_clamp 1
		.amdhsa_ieee_mode 1
		.amdhsa_fp16_overflow 0
		.amdhsa_tg_split 0
		.amdhsa_exception_fp_ieee_invalid_op 0
		.amdhsa_exception_fp_denorm_src 0
		.amdhsa_exception_fp_ieee_div_zero 0
		.amdhsa_exception_fp_ieee_overflow 0
		.amdhsa_exception_fp_ieee_underflow 0
		.amdhsa_exception_fp_ieee_inexact 0
		.amdhsa_exception_int_div_zero 0
	.end_amdhsa_kernel
	.section	.text._ZN7rocprim17ROCPRIM_400000_NS6detail17trampoline_kernelINS0_14default_configENS1_27lower_bound_config_selectorIflEEZNS1_14transform_implILb0ES3_S5_N6thrust23THRUST_200600_302600_NS17counting_iteratorIfNS8_11use_defaultESA_SA_EEPlZNS1_13binary_searchIS3_S5_PfSB_SC_NS1_21lower_bound_search_opENS8_6detail16wrapped_functionI11custom_lessbEEEE10hipError_tPvRmT1_T2_T3_mmT4_T5_P12ihipStream_tbEUlRKfE_EESK_SO_SP_mSQ_ST_bEUlT_E_NS1_11comp_targetILNS1_3genE2ELNS1_11target_archE906ELNS1_3gpuE6ELNS1_3repE0EEENS1_30default_config_static_selectorELNS0_4arch9wavefront6targetE1EEEvSN_,"axG",@progbits,_ZN7rocprim17ROCPRIM_400000_NS6detail17trampoline_kernelINS0_14default_configENS1_27lower_bound_config_selectorIflEEZNS1_14transform_implILb0ES3_S5_N6thrust23THRUST_200600_302600_NS17counting_iteratorIfNS8_11use_defaultESA_SA_EEPlZNS1_13binary_searchIS3_S5_PfSB_SC_NS1_21lower_bound_search_opENS8_6detail16wrapped_functionI11custom_lessbEEEE10hipError_tPvRmT1_T2_T3_mmT4_T5_P12ihipStream_tbEUlRKfE_EESK_SO_SP_mSQ_ST_bEUlT_E_NS1_11comp_targetILNS1_3genE2ELNS1_11target_archE906ELNS1_3gpuE6ELNS1_3repE0EEENS1_30default_config_static_selectorELNS0_4arch9wavefront6targetE1EEEvSN_,comdat
.Lfunc_end18:
	.size	_ZN7rocprim17ROCPRIM_400000_NS6detail17trampoline_kernelINS0_14default_configENS1_27lower_bound_config_selectorIflEEZNS1_14transform_implILb0ES3_S5_N6thrust23THRUST_200600_302600_NS17counting_iteratorIfNS8_11use_defaultESA_SA_EEPlZNS1_13binary_searchIS3_S5_PfSB_SC_NS1_21lower_bound_search_opENS8_6detail16wrapped_functionI11custom_lessbEEEE10hipError_tPvRmT1_T2_T3_mmT4_T5_P12ihipStream_tbEUlRKfE_EESK_SO_SP_mSQ_ST_bEUlT_E_NS1_11comp_targetILNS1_3genE2ELNS1_11target_archE906ELNS1_3gpuE6ELNS1_3repE0EEENS1_30default_config_static_selectorELNS0_4arch9wavefront6targetE1EEEvSN_, .Lfunc_end18-_ZN7rocprim17ROCPRIM_400000_NS6detail17trampoline_kernelINS0_14default_configENS1_27lower_bound_config_selectorIflEEZNS1_14transform_implILb0ES3_S5_N6thrust23THRUST_200600_302600_NS17counting_iteratorIfNS8_11use_defaultESA_SA_EEPlZNS1_13binary_searchIS3_S5_PfSB_SC_NS1_21lower_bound_search_opENS8_6detail16wrapped_functionI11custom_lessbEEEE10hipError_tPvRmT1_T2_T3_mmT4_T5_P12ihipStream_tbEUlRKfE_EESK_SO_SP_mSQ_ST_bEUlT_E_NS1_11comp_targetILNS1_3genE2ELNS1_11target_archE906ELNS1_3gpuE6ELNS1_3repE0EEENS1_30default_config_static_selectorELNS0_4arch9wavefront6targetE1EEEvSN_
                                        ; -- End function
	.section	.AMDGPU.csdata,"",@progbits
; Kernel info:
; codeLenInByte = 0
; NumSgprs: 4
; NumVgprs: 0
; NumAgprs: 0
; TotalNumVgprs: 0
; ScratchSize: 0
; MemoryBound: 0
; FloatMode: 240
; IeeeMode: 1
; LDSByteSize: 0 bytes/workgroup (compile time only)
; SGPRBlocks: 0
; VGPRBlocks: 0
; NumSGPRsForWavesPerEU: 4
; NumVGPRsForWavesPerEU: 1
; AccumOffset: 4
; Occupancy: 8
; WaveLimiterHint : 0
; COMPUTE_PGM_RSRC2:SCRATCH_EN: 0
; COMPUTE_PGM_RSRC2:USER_SGPR: 6
; COMPUTE_PGM_RSRC2:TRAP_HANDLER: 0
; COMPUTE_PGM_RSRC2:TGID_X_EN: 1
; COMPUTE_PGM_RSRC2:TGID_Y_EN: 0
; COMPUTE_PGM_RSRC2:TGID_Z_EN: 0
; COMPUTE_PGM_RSRC2:TIDIG_COMP_CNT: 0
; COMPUTE_PGM_RSRC3_GFX90A:ACCUM_OFFSET: 0
; COMPUTE_PGM_RSRC3_GFX90A:TG_SPLIT: 0
	.section	.text._ZN7rocprim17ROCPRIM_400000_NS6detail17trampoline_kernelINS0_14default_configENS1_27lower_bound_config_selectorIflEEZNS1_14transform_implILb0ES3_S5_N6thrust23THRUST_200600_302600_NS17counting_iteratorIfNS8_11use_defaultESA_SA_EEPlZNS1_13binary_searchIS3_S5_PfSB_SC_NS1_21lower_bound_search_opENS8_6detail16wrapped_functionI11custom_lessbEEEE10hipError_tPvRmT1_T2_T3_mmT4_T5_P12ihipStream_tbEUlRKfE_EESK_SO_SP_mSQ_ST_bEUlT_E_NS1_11comp_targetILNS1_3genE10ELNS1_11target_archE1201ELNS1_3gpuE5ELNS1_3repE0EEENS1_30default_config_static_selectorELNS0_4arch9wavefront6targetE1EEEvSN_,"axG",@progbits,_ZN7rocprim17ROCPRIM_400000_NS6detail17trampoline_kernelINS0_14default_configENS1_27lower_bound_config_selectorIflEEZNS1_14transform_implILb0ES3_S5_N6thrust23THRUST_200600_302600_NS17counting_iteratorIfNS8_11use_defaultESA_SA_EEPlZNS1_13binary_searchIS3_S5_PfSB_SC_NS1_21lower_bound_search_opENS8_6detail16wrapped_functionI11custom_lessbEEEE10hipError_tPvRmT1_T2_T3_mmT4_T5_P12ihipStream_tbEUlRKfE_EESK_SO_SP_mSQ_ST_bEUlT_E_NS1_11comp_targetILNS1_3genE10ELNS1_11target_archE1201ELNS1_3gpuE5ELNS1_3repE0EEENS1_30default_config_static_selectorELNS0_4arch9wavefront6targetE1EEEvSN_,comdat
	.protected	_ZN7rocprim17ROCPRIM_400000_NS6detail17trampoline_kernelINS0_14default_configENS1_27lower_bound_config_selectorIflEEZNS1_14transform_implILb0ES3_S5_N6thrust23THRUST_200600_302600_NS17counting_iteratorIfNS8_11use_defaultESA_SA_EEPlZNS1_13binary_searchIS3_S5_PfSB_SC_NS1_21lower_bound_search_opENS8_6detail16wrapped_functionI11custom_lessbEEEE10hipError_tPvRmT1_T2_T3_mmT4_T5_P12ihipStream_tbEUlRKfE_EESK_SO_SP_mSQ_ST_bEUlT_E_NS1_11comp_targetILNS1_3genE10ELNS1_11target_archE1201ELNS1_3gpuE5ELNS1_3repE0EEENS1_30default_config_static_selectorELNS0_4arch9wavefront6targetE1EEEvSN_ ; -- Begin function _ZN7rocprim17ROCPRIM_400000_NS6detail17trampoline_kernelINS0_14default_configENS1_27lower_bound_config_selectorIflEEZNS1_14transform_implILb0ES3_S5_N6thrust23THRUST_200600_302600_NS17counting_iteratorIfNS8_11use_defaultESA_SA_EEPlZNS1_13binary_searchIS3_S5_PfSB_SC_NS1_21lower_bound_search_opENS8_6detail16wrapped_functionI11custom_lessbEEEE10hipError_tPvRmT1_T2_T3_mmT4_T5_P12ihipStream_tbEUlRKfE_EESK_SO_SP_mSQ_ST_bEUlT_E_NS1_11comp_targetILNS1_3genE10ELNS1_11target_archE1201ELNS1_3gpuE5ELNS1_3repE0EEENS1_30default_config_static_selectorELNS0_4arch9wavefront6targetE1EEEvSN_
	.globl	_ZN7rocprim17ROCPRIM_400000_NS6detail17trampoline_kernelINS0_14default_configENS1_27lower_bound_config_selectorIflEEZNS1_14transform_implILb0ES3_S5_N6thrust23THRUST_200600_302600_NS17counting_iteratorIfNS8_11use_defaultESA_SA_EEPlZNS1_13binary_searchIS3_S5_PfSB_SC_NS1_21lower_bound_search_opENS8_6detail16wrapped_functionI11custom_lessbEEEE10hipError_tPvRmT1_T2_T3_mmT4_T5_P12ihipStream_tbEUlRKfE_EESK_SO_SP_mSQ_ST_bEUlT_E_NS1_11comp_targetILNS1_3genE10ELNS1_11target_archE1201ELNS1_3gpuE5ELNS1_3repE0EEENS1_30default_config_static_selectorELNS0_4arch9wavefront6targetE1EEEvSN_
	.p2align	8
	.type	_ZN7rocprim17ROCPRIM_400000_NS6detail17trampoline_kernelINS0_14default_configENS1_27lower_bound_config_selectorIflEEZNS1_14transform_implILb0ES3_S5_N6thrust23THRUST_200600_302600_NS17counting_iteratorIfNS8_11use_defaultESA_SA_EEPlZNS1_13binary_searchIS3_S5_PfSB_SC_NS1_21lower_bound_search_opENS8_6detail16wrapped_functionI11custom_lessbEEEE10hipError_tPvRmT1_T2_T3_mmT4_T5_P12ihipStream_tbEUlRKfE_EESK_SO_SP_mSQ_ST_bEUlT_E_NS1_11comp_targetILNS1_3genE10ELNS1_11target_archE1201ELNS1_3gpuE5ELNS1_3repE0EEENS1_30default_config_static_selectorELNS0_4arch9wavefront6targetE1EEEvSN_,@function
_ZN7rocprim17ROCPRIM_400000_NS6detail17trampoline_kernelINS0_14default_configENS1_27lower_bound_config_selectorIflEEZNS1_14transform_implILb0ES3_S5_N6thrust23THRUST_200600_302600_NS17counting_iteratorIfNS8_11use_defaultESA_SA_EEPlZNS1_13binary_searchIS3_S5_PfSB_SC_NS1_21lower_bound_search_opENS8_6detail16wrapped_functionI11custom_lessbEEEE10hipError_tPvRmT1_T2_T3_mmT4_T5_P12ihipStream_tbEUlRKfE_EESK_SO_SP_mSQ_ST_bEUlT_E_NS1_11comp_targetILNS1_3genE10ELNS1_11target_archE1201ELNS1_3gpuE5ELNS1_3repE0EEENS1_30default_config_static_selectorELNS0_4arch9wavefront6targetE1EEEvSN_: ; @_ZN7rocprim17ROCPRIM_400000_NS6detail17trampoline_kernelINS0_14default_configENS1_27lower_bound_config_selectorIflEEZNS1_14transform_implILb0ES3_S5_N6thrust23THRUST_200600_302600_NS17counting_iteratorIfNS8_11use_defaultESA_SA_EEPlZNS1_13binary_searchIS3_S5_PfSB_SC_NS1_21lower_bound_search_opENS8_6detail16wrapped_functionI11custom_lessbEEEE10hipError_tPvRmT1_T2_T3_mmT4_T5_P12ihipStream_tbEUlRKfE_EESK_SO_SP_mSQ_ST_bEUlT_E_NS1_11comp_targetILNS1_3genE10ELNS1_11target_archE1201ELNS1_3gpuE5ELNS1_3repE0EEENS1_30default_config_static_selectorELNS0_4arch9wavefront6targetE1EEEvSN_
; %bb.0:
	.section	.rodata,"a",@progbits
	.p2align	6, 0x0
	.amdhsa_kernel _ZN7rocprim17ROCPRIM_400000_NS6detail17trampoline_kernelINS0_14default_configENS1_27lower_bound_config_selectorIflEEZNS1_14transform_implILb0ES3_S5_N6thrust23THRUST_200600_302600_NS17counting_iteratorIfNS8_11use_defaultESA_SA_EEPlZNS1_13binary_searchIS3_S5_PfSB_SC_NS1_21lower_bound_search_opENS8_6detail16wrapped_functionI11custom_lessbEEEE10hipError_tPvRmT1_T2_T3_mmT4_T5_P12ihipStream_tbEUlRKfE_EESK_SO_SP_mSQ_ST_bEUlT_E_NS1_11comp_targetILNS1_3genE10ELNS1_11target_archE1201ELNS1_3gpuE5ELNS1_3repE0EEENS1_30default_config_static_selectorELNS0_4arch9wavefront6targetE1EEEvSN_
		.amdhsa_group_segment_fixed_size 0
		.amdhsa_private_segment_fixed_size 0
		.amdhsa_kernarg_size 56
		.amdhsa_user_sgpr_count 6
		.amdhsa_user_sgpr_private_segment_buffer 1
		.amdhsa_user_sgpr_dispatch_ptr 0
		.amdhsa_user_sgpr_queue_ptr 0
		.amdhsa_user_sgpr_kernarg_segment_ptr 1
		.amdhsa_user_sgpr_dispatch_id 0
		.amdhsa_user_sgpr_flat_scratch_init 0
		.amdhsa_user_sgpr_kernarg_preload_length 0
		.amdhsa_user_sgpr_kernarg_preload_offset 0
		.amdhsa_user_sgpr_private_segment_size 0
		.amdhsa_uses_dynamic_stack 0
		.amdhsa_system_sgpr_private_segment_wavefront_offset 0
		.amdhsa_system_sgpr_workgroup_id_x 1
		.amdhsa_system_sgpr_workgroup_id_y 0
		.amdhsa_system_sgpr_workgroup_id_z 0
		.amdhsa_system_sgpr_workgroup_info 0
		.amdhsa_system_vgpr_workitem_id 0
		.amdhsa_next_free_vgpr 1
		.amdhsa_next_free_sgpr 0
		.amdhsa_accum_offset 4
		.amdhsa_reserve_vcc 0
		.amdhsa_reserve_flat_scratch 0
		.amdhsa_float_round_mode_32 0
		.amdhsa_float_round_mode_16_64 0
		.amdhsa_float_denorm_mode_32 3
		.amdhsa_float_denorm_mode_16_64 3
		.amdhsa_dx10_clamp 1
		.amdhsa_ieee_mode 1
		.amdhsa_fp16_overflow 0
		.amdhsa_tg_split 0
		.amdhsa_exception_fp_ieee_invalid_op 0
		.amdhsa_exception_fp_denorm_src 0
		.amdhsa_exception_fp_ieee_div_zero 0
		.amdhsa_exception_fp_ieee_overflow 0
		.amdhsa_exception_fp_ieee_underflow 0
		.amdhsa_exception_fp_ieee_inexact 0
		.amdhsa_exception_int_div_zero 0
	.end_amdhsa_kernel
	.section	.text._ZN7rocprim17ROCPRIM_400000_NS6detail17trampoline_kernelINS0_14default_configENS1_27lower_bound_config_selectorIflEEZNS1_14transform_implILb0ES3_S5_N6thrust23THRUST_200600_302600_NS17counting_iteratorIfNS8_11use_defaultESA_SA_EEPlZNS1_13binary_searchIS3_S5_PfSB_SC_NS1_21lower_bound_search_opENS8_6detail16wrapped_functionI11custom_lessbEEEE10hipError_tPvRmT1_T2_T3_mmT4_T5_P12ihipStream_tbEUlRKfE_EESK_SO_SP_mSQ_ST_bEUlT_E_NS1_11comp_targetILNS1_3genE10ELNS1_11target_archE1201ELNS1_3gpuE5ELNS1_3repE0EEENS1_30default_config_static_selectorELNS0_4arch9wavefront6targetE1EEEvSN_,"axG",@progbits,_ZN7rocprim17ROCPRIM_400000_NS6detail17trampoline_kernelINS0_14default_configENS1_27lower_bound_config_selectorIflEEZNS1_14transform_implILb0ES3_S5_N6thrust23THRUST_200600_302600_NS17counting_iteratorIfNS8_11use_defaultESA_SA_EEPlZNS1_13binary_searchIS3_S5_PfSB_SC_NS1_21lower_bound_search_opENS8_6detail16wrapped_functionI11custom_lessbEEEE10hipError_tPvRmT1_T2_T3_mmT4_T5_P12ihipStream_tbEUlRKfE_EESK_SO_SP_mSQ_ST_bEUlT_E_NS1_11comp_targetILNS1_3genE10ELNS1_11target_archE1201ELNS1_3gpuE5ELNS1_3repE0EEENS1_30default_config_static_selectorELNS0_4arch9wavefront6targetE1EEEvSN_,comdat
.Lfunc_end19:
	.size	_ZN7rocprim17ROCPRIM_400000_NS6detail17trampoline_kernelINS0_14default_configENS1_27lower_bound_config_selectorIflEEZNS1_14transform_implILb0ES3_S5_N6thrust23THRUST_200600_302600_NS17counting_iteratorIfNS8_11use_defaultESA_SA_EEPlZNS1_13binary_searchIS3_S5_PfSB_SC_NS1_21lower_bound_search_opENS8_6detail16wrapped_functionI11custom_lessbEEEE10hipError_tPvRmT1_T2_T3_mmT4_T5_P12ihipStream_tbEUlRKfE_EESK_SO_SP_mSQ_ST_bEUlT_E_NS1_11comp_targetILNS1_3genE10ELNS1_11target_archE1201ELNS1_3gpuE5ELNS1_3repE0EEENS1_30default_config_static_selectorELNS0_4arch9wavefront6targetE1EEEvSN_, .Lfunc_end19-_ZN7rocprim17ROCPRIM_400000_NS6detail17trampoline_kernelINS0_14default_configENS1_27lower_bound_config_selectorIflEEZNS1_14transform_implILb0ES3_S5_N6thrust23THRUST_200600_302600_NS17counting_iteratorIfNS8_11use_defaultESA_SA_EEPlZNS1_13binary_searchIS3_S5_PfSB_SC_NS1_21lower_bound_search_opENS8_6detail16wrapped_functionI11custom_lessbEEEE10hipError_tPvRmT1_T2_T3_mmT4_T5_P12ihipStream_tbEUlRKfE_EESK_SO_SP_mSQ_ST_bEUlT_E_NS1_11comp_targetILNS1_3genE10ELNS1_11target_archE1201ELNS1_3gpuE5ELNS1_3repE0EEENS1_30default_config_static_selectorELNS0_4arch9wavefront6targetE1EEEvSN_
                                        ; -- End function
	.section	.AMDGPU.csdata,"",@progbits
; Kernel info:
; codeLenInByte = 0
; NumSgprs: 4
; NumVgprs: 0
; NumAgprs: 0
; TotalNumVgprs: 0
; ScratchSize: 0
; MemoryBound: 0
; FloatMode: 240
; IeeeMode: 1
; LDSByteSize: 0 bytes/workgroup (compile time only)
; SGPRBlocks: 0
; VGPRBlocks: 0
; NumSGPRsForWavesPerEU: 4
; NumVGPRsForWavesPerEU: 1
; AccumOffset: 4
; Occupancy: 8
; WaveLimiterHint : 0
; COMPUTE_PGM_RSRC2:SCRATCH_EN: 0
; COMPUTE_PGM_RSRC2:USER_SGPR: 6
; COMPUTE_PGM_RSRC2:TRAP_HANDLER: 0
; COMPUTE_PGM_RSRC2:TGID_X_EN: 1
; COMPUTE_PGM_RSRC2:TGID_Y_EN: 0
; COMPUTE_PGM_RSRC2:TGID_Z_EN: 0
; COMPUTE_PGM_RSRC2:TIDIG_COMP_CNT: 0
; COMPUTE_PGM_RSRC3_GFX90A:ACCUM_OFFSET: 0
; COMPUTE_PGM_RSRC3_GFX90A:TG_SPLIT: 0
	.section	.text._ZN7rocprim17ROCPRIM_400000_NS6detail17trampoline_kernelINS0_14default_configENS1_27lower_bound_config_selectorIflEEZNS1_14transform_implILb0ES3_S5_N6thrust23THRUST_200600_302600_NS17counting_iteratorIfNS8_11use_defaultESA_SA_EEPlZNS1_13binary_searchIS3_S5_PfSB_SC_NS1_21lower_bound_search_opENS8_6detail16wrapped_functionI11custom_lessbEEEE10hipError_tPvRmT1_T2_T3_mmT4_T5_P12ihipStream_tbEUlRKfE_EESK_SO_SP_mSQ_ST_bEUlT_E_NS1_11comp_targetILNS1_3genE10ELNS1_11target_archE1200ELNS1_3gpuE4ELNS1_3repE0EEENS1_30default_config_static_selectorELNS0_4arch9wavefront6targetE1EEEvSN_,"axG",@progbits,_ZN7rocprim17ROCPRIM_400000_NS6detail17trampoline_kernelINS0_14default_configENS1_27lower_bound_config_selectorIflEEZNS1_14transform_implILb0ES3_S5_N6thrust23THRUST_200600_302600_NS17counting_iteratorIfNS8_11use_defaultESA_SA_EEPlZNS1_13binary_searchIS3_S5_PfSB_SC_NS1_21lower_bound_search_opENS8_6detail16wrapped_functionI11custom_lessbEEEE10hipError_tPvRmT1_T2_T3_mmT4_T5_P12ihipStream_tbEUlRKfE_EESK_SO_SP_mSQ_ST_bEUlT_E_NS1_11comp_targetILNS1_3genE10ELNS1_11target_archE1200ELNS1_3gpuE4ELNS1_3repE0EEENS1_30default_config_static_selectorELNS0_4arch9wavefront6targetE1EEEvSN_,comdat
	.protected	_ZN7rocprim17ROCPRIM_400000_NS6detail17trampoline_kernelINS0_14default_configENS1_27lower_bound_config_selectorIflEEZNS1_14transform_implILb0ES3_S5_N6thrust23THRUST_200600_302600_NS17counting_iteratorIfNS8_11use_defaultESA_SA_EEPlZNS1_13binary_searchIS3_S5_PfSB_SC_NS1_21lower_bound_search_opENS8_6detail16wrapped_functionI11custom_lessbEEEE10hipError_tPvRmT1_T2_T3_mmT4_T5_P12ihipStream_tbEUlRKfE_EESK_SO_SP_mSQ_ST_bEUlT_E_NS1_11comp_targetILNS1_3genE10ELNS1_11target_archE1200ELNS1_3gpuE4ELNS1_3repE0EEENS1_30default_config_static_selectorELNS0_4arch9wavefront6targetE1EEEvSN_ ; -- Begin function _ZN7rocprim17ROCPRIM_400000_NS6detail17trampoline_kernelINS0_14default_configENS1_27lower_bound_config_selectorIflEEZNS1_14transform_implILb0ES3_S5_N6thrust23THRUST_200600_302600_NS17counting_iteratorIfNS8_11use_defaultESA_SA_EEPlZNS1_13binary_searchIS3_S5_PfSB_SC_NS1_21lower_bound_search_opENS8_6detail16wrapped_functionI11custom_lessbEEEE10hipError_tPvRmT1_T2_T3_mmT4_T5_P12ihipStream_tbEUlRKfE_EESK_SO_SP_mSQ_ST_bEUlT_E_NS1_11comp_targetILNS1_3genE10ELNS1_11target_archE1200ELNS1_3gpuE4ELNS1_3repE0EEENS1_30default_config_static_selectorELNS0_4arch9wavefront6targetE1EEEvSN_
	.globl	_ZN7rocprim17ROCPRIM_400000_NS6detail17trampoline_kernelINS0_14default_configENS1_27lower_bound_config_selectorIflEEZNS1_14transform_implILb0ES3_S5_N6thrust23THRUST_200600_302600_NS17counting_iteratorIfNS8_11use_defaultESA_SA_EEPlZNS1_13binary_searchIS3_S5_PfSB_SC_NS1_21lower_bound_search_opENS8_6detail16wrapped_functionI11custom_lessbEEEE10hipError_tPvRmT1_T2_T3_mmT4_T5_P12ihipStream_tbEUlRKfE_EESK_SO_SP_mSQ_ST_bEUlT_E_NS1_11comp_targetILNS1_3genE10ELNS1_11target_archE1200ELNS1_3gpuE4ELNS1_3repE0EEENS1_30default_config_static_selectorELNS0_4arch9wavefront6targetE1EEEvSN_
	.p2align	8
	.type	_ZN7rocprim17ROCPRIM_400000_NS6detail17trampoline_kernelINS0_14default_configENS1_27lower_bound_config_selectorIflEEZNS1_14transform_implILb0ES3_S5_N6thrust23THRUST_200600_302600_NS17counting_iteratorIfNS8_11use_defaultESA_SA_EEPlZNS1_13binary_searchIS3_S5_PfSB_SC_NS1_21lower_bound_search_opENS8_6detail16wrapped_functionI11custom_lessbEEEE10hipError_tPvRmT1_T2_T3_mmT4_T5_P12ihipStream_tbEUlRKfE_EESK_SO_SP_mSQ_ST_bEUlT_E_NS1_11comp_targetILNS1_3genE10ELNS1_11target_archE1200ELNS1_3gpuE4ELNS1_3repE0EEENS1_30default_config_static_selectorELNS0_4arch9wavefront6targetE1EEEvSN_,@function
_ZN7rocprim17ROCPRIM_400000_NS6detail17trampoline_kernelINS0_14default_configENS1_27lower_bound_config_selectorIflEEZNS1_14transform_implILb0ES3_S5_N6thrust23THRUST_200600_302600_NS17counting_iteratorIfNS8_11use_defaultESA_SA_EEPlZNS1_13binary_searchIS3_S5_PfSB_SC_NS1_21lower_bound_search_opENS8_6detail16wrapped_functionI11custom_lessbEEEE10hipError_tPvRmT1_T2_T3_mmT4_T5_P12ihipStream_tbEUlRKfE_EESK_SO_SP_mSQ_ST_bEUlT_E_NS1_11comp_targetILNS1_3genE10ELNS1_11target_archE1200ELNS1_3gpuE4ELNS1_3repE0EEENS1_30default_config_static_selectorELNS0_4arch9wavefront6targetE1EEEvSN_: ; @_ZN7rocprim17ROCPRIM_400000_NS6detail17trampoline_kernelINS0_14default_configENS1_27lower_bound_config_selectorIflEEZNS1_14transform_implILb0ES3_S5_N6thrust23THRUST_200600_302600_NS17counting_iteratorIfNS8_11use_defaultESA_SA_EEPlZNS1_13binary_searchIS3_S5_PfSB_SC_NS1_21lower_bound_search_opENS8_6detail16wrapped_functionI11custom_lessbEEEE10hipError_tPvRmT1_T2_T3_mmT4_T5_P12ihipStream_tbEUlRKfE_EESK_SO_SP_mSQ_ST_bEUlT_E_NS1_11comp_targetILNS1_3genE10ELNS1_11target_archE1200ELNS1_3gpuE4ELNS1_3repE0EEENS1_30default_config_static_selectorELNS0_4arch9wavefront6targetE1EEEvSN_
; %bb.0:
	.section	.rodata,"a",@progbits
	.p2align	6, 0x0
	.amdhsa_kernel _ZN7rocprim17ROCPRIM_400000_NS6detail17trampoline_kernelINS0_14default_configENS1_27lower_bound_config_selectorIflEEZNS1_14transform_implILb0ES3_S5_N6thrust23THRUST_200600_302600_NS17counting_iteratorIfNS8_11use_defaultESA_SA_EEPlZNS1_13binary_searchIS3_S5_PfSB_SC_NS1_21lower_bound_search_opENS8_6detail16wrapped_functionI11custom_lessbEEEE10hipError_tPvRmT1_T2_T3_mmT4_T5_P12ihipStream_tbEUlRKfE_EESK_SO_SP_mSQ_ST_bEUlT_E_NS1_11comp_targetILNS1_3genE10ELNS1_11target_archE1200ELNS1_3gpuE4ELNS1_3repE0EEENS1_30default_config_static_selectorELNS0_4arch9wavefront6targetE1EEEvSN_
		.amdhsa_group_segment_fixed_size 0
		.amdhsa_private_segment_fixed_size 0
		.amdhsa_kernarg_size 56
		.amdhsa_user_sgpr_count 6
		.amdhsa_user_sgpr_private_segment_buffer 1
		.amdhsa_user_sgpr_dispatch_ptr 0
		.amdhsa_user_sgpr_queue_ptr 0
		.amdhsa_user_sgpr_kernarg_segment_ptr 1
		.amdhsa_user_sgpr_dispatch_id 0
		.amdhsa_user_sgpr_flat_scratch_init 0
		.amdhsa_user_sgpr_kernarg_preload_length 0
		.amdhsa_user_sgpr_kernarg_preload_offset 0
		.amdhsa_user_sgpr_private_segment_size 0
		.amdhsa_uses_dynamic_stack 0
		.amdhsa_system_sgpr_private_segment_wavefront_offset 0
		.amdhsa_system_sgpr_workgroup_id_x 1
		.amdhsa_system_sgpr_workgroup_id_y 0
		.amdhsa_system_sgpr_workgroup_id_z 0
		.amdhsa_system_sgpr_workgroup_info 0
		.amdhsa_system_vgpr_workitem_id 0
		.amdhsa_next_free_vgpr 1
		.amdhsa_next_free_sgpr 0
		.amdhsa_accum_offset 4
		.amdhsa_reserve_vcc 0
		.amdhsa_reserve_flat_scratch 0
		.amdhsa_float_round_mode_32 0
		.amdhsa_float_round_mode_16_64 0
		.amdhsa_float_denorm_mode_32 3
		.amdhsa_float_denorm_mode_16_64 3
		.amdhsa_dx10_clamp 1
		.amdhsa_ieee_mode 1
		.amdhsa_fp16_overflow 0
		.amdhsa_tg_split 0
		.amdhsa_exception_fp_ieee_invalid_op 0
		.amdhsa_exception_fp_denorm_src 0
		.amdhsa_exception_fp_ieee_div_zero 0
		.amdhsa_exception_fp_ieee_overflow 0
		.amdhsa_exception_fp_ieee_underflow 0
		.amdhsa_exception_fp_ieee_inexact 0
		.amdhsa_exception_int_div_zero 0
	.end_amdhsa_kernel
	.section	.text._ZN7rocprim17ROCPRIM_400000_NS6detail17trampoline_kernelINS0_14default_configENS1_27lower_bound_config_selectorIflEEZNS1_14transform_implILb0ES3_S5_N6thrust23THRUST_200600_302600_NS17counting_iteratorIfNS8_11use_defaultESA_SA_EEPlZNS1_13binary_searchIS3_S5_PfSB_SC_NS1_21lower_bound_search_opENS8_6detail16wrapped_functionI11custom_lessbEEEE10hipError_tPvRmT1_T2_T3_mmT4_T5_P12ihipStream_tbEUlRKfE_EESK_SO_SP_mSQ_ST_bEUlT_E_NS1_11comp_targetILNS1_3genE10ELNS1_11target_archE1200ELNS1_3gpuE4ELNS1_3repE0EEENS1_30default_config_static_selectorELNS0_4arch9wavefront6targetE1EEEvSN_,"axG",@progbits,_ZN7rocprim17ROCPRIM_400000_NS6detail17trampoline_kernelINS0_14default_configENS1_27lower_bound_config_selectorIflEEZNS1_14transform_implILb0ES3_S5_N6thrust23THRUST_200600_302600_NS17counting_iteratorIfNS8_11use_defaultESA_SA_EEPlZNS1_13binary_searchIS3_S5_PfSB_SC_NS1_21lower_bound_search_opENS8_6detail16wrapped_functionI11custom_lessbEEEE10hipError_tPvRmT1_T2_T3_mmT4_T5_P12ihipStream_tbEUlRKfE_EESK_SO_SP_mSQ_ST_bEUlT_E_NS1_11comp_targetILNS1_3genE10ELNS1_11target_archE1200ELNS1_3gpuE4ELNS1_3repE0EEENS1_30default_config_static_selectorELNS0_4arch9wavefront6targetE1EEEvSN_,comdat
.Lfunc_end20:
	.size	_ZN7rocprim17ROCPRIM_400000_NS6detail17trampoline_kernelINS0_14default_configENS1_27lower_bound_config_selectorIflEEZNS1_14transform_implILb0ES3_S5_N6thrust23THRUST_200600_302600_NS17counting_iteratorIfNS8_11use_defaultESA_SA_EEPlZNS1_13binary_searchIS3_S5_PfSB_SC_NS1_21lower_bound_search_opENS8_6detail16wrapped_functionI11custom_lessbEEEE10hipError_tPvRmT1_T2_T3_mmT4_T5_P12ihipStream_tbEUlRKfE_EESK_SO_SP_mSQ_ST_bEUlT_E_NS1_11comp_targetILNS1_3genE10ELNS1_11target_archE1200ELNS1_3gpuE4ELNS1_3repE0EEENS1_30default_config_static_selectorELNS0_4arch9wavefront6targetE1EEEvSN_, .Lfunc_end20-_ZN7rocprim17ROCPRIM_400000_NS6detail17trampoline_kernelINS0_14default_configENS1_27lower_bound_config_selectorIflEEZNS1_14transform_implILb0ES3_S5_N6thrust23THRUST_200600_302600_NS17counting_iteratorIfNS8_11use_defaultESA_SA_EEPlZNS1_13binary_searchIS3_S5_PfSB_SC_NS1_21lower_bound_search_opENS8_6detail16wrapped_functionI11custom_lessbEEEE10hipError_tPvRmT1_T2_T3_mmT4_T5_P12ihipStream_tbEUlRKfE_EESK_SO_SP_mSQ_ST_bEUlT_E_NS1_11comp_targetILNS1_3genE10ELNS1_11target_archE1200ELNS1_3gpuE4ELNS1_3repE0EEENS1_30default_config_static_selectorELNS0_4arch9wavefront6targetE1EEEvSN_
                                        ; -- End function
	.section	.AMDGPU.csdata,"",@progbits
; Kernel info:
; codeLenInByte = 0
; NumSgprs: 4
; NumVgprs: 0
; NumAgprs: 0
; TotalNumVgprs: 0
; ScratchSize: 0
; MemoryBound: 0
; FloatMode: 240
; IeeeMode: 1
; LDSByteSize: 0 bytes/workgroup (compile time only)
; SGPRBlocks: 0
; VGPRBlocks: 0
; NumSGPRsForWavesPerEU: 4
; NumVGPRsForWavesPerEU: 1
; AccumOffset: 4
; Occupancy: 8
; WaveLimiterHint : 0
; COMPUTE_PGM_RSRC2:SCRATCH_EN: 0
; COMPUTE_PGM_RSRC2:USER_SGPR: 6
; COMPUTE_PGM_RSRC2:TRAP_HANDLER: 0
; COMPUTE_PGM_RSRC2:TGID_X_EN: 1
; COMPUTE_PGM_RSRC2:TGID_Y_EN: 0
; COMPUTE_PGM_RSRC2:TGID_Z_EN: 0
; COMPUTE_PGM_RSRC2:TIDIG_COMP_CNT: 0
; COMPUTE_PGM_RSRC3_GFX90A:ACCUM_OFFSET: 0
; COMPUTE_PGM_RSRC3_GFX90A:TG_SPLIT: 0
	.section	.text._ZN7rocprim17ROCPRIM_400000_NS6detail17trampoline_kernelINS0_14default_configENS1_27lower_bound_config_selectorIflEEZNS1_14transform_implILb0ES3_S5_N6thrust23THRUST_200600_302600_NS17counting_iteratorIfNS8_11use_defaultESA_SA_EEPlZNS1_13binary_searchIS3_S5_PfSB_SC_NS1_21lower_bound_search_opENS8_6detail16wrapped_functionI11custom_lessbEEEE10hipError_tPvRmT1_T2_T3_mmT4_T5_P12ihipStream_tbEUlRKfE_EESK_SO_SP_mSQ_ST_bEUlT_E_NS1_11comp_targetILNS1_3genE9ELNS1_11target_archE1100ELNS1_3gpuE3ELNS1_3repE0EEENS1_30default_config_static_selectorELNS0_4arch9wavefront6targetE1EEEvSN_,"axG",@progbits,_ZN7rocprim17ROCPRIM_400000_NS6detail17trampoline_kernelINS0_14default_configENS1_27lower_bound_config_selectorIflEEZNS1_14transform_implILb0ES3_S5_N6thrust23THRUST_200600_302600_NS17counting_iteratorIfNS8_11use_defaultESA_SA_EEPlZNS1_13binary_searchIS3_S5_PfSB_SC_NS1_21lower_bound_search_opENS8_6detail16wrapped_functionI11custom_lessbEEEE10hipError_tPvRmT1_T2_T3_mmT4_T5_P12ihipStream_tbEUlRKfE_EESK_SO_SP_mSQ_ST_bEUlT_E_NS1_11comp_targetILNS1_3genE9ELNS1_11target_archE1100ELNS1_3gpuE3ELNS1_3repE0EEENS1_30default_config_static_selectorELNS0_4arch9wavefront6targetE1EEEvSN_,comdat
	.protected	_ZN7rocprim17ROCPRIM_400000_NS6detail17trampoline_kernelINS0_14default_configENS1_27lower_bound_config_selectorIflEEZNS1_14transform_implILb0ES3_S5_N6thrust23THRUST_200600_302600_NS17counting_iteratorIfNS8_11use_defaultESA_SA_EEPlZNS1_13binary_searchIS3_S5_PfSB_SC_NS1_21lower_bound_search_opENS8_6detail16wrapped_functionI11custom_lessbEEEE10hipError_tPvRmT1_T2_T3_mmT4_T5_P12ihipStream_tbEUlRKfE_EESK_SO_SP_mSQ_ST_bEUlT_E_NS1_11comp_targetILNS1_3genE9ELNS1_11target_archE1100ELNS1_3gpuE3ELNS1_3repE0EEENS1_30default_config_static_selectorELNS0_4arch9wavefront6targetE1EEEvSN_ ; -- Begin function _ZN7rocprim17ROCPRIM_400000_NS6detail17trampoline_kernelINS0_14default_configENS1_27lower_bound_config_selectorIflEEZNS1_14transform_implILb0ES3_S5_N6thrust23THRUST_200600_302600_NS17counting_iteratorIfNS8_11use_defaultESA_SA_EEPlZNS1_13binary_searchIS3_S5_PfSB_SC_NS1_21lower_bound_search_opENS8_6detail16wrapped_functionI11custom_lessbEEEE10hipError_tPvRmT1_T2_T3_mmT4_T5_P12ihipStream_tbEUlRKfE_EESK_SO_SP_mSQ_ST_bEUlT_E_NS1_11comp_targetILNS1_3genE9ELNS1_11target_archE1100ELNS1_3gpuE3ELNS1_3repE0EEENS1_30default_config_static_selectorELNS0_4arch9wavefront6targetE1EEEvSN_
	.globl	_ZN7rocprim17ROCPRIM_400000_NS6detail17trampoline_kernelINS0_14default_configENS1_27lower_bound_config_selectorIflEEZNS1_14transform_implILb0ES3_S5_N6thrust23THRUST_200600_302600_NS17counting_iteratorIfNS8_11use_defaultESA_SA_EEPlZNS1_13binary_searchIS3_S5_PfSB_SC_NS1_21lower_bound_search_opENS8_6detail16wrapped_functionI11custom_lessbEEEE10hipError_tPvRmT1_T2_T3_mmT4_T5_P12ihipStream_tbEUlRKfE_EESK_SO_SP_mSQ_ST_bEUlT_E_NS1_11comp_targetILNS1_3genE9ELNS1_11target_archE1100ELNS1_3gpuE3ELNS1_3repE0EEENS1_30default_config_static_selectorELNS0_4arch9wavefront6targetE1EEEvSN_
	.p2align	8
	.type	_ZN7rocprim17ROCPRIM_400000_NS6detail17trampoline_kernelINS0_14default_configENS1_27lower_bound_config_selectorIflEEZNS1_14transform_implILb0ES3_S5_N6thrust23THRUST_200600_302600_NS17counting_iteratorIfNS8_11use_defaultESA_SA_EEPlZNS1_13binary_searchIS3_S5_PfSB_SC_NS1_21lower_bound_search_opENS8_6detail16wrapped_functionI11custom_lessbEEEE10hipError_tPvRmT1_T2_T3_mmT4_T5_P12ihipStream_tbEUlRKfE_EESK_SO_SP_mSQ_ST_bEUlT_E_NS1_11comp_targetILNS1_3genE9ELNS1_11target_archE1100ELNS1_3gpuE3ELNS1_3repE0EEENS1_30default_config_static_selectorELNS0_4arch9wavefront6targetE1EEEvSN_,@function
_ZN7rocprim17ROCPRIM_400000_NS6detail17trampoline_kernelINS0_14default_configENS1_27lower_bound_config_selectorIflEEZNS1_14transform_implILb0ES3_S5_N6thrust23THRUST_200600_302600_NS17counting_iteratorIfNS8_11use_defaultESA_SA_EEPlZNS1_13binary_searchIS3_S5_PfSB_SC_NS1_21lower_bound_search_opENS8_6detail16wrapped_functionI11custom_lessbEEEE10hipError_tPvRmT1_T2_T3_mmT4_T5_P12ihipStream_tbEUlRKfE_EESK_SO_SP_mSQ_ST_bEUlT_E_NS1_11comp_targetILNS1_3genE9ELNS1_11target_archE1100ELNS1_3gpuE3ELNS1_3repE0EEENS1_30default_config_static_selectorELNS0_4arch9wavefront6targetE1EEEvSN_: ; @_ZN7rocprim17ROCPRIM_400000_NS6detail17trampoline_kernelINS0_14default_configENS1_27lower_bound_config_selectorIflEEZNS1_14transform_implILb0ES3_S5_N6thrust23THRUST_200600_302600_NS17counting_iteratorIfNS8_11use_defaultESA_SA_EEPlZNS1_13binary_searchIS3_S5_PfSB_SC_NS1_21lower_bound_search_opENS8_6detail16wrapped_functionI11custom_lessbEEEE10hipError_tPvRmT1_T2_T3_mmT4_T5_P12ihipStream_tbEUlRKfE_EESK_SO_SP_mSQ_ST_bEUlT_E_NS1_11comp_targetILNS1_3genE9ELNS1_11target_archE1100ELNS1_3gpuE3ELNS1_3repE0EEENS1_30default_config_static_selectorELNS0_4arch9wavefront6targetE1EEEvSN_
; %bb.0:
	.section	.rodata,"a",@progbits
	.p2align	6, 0x0
	.amdhsa_kernel _ZN7rocprim17ROCPRIM_400000_NS6detail17trampoline_kernelINS0_14default_configENS1_27lower_bound_config_selectorIflEEZNS1_14transform_implILb0ES3_S5_N6thrust23THRUST_200600_302600_NS17counting_iteratorIfNS8_11use_defaultESA_SA_EEPlZNS1_13binary_searchIS3_S5_PfSB_SC_NS1_21lower_bound_search_opENS8_6detail16wrapped_functionI11custom_lessbEEEE10hipError_tPvRmT1_T2_T3_mmT4_T5_P12ihipStream_tbEUlRKfE_EESK_SO_SP_mSQ_ST_bEUlT_E_NS1_11comp_targetILNS1_3genE9ELNS1_11target_archE1100ELNS1_3gpuE3ELNS1_3repE0EEENS1_30default_config_static_selectorELNS0_4arch9wavefront6targetE1EEEvSN_
		.amdhsa_group_segment_fixed_size 0
		.amdhsa_private_segment_fixed_size 0
		.amdhsa_kernarg_size 56
		.amdhsa_user_sgpr_count 6
		.amdhsa_user_sgpr_private_segment_buffer 1
		.amdhsa_user_sgpr_dispatch_ptr 0
		.amdhsa_user_sgpr_queue_ptr 0
		.amdhsa_user_sgpr_kernarg_segment_ptr 1
		.amdhsa_user_sgpr_dispatch_id 0
		.amdhsa_user_sgpr_flat_scratch_init 0
		.amdhsa_user_sgpr_kernarg_preload_length 0
		.amdhsa_user_sgpr_kernarg_preload_offset 0
		.amdhsa_user_sgpr_private_segment_size 0
		.amdhsa_uses_dynamic_stack 0
		.amdhsa_system_sgpr_private_segment_wavefront_offset 0
		.amdhsa_system_sgpr_workgroup_id_x 1
		.amdhsa_system_sgpr_workgroup_id_y 0
		.amdhsa_system_sgpr_workgroup_id_z 0
		.amdhsa_system_sgpr_workgroup_info 0
		.amdhsa_system_vgpr_workitem_id 0
		.amdhsa_next_free_vgpr 1
		.amdhsa_next_free_sgpr 0
		.amdhsa_accum_offset 4
		.amdhsa_reserve_vcc 0
		.amdhsa_reserve_flat_scratch 0
		.amdhsa_float_round_mode_32 0
		.amdhsa_float_round_mode_16_64 0
		.amdhsa_float_denorm_mode_32 3
		.amdhsa_float_denorm_mode_16_64 3
		.amdhsa_dx10_clamp 1
		.amdhsa_ieee_mode 1
		.amdhsa_fp16_overflow 0
		.amdhsa_tg_split 0
		.amdhsa_exception_fp_ieee_invalid_op 0
		.amdhsa_exception_fp_denorm_src 0
		.amdhsa_exception_fp_ieee_div_zero 0
		.amdhsa_exception_fp_ieee_overflow 0
		.amdhsa_exception_fp_ieee_underflow 0
		.amdhsa_exception_fp_ieee_inexact 0
		.amdhsa_exception_int_div_zero 0
	.end_amdhsa_kernel
	.section	.text._ZN7rocprim17ROCPRIM_400000_NS6detail17trampoline_kernelINS0_14default_configENS1_27lower_bound_config_selectorIflEEZNS1_14transform_implILb0ES3_S5_N6thrust23THRUST_200600_302600_NS17counting_iteratorIfNS8_11use_defaultESA_SA_EEPlZNS1_13binary_searchIS3_S5_PfSB_SC_NS1_21lower_bound_search_opENS8_6detail16wrapped_functionI11custom_lessbEEEE10hipError_tPvRmT1_T2_T3_mmT4_T5_P12ihipStream_tbEUlRKfE_EESK_SO_SP_mSQ_ST_bEUlT_E_NS1_11comp_targetILNS1_3genE9ELNS1_11target_archE1100ELNS1_3gpuE3ELNS1_3repE0EEENS1_30default_config_static_selectorELNS0_4arch9wavefront6targetE1EEEvSN_,"axG",@progbits,_ZN7rocprim17ROCPRIM_400000_NS6detail17trampoline_kernelINS0_14default_configENS1_27lower_bound_config_selectorIflEEZNS1_14transform_implILb0ES3_S5_N6thrust23THRUST_200600_302600_NS17counting_iteratorIfNS8_11use_defaultESA_SA_EEPlZNS1_13binary_searchIS3_S5_PfSB_SC_NS1_21lower_bound_search_opENS8_6detail16wrapped_functionI11custom_lessbEEEE10hipError_tPvRmT1_T2_T3_mmT4_T5_P12ihipStream_tbEUlRKfE_EESK_SO_SP_mSQ_ST_bEUlT_E_NS1_11comp_targetILNS1_3genE9ELNS1_11target_archE1100ELNS1_3gpuE3ELNS1_3repE0EEENS1_30default_config_static_selectorELNS0_4arch9wavefront6targetE1EEEvSN_,comdat
.Lfunc_end21:
	.size	_ZN7rocprim17ROCPRIM_400000_NS6detail17trampoline_kernelINS0_14default_configENS1_27lower_bound_config_selectorIflEEZNS1_14transform_implILb0ES3_S5_N6thrust23THRUST_200600_302600_NS17counting_iteratorIfNS8_11use_defaultESA_SA_EEPlZNS1_13binary_searchIS3_S5_PfSB_SC_NS1_21lower_bound_search_opENS8_6detail16wrapped_functionI11custom_lessbEEEE10hipError_tPvRmT1_T2_T3_mmT4_T5_P12ihipStream_tbEUlRKfE_EESK_SO_SP_mSQ_ST_bEUlT_E_NS1_11comp_targetILNS1_3genE9ELNS1_11target_archE1100ELNS1_3gpuE3ELNS1_3repE0EEENS1_30default_config_static_selectorELNS0_4arch9wavefront6targetE1EEEvSN_, .Lfunc_end21-_ZN7rocprim17ROCPRIM_400000_NS6detail17trampoline_kernelINS0_14default_configENS1_27lower_bound_config_selectorIflEEZNS1_14transform_implILb0ES3_S5_N6thrust23THRUST_200600_302600_NS17counting_iteratorIfNS8_11use_defaultESA_SA_EEPlZNS1_13binary_searchIS3_S5_PfSB_SC_NS1_21lower_bound_search_opENS8_6detail16wrapped_functionI11custom_lessbEEEE10hipError_tPvRmT1_T2_T3_mmT4_T5_P12ihipStream_tbEUlRKfE_EESK_SO_SP_mSQ_ST_bEUlT_E_NS1_11comp_targetILNS1_3genE9ELNS1_11target_archE1100ELNS1_3gpuE3ELNS1_3repE0EEENS1_30default_config_static_selectorELNS0_4arch9wavefront6targetE1EEEvSN_
                                        ; -- End function
	.section	.AMDGPU.csdata,"",@progbits
; Kernel info:
; codeLenInByte = 0
; NumSgprs: 4
; NumVgprs: 0
; NumAgprs: 0
; TotalNumVgprs: 0
; ScratchSize: 0
; MemoryBound: 0
; FloatMode: 240
; IeeeMode: 1
; LDSByteSize: 0 bytes/workgroup (compile time only)
; SGPRBlocks: 0
; VGPRBlocks: 0
; NumSGPRsForWavesPerEU: 4
; NumVGPRsForWavesPerEU: 1
; AccumOffset: 4
; Occupancy: 8
; WaveLimiterHint : 0
; COMPUTE_PGM_RSRC2:SCRATCH_EN: 0
; COMPUTE_PGM_RSRC2:USER_SGPR: 6
; COMPUTE_PGM_RSRC2:TRAP_HANDLER: 0
; COMPUTE_PGM_RSRC2:TGID_X_EN: 1
; COMPUTE_PGM_RSRC2:TGID_Y_EN: 0
; COMPUTE_PGM_RSRC2:TGID_Z_EN: 0
; COMPUTE_PGM_RSRC2:TIDIG_COMP_CNT: 0
; COMPUTE_PGM_RSRC3_GFX90A:ACCUM_OFFSET: 0
; COMPUTE_PGM_RSRC3_GFX90A:TG_SPLIT: 0
	.section	.text._ZN7rocprim17ROCPRIM_400000_NS6detail17trampoline_kernelINS0_14default_configENS1_27lower_bound_config_selectorIflEEZNS1_14transform_implILb0ES3_S5_N6thrust23THRUST_200600_302600_NS17counting_iteratorIfNS8_11use_defaultESA_SA_EEPlZNS1_13binary_searchIS3_S5_PfSB_SC_NS1_21lower_bound_search_opENS8_6detail16wrapped_functionI11custom_lessbEEEE10hipError_tPvRmT1_T2_T3_mmT4_T5_P12ihipStream_tbEUlRKfE_EESK_SO_SP_mSQ_ST_bEUlT_E_NS1_11comp_targetILNS1_3genE8ELNS1_11target_archE1030ELNS1_3gpuE2ELNS1_3repE0EEENS1_30default_config_static_selectorELNS0_4arch9wavefront6targetE1EEEvSN_,"axG",@progbits,_ZN7rocprim17ROCPRIM_400000_NS6detail17trampoline_kernelINS0_14default_configENS1_27lower_bound_config_selectorIflEEZNS1_14transform_implILb0ES3_S5_N6thrust23THRUST_200600_302600_NS17counting_iteratorIfNS8_11use_defaultESA_SA_EEPlZNS1_13binary_searchIS3_S5_PfSB_SC_NS1_21lower_bound_search_opENS8_6detail16wrapped_functionI11custom_lessbEEEE10hipError_tPvRmT1_T2_T3_mmT4_T5_P12ihipStream_tbEUlRKfE_EESK_SO_SP_mSQ_ST_bEUlT_E_NS1_11comp_targetILNS1_3genE8ELNS1_11target_archE1030ELNS1_3gpuE2ELNS1_3repE0EEENS1_30default_config_static_selectorELNS0_4arch9wavefront6targetE1EEEvSN_,comdat
	.protected	_ZN7rocprim17ROCPRIM_400000_NS6detail17trampoline_kernelINS0_14default_configENS1_27lower_bound_config_selectorIflEEZNS1_14transform_implILb0ES3_S5_N6thrust23THRUST_200600_302600_NS17counting_iteratorIfNS8_11use_defaultESA_SA_EEPlZNS1_13binary_searchIS3_S5_PfSB_SC_NS1_21lower_bound_search_opENS8_6detail16wrapped_functionI11custom_lessbEEEE10hipError_tPvRmT1_T2_T3_mmT4_T5_P12ihipStream_tbEUlRKfE_EESK_SO_SP_mSQ_ST_bEUlT_E_NS1_11comp_targetILNS1_3genE8ELNS1_11target_archE1030ELNS1_3gpuE2ELNS1_3repE0EEENS1_30default_config_static_selectorELNS0_4arch9wavefront6targetE1EEEvSN_ ; -- Begin function _ZN7rocprim17ROCPRIM_400000_NS6detail17trampoline_kernelINS0_14default_configENS1_27lower_bound_config_selectorIflEEZNS1_14transform_implILb0ES3_S5_N6thrust23THRUST_200600_302600_NS17counting_iteratorIfNS8_11use_defaultESA_SA_EEPlZNS1_13binary_searchIS3_S5_PfSB_SC_NS1_21lower_bound_search_opENS8_6detail16wrapped_functionI11custom_lessbEEEE10hipError_tPvRmT1_T2_T3_mmT4_T5_P12ihipStream_tbEUlRKfE_EESK_SO_SP_mSQ_ST_bEUlT_E_NS1_11comp_targetILNS1_3genE8ELNS1_11target_archE1030ELNS1_3gpuE2ELNS1_3repE0EEENS1_30default_config_static_selectorELNS0_4arch9wavefront6targetE1EEEvSN_
	.globl	_ZN7rocprim17ROCPRIM_400000_NS6detail17trampoline_kernelINS0_14default_configENS1_27lower_bound_config_selectorIflEEZNS1_14transform_implILb0ES3_S5_N6thrust23THRUST_200600_302600_NS17counting_iteratorIfNS8_11use_defaultESA_SA_EEPlZNS1_13binary_searchIS3_S5_PfSB_SC_NS1_21lower_bound_search_opENS8_6detail16wrapped_functionI11custom_lessbEEEE10hipError_tPvRmT1_T2_T3_mmT4_T5_P12ihipStream_tbEUlRKfE_EESK_SO_SP_mSQ_ST_bEUlT_E_NS1_11comp_targetILNS1_3genE8ELNS1_11target_archE1030ELNS1_3gpuE2ELNS1_3repE0EEENS1_30default_config_static_selectorELNS0_4arch9wavefront6targetE1EEEvSN_
	.p2align	8
	.type	_ZN7rocprim17ROCPRIM_400000_NS6detail17trampoline_kernelINS0_14default_configENS1_27lower_bound_config_selectorIflEEZNS1_14transform_implILb0ES3_S5_N6thrust23THRUST_200600_302600_NS17counting_iteratorIfNS8_11use_defaultESA_SA_EEPlZNS1_13binary_searchIS3_S5_PfSB_SC_NS1_21lower_bound_search_opENS8_6detail16wrapped_functionI11custom_lessbEEEE10hipError_tPvRmT1_T2_T3_mmT4_T5_P12ihipStream_tbEUlRKfE_EESK_SO_SP_mSQ_ST_bEUlT_E_NS1_11comp_targetILNS1_3genE8ELNS1_11target_archE1030ELNS1_3gpuE2ELNS1_3repE0EEENS1_30default_config_static_selectorELNS0_4arch9wavefront6targetE1EEEvSN_,@function
_ZN7rocprim17ROCPRIM_400000_NS6detail17trampoline_kernelINS0_14default_configENS1_27lower_bound_config_selectorIflEEZNS1_14transform_implILb0ES3_S5_N6thrust23THRUST_200600_302600_NS17counting_iteratorIfNS8_11use_defaultESA_SA_EEPlZNS1_13binary_searchIS3_S5_PfSB_SC_NS1_21lower_bound_search_opENS8_6detail16wrapped_functionI11custom_lessbEEEE10hipError_tPvRmT1_T2_T3_mmT4_T5_P12ihipStream_tbEUlRKfE_EESK_SO_SP_mSQ_ST_bEUlT_E_NS1_11comp_targetILNS1_3genE8ELNS1_11target_archE1030ELNS1_3gpuE2ELNS1_3repE0EEENS1_30default_config_static_selectorELNS0_4arch9wavefront6targetE1EEEvSN_: ; @_ZN7rocprim17ROCPRIM_400000_NS6detail17trampoline_kernelINS0_14default_configENS1_27lower_bound_config_selectorIflEEZNS1_14transform_implILb0ES3_S5_N6thrust23THRUST_200600_302600_NS17counting_iteratorIfNS8_11use_defaultESA_SA_EEPlZNS1_13binary_searchIS3_S5_PfSB_SC_NS1_21lower_bound_search_opENS8_6detail16wrapped_functionI11custom_lessbEEEE10hipError_tPvRmT1_T2_T3_mmT4_T5_P12ihipStream_tbEUlRKfE_EESK_SO_SP_mSQ_ST_bEUlT_E_NS1_11comp_targetILNS1_3genE8ELNS1_11target_archE1030ELNS1_3gpuE2ELNS1_3repE0EEENS1_30default_config_static_selectorELNS0_4arch9wavefront6targetE1EEEvSN_
; %bb.0:
	.section	.rodata,"a",@progbits
	.p2align	6, 0x0
	.amdhsa_kernel _ZN7rocprim17ROCPRIM_400000_NS6detail17trampoline_kernelINS0_14default_configENS1_27lower_bound_config_selectorIflEEZNS1_14transform_implILb0ES3_S5_N6thrust23THRUST_200600_302600_NS17counting_iteratorIfNS8_11use_defaultESA_SA_EEPlZNS1_13binary_searchIS3_S5_PfSB_SC_NS1_21lower_bound_search_opENS8_6detail16wrapped_functionI11custom_lessbEEEE10hipError_tPvRmT1_T2_T3_mmT4_T5_P12ihipStream_tbEUlRKfE_EESK_SO_SP_mSQ_ST_bEUlT_E_NS1_11comp_targetILNS1_3genE8ELNS1_11target_archE1030ELNS1_3gpuE2ELNS1_3repE0EEENS1_30default_config_static_selectorELNS0_4arch9wavefront6targetE1EEEvSN_
		.amdhsa_group_segment_fixed_size 0
		.amdhsa_private_segment_fixed_size 0
		.amdhsa_kernarg_size 56
		.amdhsa_user_sgpr_count 6
		.amdhsa_user_sgpr_private_segment_buffer 1
		.amdhsa_user_sgpr_dispatch_ptr 0
		.amdhsa_user_sgpr_queue_ptr 0
		.amdhsa_user_sgpr_kernarg_segment_ptr 1
		.amdhsa_user_sgpr_dispatch_id 0
		.amdhsa_user_sgpr_flat_scratch_init 0
		.amdhsa_user_sgpr_kernarg_preload_length 0
		.amdhsa_user_sgpr_kernarg_preload_offset 0
		.amdhsa_user_sgpr_private_segment_size 0
		.amdhsa_uses_dynamic_stack 0
		.amdhsa_system_sgpr_private_segment_wavefront_offset 0
		.amdhsa_system_sgpr_workgroup_id_x 1
		.amdhsa_system_sgpr_workgroup_id_y 0
		.amdhsa_system_sgpr_workgroup_id_z 0
		.amdhsa_system_sgpr_workgroup_info 0
		.amdhsa_system_vgpr_workitem_id 0
		.amdhsa_next_free_vgpr 1
		.amdhsa_next_free_sgpr 0
		.amdhsa_accum_offset 4
		.amdhsa_reserve_vcc 0
		.amdhsa_reserve_flat_scratch 0
		.amdhsa_float_round_mode_32 0
		.amdhsa_float_round_mode_16_64 0
		.amdhsa_float_denorm_mode_32 3
		.amdhsa_float_denorm_mode_16_64 3
		.amdhsa_dx10_clamp 1
		.amdhsa_ieee_mode 1
		.amdhsa_fp16_overflow 0
		.amdhsa_tg_split 0
		.amdhsa_exception_fp_ieee_invalid_op 0
		.amdhsa_exception_fp_denorm_src 0
		.amdhsa_exception_fp_ieee_div_zero 0
		.amdhsa_exception_fp_ieee_overflow 0
		.amdhsa_exception_fp_ieee_underflow 0
		.amdhsa_exception_fp_ieee_inexact 0
		.amdhsa_exception_int_div_zero 0
	.end_amdhsa_kernel
	.section	.text._ZN7rocprim17ROCPRIM_400000_NS6detail17trampoline_kernelINS0_14default_configENS1_27lower_bound_config_selectorIflEEZNS1_14transform_implILb0ES3_S5_N6thrust23THRUST_200600_302600_NS17counting_iteratorIfNS8_11use_defaultESA_SA_EEPlZNS1_13binary_searchIS3_S5_PfSB_SC_NS1_21lower_bound_search_opENS8_6detail16wrapped_functionI11custom_lessbEEEE10hipError_tPvRmT1_T2_T3_mmT4_T5_P12ihipStream_tbEUlRKfE_EESK_SO_SP_mSQ_ST_bEUlT_E_NS1_11comp_targetILNS1_3genE8ELNS1_11target_archE1030ELNS1_3gpuE2ELNS1_3repE0EEENS1_30default_config_static_selectorELNS0_4arch9wavefront6targetE1EEEvSN_,"axG",@progbits,_ZN7rocprim17ROCPRIM_400000_NS6detail17trampoline_kernelINS0_14default_configENS1_27lower_bound_config_selectorIflEEZNS1_14transform_implILb0ES3_S5_N6thrust23THRUST_200600_302600_NS17counting_iteratorIfNS8_11use_defaultESA_SA_EEPlZNS1_13binary_searchIS3_S5_PfSB_SC_NS1_21lower_bound_search_opENS8_6detail16wrapped_functionI11custom_lessbEEEE10hipError_tPvRmT1_T2_T3_mmT4_T5_P12ihipStream_tbEUlRKfE_EESK_SO_SP_mSQ_ST_bEUlT_E_NS1_11comp_targetILNS1_3genE8ELNS1_11target_archE1030ELNS1_3gpuE2ELNS1_3repE0EEENS1_30default_config_static_selectorELNS0_4arch9wavefront6targetE1EEEvSN_,comdat
.Lfunc_end22:
	.size	_ZN7rocprim17ROCPRIM_400000_NS6detail17trampoline_kernelINS0_14default_configENS1_27lower_bound_config_selectorIflEEZNS1_14transform_implILb0ES3_S5_N6thrust23THRUST_200600_302600_NS17counting_iteratorIfNS8_11use_defaultESA_SA_EEPlZNS1_13binary_searchIS3_S5_PfSB_SC_NS1_21lower_bound_search_opENS8_6detail16wrapped_functionI11custom_lessbEEEE10hipError_tPvRmT1_T2_T3_mmT4_T5_P12ihipStream_tbEUlRKfE_EESK_SO_SP_mSQ_ST_bEUlT_E_NS1_11comp_targetILNS1_3genE8ELNS1_11target_archE1030ELNS1_3gpuE2ELNS1_3repE0EEENS1_30default_config_static_selectorELNS0_4arch9wavefront6targetE1EEEvSN_, .Lfunc_end22-_ZN7rocprim17ROCPRIM_400000_NS6detail17trampoline_kernelINS0_14default_configENS1_27lower_bound_config_selectorIflEEZNS1_14transform_implILb0ES3_S5_N6thrust23THRUST_200600_302600_NS17counting_iteratorIfNS8_11use_defaultESA_SA_EEPlZNS1_13binary_searchIS3_S5_PfSB_SC_NS1_21lower_bound_search_opENS8_6detail16wrapped_functionI11custom_lessbEEEE10hipError_tPvRmT1_T2_T3_mmT4_T5_P12ihipStream_tbEUlRKfE_EESK_SO_SP_mSQ_ST_bEUlT_E_NS1_11comp_targetILNS1_3genE8ELNS1_11target_archE1030ELNS1_3gpuE2ELNS1_3repE0EEENS1_30default_config_static_selectorELNS0_4arch9wavefront6targetE1EEEvSN_
                                        ; -- End function
	.section	.AMDGPU.csdata,"",@progbits
; Kernel info:
; codeLenInByte = 0
; NumSgprs: 4
; NumVgprs: 0
; NumAgprs: 0
; TotalNumVgprs: 0
; ScratchSize: 0
; MemoryBound: 0
; FloatMode: 240
; IeeeMode: 1
; LDSByteSize: 0 bytes/workgroup (compile time only)
; SGPRBlocks: 0
; VGPRBlocks: 0
; NumSGPRsForWavesPerEU: 4
; NumVGPRsForWavesPerEU: 1
; AccumOffset: 4
; Occupancy: 8
; WaveLimiterHint : 0
; COMPUTE_PGM_RSRC2:SCRATCH_EN: 0
; COMPUTE_PGM_RSRC2:USER_SGPR: 6
; COMPUTE_PGM_RSRC2:TRAP_HANDLER: 0
; COMPUTE_PGM_RSRC2:TGID_X_EN: 1
; COMPUTE_PGM_RSRC2:TGID_Y_EN: 0
; COMPUTE_PGM_RSRC2:TGID_Z_EN: 0
; COMPUTE_PGM_RSRC2:TIDIG_COMP_CNT: 0
; COMPUTE_PGM_RSRC3_GFX90A:ACCUM_OFFSET: 0
; COMPUTE_PGM_RSRC3_GFX90A:TG_SPLIT: 0
	.section	.text._ZN6thrust23THRUST_200600_302600_NS11hip_rocprim14__parallel_for6kernelILj256ENS1_20__uninitialized_fill7functorINS0_10device_ptrIyEEyEEmLj1EEEvT0_T1_SA_,"axG",@progbits,_ZN6thrust23THRUST_200600_302600_NS11hip_rocprim14__parallel_for6kernelILj256ENS1_20__uninitialized_fill7functorINS0_10device_ptrIyEEyEEmLj1EEEvT0_T1_SA_,comdat
	.protected	_ZN6thrust23THRUST_200600_302600_NS11hip_rocprim14__parallel_for6kernelILj256ENS1_20__uninitialized_fill7functorINS0_10device_ptrIyEEyEEmLj1EEEvT0_T1_SA_ ; -- Begin function _ZN6thrust23THRUST_200600_302600_NS11hip_rocprim14__parallel_for6kernelILj256ENS1_20__uninitialized_fill7functorINS0_10device_ptrIyEEyEEmLj1EEEvT0_T1_SA_
	.globl	_ZN6thrust23THRUST_200600_302600_NS11hip_rocprim14__parallel_for6kernelILj256ENS1_20__uninitialized_fill7functorINS0_10device_ptrIyEEyEEmLj1EEEvT0_T1_SA_
	.p2align	8
	.type	_ZN6thrust23THRUST_200600_302600_NS11hip_rocprim14__parallel_for6kernelILj256ENS1_20__uninitialized_fill7functorINS0_10device_ptrIyEEyEEmLj1EEEvT0_T1_SA_,@function
_ZN6thrust23THRUST_200600_302600_NS11hip_rocprim14__parallel_for6kernelILj256ENS1_20__uninitialized_fill7functorINS0_10device_ptrIyEEyEEmLj1EEEvT0_T1_SA_: ; @_ZN6thrust23THRUST_200600_302600_NS11hip_rocprim14__parallel_for6kernelILj256ENS1_20__uninitialized_fill7functorINS0_10device_ptrIyEEyEEmLj1EEEvT0_T1_SA_
; %bb.0:
	s_load_dwordx8 s[8:15], s[4:5], 0x0
	s_lshl_b32 s0, s6, 8
	v_mov_b32_e32 v2, 0x100
	v_mov_b32_e32 v3, 0
	s_waitcnt lgkmcnt(0)
	s_add_u32 s0, s0, s14
	s_addc_u32 s1, 0, s15
	s_sub_u32 s2, s12, s0
	s_subb_u32 s3, s13, s1
	v_cmp_lt_u64_e32 vcc, s[2:3], v[2:3]
	s_cbranch_vccz .LBB23_2
; %bb.1:
	v_cmp_gt_u32_e32 vcc, s2, v0
	s_and_b64 s[2:3], vcc, exec
	s_cbranch_execz .LBB23_3
	s_branch .LBB23_4
.LBB23_2:
	s_mov_b64 s[2:3], 0
.LBB23_3:
	s_or_b64 s[2:3], s[2:3], exec
.LBB23_4:
	s_and_saveexec_b64 s[4:5], s[2:3]
	s_cbranch_execnz .LBB23_6
; %bb.5:
	s_endpgm
.LBB23_6:
	s_lshl_b64 s[0:1], s[0:1], 3
	v_mov_b32_e32 v1, 0
	s_add_u32 s0, s8, s0
	s_addc_u32 s1, s9, s1
	v_lshlrev_b64 v[0:1], 3, v[0:1]
	v_mov_b32_e32 v4, s1
	v_add_co_u32_e32 v0, vcc, s0, v0
	v_mov_b32_e32 v2, s10
	v_mov_b32_e32 v3, s11
	v_addc_co_u32_e32 v1, vcc, v4, v1, vcc
	flat_store_dwordx2 v[0:1], v[2:3]
	s_endpgm
	.section	.rodata,"a",@progbits
	.p2align	6, 0x0
	.amdhsa_kernel _ZN6thrust23THRUST_200600_302600_NS11hip_rocprim14__parallel_for6kernelILj256ENS1_20__uninitialized_fill7functorINS0_10device_ptrIyEEyEEmLj1EEEvT0_T1_SA_
		.amdhsa_group_segment_fixed_size 0
		.amdhsa_private_segment_fixed_size 0
		.amdhsa_kernarg_size 32
		.amdhsa_user_sgpr_count 6
		.amdhsa_user_sgpr_private_segment_buffer 1
		.amdhsa_user_sgpr_dispatch_ptr 0
		.amdhsa_user_sgpr_queue_ptr 0
		.amdhsa_user_sgpr_kernarg_segment_ptr 1
		.amdhsa_user_sgpr_dispatch_id 0
		.amdhsa_user_sgpr_flat_scratch_init 0
		.amdhsa_user_sgpr_kernarg_preload_length 0
		.amdhsa_user_sgpr_kernarg_preload_offset 0
		.amdhsa_user_sgpr_private_segment_size 0
		.amdhsa_uses_dynamic_stack 0
		.amdhsa_system_sgpr_private_segment_wavefront_offset 0
		.amdhsa_system_sgpr_workgroup_id_x 1
		.amdhsa_system_sgpr_workgroup_id_y 0
		.amdhsa_system_sgpr_workgroup_id_z 0
		.amdhsa_system_sgpr_workgroup_info 0
		.amdhsa_system_vgpr_workitem_id 0
		.amdhsa_next_free_vgpr 5
		.amdhsa_next_free_sgpr 16
		.amdhsa_accum_offset 8
		.amdhsa_reserve_vcc 1
		.amdhsa_reserve_flat_scratch 0
		.amdhsa_float_round_mode_32 0
		.amdhsa_float_round_mode_16_64 0
		.amdhsa_float_denorm_mode_32 3
		.amdhsa_float_denorm_mode_16_64 3
		.amdhsa_dx10_clamp 1
		.amdhsa_ieee_mode 1
		.amdhsa_fp16_overflow 0
		.amdhsa_tg_split 0
		.amdhsa_exception_fp_ieee_invalid_op 0
		.amdhsa_exception_fp_denorm_src 0
		.amdhsa_exception_fp_ieee_div_zero 0
		.amdhsa_exception_fp_ieee_overflow 0
		.amdhsa_exception_fp_ieee_underflow 0
		.amdhsa_exception_fp_ieee_inexact 0
		.amdhsa_exception_int_div_zero 0
	.end_amdhsa_kernel
	.section	.text._ZN6thrust23THRUST_200600_302600_NS11hip_rocprim14__parallel_for6kernelILj256ENS1_20__uninitialized_fill7functorINS0_10device_ptrIyEEyEEmLj1EEEvT0_T1_SA_,"axG",@progbits,_ZN6thrust23THRUST_200600_302600_NS11hip_rocprim14__parallel_for6kernelILj256ENS1_20__uninitialized_fill7functorINS0_10device_ptrIyEEyEEmLj1EEEvT0_T1_SA_,comdat
.Lfunc_end23:
	.size	_ZN6thrust23THRUST_200600_302600_NS11hip_rocprim14__parallel_for6kernelILj256ENS1_20__uninitialized_fill7functorINS0_10device_ptrIyEEyEEmLj1EEEvT0_T1_SA_, .Lfunc_end23-_ZN6thrust23THRUST_200600_302600_NS11hip_rocprim14__parallel_for6kernelILj256ENS1_20__uninitialized_fill7functorINS0_10device_ptrIyEEyEEmLj1EEEvT0_T1_SA_
                                        ; -- End function
	.section	.AMDGPU.csdata,"",@progbits
; Kernel info:
; codeLenInByte = 144
; NumSgprs: 20
; NumVgprs: 5
; NumAgprs: 0
; TotalNumVgprs: 5
; ScratchSize: 0
; MemoryBound: 0
; FloatMode: 240
; IeeeMode: 1
; LDSByteSize: 0 bytes/workgroup (compile time only)
; SGPRBlocks: 2
; VGPRBlocks: 0
; NumSGPRsForWavesPerEU: 20
; NumVGPRsForWavesPerEU: 5
; AccumOffset: 8
; Occupancy: 8
; WaveLimiterHint : 0
; COMPUTE_PGM_RSRC2:SCRATCH_EN: 0
; COMPUTE_PGM_RSRC2:USER_SGPR: 6
; COMPUTE_PGM_RSRC2:TRAP_HANDLER: 0
; COMPUTE_PGM_RSRC2:TGID_X_EN: 1
; COMPUTE_PGM_RSRC2:TGID_Y_EN: 0
; COMPUTE_PGM_RSRC2:TGID_Z_EN: 0
; COMPUTE_PGM_RSRC2:TIDIG_COMP_CNT: 0
; COMPUTE_PGM_RSRC3_GFX90A:ACCUM_OFFSET: 1
; COMPUTE_PGM_RSRC3_GFX90A:TG_SPLIT: 0
	.section	.text._Z18lower_bound_kernelIyEvmPT_Pl,"axG",@progbits,_Z18lower_bound_kernelIyEvmPT_Pl,comdat
	.protected	_Z18lower_bound_kernelIyEvmPT_Pl ; -- Begin function _Z18lower_bound_kernelIyEvmPT_Pl
	.globl	_Z18lower_bound_kernelIyEvmPT_Pl
	.p2align	8
	.type	_Z18lower_bound_kernelIyEvmPT_Pl,@function
_Z18lower_bound_kernelIyEvmPT_Pl:       ; @_Z18lower_bound_kernelIyEvmPT_Pl
; %bb.0:
	s_load_dwordx4 s[8:11], s[4:5], 0x0
	s_load_dwordx2 s[6:7], s[4:5], 0x10
	v_mov_b32_e32 v0, 0
	s_mov_b64 s[2:3], 0
	v_mov_b32_e32 v1, v0
	s_waitcnt lgkmcnt(0)
	v_cmp_lt_i64_e64 s[0:1], s[8:9], 1
	s_and_b64 s[0:1], exec, s[0:1]
	s_mov_b64 vcc, s[0:1]
	global_store_dwordx2 v0, v[0:1], s[6:7]
	s_cbranch_vccnz .LBB24_3
; %bb.1:
	s_mov_b64 s[4:5], s[8:9]
.LBB24_2:                               ; =>This Inner Loop Header: Depth=1
	s_sub_u32 s12, s4, s2
	s_subb_u32 s13, s5, s3
	s_lshr_b32 s14, s13, 31
	s_add_u32 s12, s12, s14
	s_addc_u32 s13, s13, 0
	s_ashr_i64 s[12:13], s[12:13], 1
	s_add_u32 s12, s12, s2
	s_addc_u32 s13, s13, s3
	s_lshl_b64 s[14:15], s[12:13], 3
	s_add_u32 s14, s10, s14
	s_addc_u32 s15, s11, s15
	s_load_dwordx2 s[14:15], s[14:15], 0x0
	s_add_u32 s16, s12, 1
	s_addc_u32 s17, s13, 0
	s_waitcnt lgkmcnt(0)
	s_cmp_eq_u64 s[14:15], 0
	s_cselect_b32 s5, s5, s13
	s_cselect_b32 s4, s4, s12
	;; [unrolled: 1-line block ×4, first 2 shown]
	v_pk_mov_b32 v[0:1], s[4:5], s[4:5] op_sel:[0,1]
	v_cmp_lt_i64_e32 vcc, s[2:3], v[0:1]
	s_cbranch_vccnz .LBB24_2
.LBB24_3:
	v_cmp_gt_i64_e64 s[4:5], s[8:9], 0
	v_cndmask_b32_e64 v3, 0, 1, s[4:5]
	v_mov_b32_e32 v2, 0
	v_pk_mov_b32 v[0:1], s[2:3], s[2:3] op_sel:[0,1]
	v_cmp_ne_u32_e64 s[2:3], 1, v3
	s_andn2_b64 vcc, exec, s[4:5]
	s_mov_b64 s[4:5], 0
	global_store_dwordx2 v2, v[0:1], s[6:7] offset:8
	s_cbranch_vccnz .LBB24_6
; %bb.4:
	s_mov_b64 s[12:13], s[8:9]
.LBB24_5:                               ; =>This Inner Loop Header: Depth=1
	s_sub_u32 s14, s12, s4
	s_subb_u32 s15, s13, s5
	s_lshr_b32 s16, s15, 31
	s_add_u32 s14, s14, s16
	s_addc_u32 s15, s15, 0
	s_ashr_i64 s[14:15], s[14:15], 1
	s_add_u32 s14, s14, s4
	s_addc_u32 s15, s15, s5
	s_lshl_b64 s[16:17], s[14:15], 3
	s_add_u32 s16, s10, s16
	s_addc_u32 s17, s11, s17
	s_load_dwordx2 s[16:17], s[16:17], 0x0
	s_add_u32 s18, s14, 1
	s_addc_u32 s19, s15, 0
	s_waitcnt lgkmcnt(0)
	v_cmp_lt_u64_e64 s[16:17], s[16:17], 2
	s_and_b64 s[16:17], s[16:17], exec
	s_cselect_b32 s13, s13, s15
	s_cselect_b32 s12, s12, s14
	;; [unrolled: 1-line block ×4, first 2 shown]
	v_pk_mov_b32 v[0:1], s[12:13], s[12:13] op_sel:[0,1]
	v_cmp_lt_i64_e32 vcc, s[4:5], v[0:1]
	s_cbranch_vccnz .LBB24_5
.LBB24_6:
	v_mov_b32_e32 v2, 0
	v_pk_mov_b32 v[0:1], s[4:5], s[4:5] op_sel:[0,1]
	s_and_b64 vcc, exec, s[2:3]
	s_mov_b64 s[4:5], 0
	global_store_dwordx2 v2, v[0:1], s[6:7] offset:16
	s_cbranch_vccnz .LBB24_9
; %bb.7:
	s_mov_b64 s[12:13], s[8:9]
.LBB24_8:                               ; =>This Inner Loop Header: Depth=1
	s_sub_u32 s14, s12, s4
	s_subb_u32 s15, s13, s5
	s_lshr_b32 s16, s15, 31
	s_add_u32 s14, s14, s16
	s_addc_u32 s15, s15, 0
	s_ashr_i64 s[14:15], s[14:15], 1
	s_add_u32 s14, s14, s4
	s_addc_u32 s15, s15, s5
	s_lshl_b64 s[16:17], s[14:15], 3
	s_add_u32 s16, s10, s16
	s_addc_u32 s17, s11, s17
	s_load_dwordx2 s[16:17], s[16:17], 0x0
	s_add_u32 s18, s14, 1
	s_addc_u32 s19, s15, 0
	s_waitcnt lgkmcnt(0)
	v_cmp_lt_u64_e64 s[16:17], s[16:17], 3
	s_and_b64 s[16:17], s[16:17], exec
	s_cselect_b32 s13, s13, s15
	s_cselect_b32 s12, s12, s14
	;; [unrolled: 1-line block ×4, first 2 shown]
	v_pk_mov_b32 v[0:1], s[12:13], s[12:13] op_sel:[0,1]
	v_cmp_lt_i64_e32 vcc, s[4:5], v[0:1]
	s_cbranch_vccnz .LBB24_8
.LBB24_9:
	v_mov_b32_e32 v2, 0
	v_pk_mov_b32 v[0:1], s[4:5], s[4:5] op_sel:[0,1]
	s_and_b64 vcc, exec, s[2:3]
	s_mov_b64 s[4:5], 0
	global_store_dwordx2 v2, v[0:1], s[6:7] offset:24
	s_cbranch_vccnz .LBB24_12
; %bb.10:
	s_mov_b64 s[12:13], s[8:9]
.LBB24_11:                              ; =>This Inner Loop Header: Depth=1
	s_sub_u32 s14, s12, s4
	s_subb_u32 s15, s13, s5
	s_lshr_b32 s16, s15, 31
	s_add_u32 s14, s14, s16
	s_addc_u32 s15, s15, 0
	s_ashr_i64 s[14:15], s[14:15], 1
	s_add_u32 s14, s14, s4
	s_addc_u32 s15, s15, s5
	s_lshl_b64 s[16:17], s[14:15], 3
	s_add_u32 s16, s10, s16
	s_addc_u32 s17, s11, s17
	s_load_dwordx2 s[16:17], s[16:17], 0x0
	s_add_u32 s18, s14, 1
	s_addc_u32 s19, s15, 0
	s_waitcnt lgkmcnt(0)
	v_cmp_lt_u64_e64 s[16:17], s[16:17], 4
	s_and_b64 s[16:17], s[16:17], exec
	s_cselect_b32 s13, s13, s15
	s_cselect_b32 s12, s12, s14
	s_cselect_b32 s5, s19, s5
	s_cselect_b32 s4, s18, s4
	v_pk_mov_b32 v[0:1], s[12:13], s[12:13] op_sel:[0,1]
	v_cmp_lt_i64_e32 vcc, s[4:5], v[0:1]
	s_cbranch_vccnz .LBB24_11
.LBB24_12:
	v_mov_b32_e32 v2, 0
	v_pk_mov_b32 v[0:1], s[4:5], s[4:5] op_sel:[0,1]
	s_and_b64 vcc, exec, s[2:3]
	s_mov_b64 s[4:5], 0
	global_store_dwordx2 v2, v[0:1], s[6:7] offset:32
	s_cbranch_vccnz .LBB24_15
; %bb.13:
	s_mov_b64 s[12:13], s[8:9]
.LBB24_14:                              ; =>This Inner Loop Header: Depth=1
	s_sub_u32 s14, s12, s4
	s_subb_u32 s15, s13, s5
	s_lshr_b32 s16, s15, 31
	s_add_u32 s14, s14, s16
	s_addc_u32 s15, s15, 0
	s_ashr_i64 s[14:15], s[14:15], 1
	s_add_u32 s14, s14, s4
	s_addc_u32 s15, s15, s5
	s_lshl_b64 s[16:17], s[14:15], 3
	s_add_u32 s16, s10, s16
	s_addc_u32 s17, s11, s17
	s_load_dwordx2 s[16:17], s[16:17], 0x0
	s_add_u32 s18, s14, 1
	s_addc_u32 s19, s15, 0
	s_waitcnt lgkmcnt(0)
	v_cmp_lt_u64_e64 s[16:17], s[16:17], 5
	s_and_b64 s[16:17], s[16:17], exec
	s_cselect_b32 s13, s13, s15
	s_cselect_b32 s12, s12, s14
	s_cselect_b32 s5, s19, s5
	s_cselect_b32 s4, s18, s4
	v_pk_mov_b32 v[0:1], s[12:13], s[12:13] op_sel:[0,1]
	v_cmp_lt_i64_e32 vcc, s[4:5], v[0:1]
	s_cbranch_vccnz .LBB24_14
.LBB24_15:
	;; [unrolled: 34-line block ×4, first 2 shown]
	v_mov_b32_e32 v0, 0
	v_pk_mov_b32 v[2:3], s[2:3], s[2:3] op_sel:[0,1]
	s_mov_b64 vcc, s[0:1]
	global_store_dwordx2 v0, v[2:3], s[6:7] offset:56
	s_cbranch_vccz .LBB24_23
; %bb.22:
	v_mov_b32_e32 v1, v0
	global_store_dwordx2 v0, v[0:1], s[6:7] offset:64
	s_mov_b64 s[0:1], 0
	s_cbranch_execz .LBB24_24
	s_branch .LBB24_28
.LBB24_23:
                                        ; implicit-def: $sgpr0_sgpr1
.LBB24_24:
	s_mov_b64 s[0:1], 0
	s_mov_b64 s[2:3], s[8:9]
.LBB24_25:                              ; =>This Inner Loop Header: Depth=1
	s_sub_u32 s4, s2, s0
	s_subb_u32 s5, s3, s1
	s_lshr_b32 s12, s5, 31
	s_add_u32 s4, s4, s12
	s_addc_u32 s5, s5, 0
	s_ashr_i64 s[4:5], s[4:5], 1
	s_add_u32 s4, s4, s0
	s_addc_u32 s5, s5, s1
	s_lshl_b64 s[12:13], s[4:5], 3
	s_add_u32 s12, s10, s12
	s_addc_u32 s13, s11, s13
	s_load_dwordx2 s[12:13], s[12:13], 0x0
	s_add_u32 s14, s4, 1
	s_addc_u32 s15, s5, 0
	s_waitcnt lgkmcnt(0)
	v_cmp_lt_u64_e64 s[12:13], s[12:13], 8
	s_and_b64 s[12:13], s[12:13], exec
	s_cselect_b32 s3, s3, s5
	s_cselect_b32 s2, s2, s4
	;; [unrolled: 1-line block ×4, first 2 shown]
	v_pk_mov_b32 v[0:1], s[2:3], s[2:3] op_sel:[0,1]
	v_cmp_lt_i64_e32 vcc, s[0:1], v[0:1]
	s_cbranch_vccnz .LBB24_25
; %bb.26:
	v_mov_b32_e32 v2, 0
	v_pk_mov_b32 v[0:1], s[0:1], s[0:1] op_sel:[0,1]
	s_mov_b64 s[0:1], 0
	global_store_dwordx2 v2, v[0:1], s[6:7] offset:64
.LBB24_27:                              ; =>This Inner Loop Header: Depth=1
	s_sub_u32 s2, s8, s0
	s_subb_u32 s3, s9, s1
	s_lshr_b32 s4, s3, 31
	s_add_u32 s2, s2, s4
	s_addc_u32 s3, s3, 0
	s_ashr_i64 s[2:3], s[2:3], 1
	s_add_u32 s2, s2, s0
	s_addc_u32 s3, s3, s1
	s_lshl_b64 s[4:5], s[2:3], 3
	s_add_u32 s4, s10, s4
	s_addc_u32 s5, s11, s5
	s_load_dwordx2 s[4:5], s[4:5], 0x0
	s_add_u32 s12, s2, 1
	s_addc_u32 s13, s3, 0
	s_waitcnt lgkmcnt(0)
	v_cmp_lt_u64_e64 s[4:5], s[4:5], 9
	s_and_b64 s[4:5], s[4:5], exec
	s_cselect_b32 s9, s9, s3
	s_cselect_b32 s8, s8, s2
	;; [unrolled: 1-line block ×4, first 2 shown]
	v_pk_mov_b32 v[0:1], s[8:9], s[8:9] op_sel:[0,1]
	v_cmp_ge_i64_e32 vcc, s[0:1], v[0:1]
	s_cbranch_vccz .LBB24_27
.LBB24_28:
	v_mov_b32_e32 v2, 0
	v_pk_mov_b32 v[0:1], s[0:1], s[0:1] op_sel:[0,1]
	global_store_dwordx2 v2, v[0:1], s[6:7] offset:72
	s_endpgm
	.section	.rodata,"a",@progbits
	.p2align	6, 0x0
	.amdhsa_kernel _Z18lower_bound_kernelIyEvmPT_Pl
		.amdhsa_group_segment_fixed_size 0
		.amdhsa_private_segment_fixed_size 0
		.amdhsa_kernarg_size 24
		.amdhsa_user_sgpr_count 6
		.amdhsa_user_sgpr_private_segment_buffer 1
		.amdhsa_user_sgpr_dispatch_ptr 0
		.amdhsa_user_sgpr_queue_ptr 0
		.amdhsa_user_sgpr_kernarg_segment_ptr 1
		.amdhsa_user_sgpr_dispatch_id 0
		.amdhsa_user_sgpr_flat_scratch_init 0
		.amdhsa_user_sgpr_kernarg_preload_length 0
		.amdhsa_user_sgpr_kernarg_preload_offset 0
		.amdhsa_user_sgpr_private_segment_size 0
		.amdhsa_uses_dynamic_stack 0
		.amdhsa_system_sgpr_private_segment_wavefront_offset 0
		.amdhsa_system_sgpr_workgroup_id_x 1
		.amdhsa_system_sgpr_workgroup_id_y 0
		.amdhsa_system_sgpr_workgroup_id_z 0
		.amdhsa_system_sgpr_workgroup_info 0
		.amdhsa_system_vgpr_workitem_id 0
		.amdhsa_next_free_vgpr 4
		.amdhsa_next_free_sgpr 20
		.amdhsa_accum_offset 4
		.amdhsa_reserve_vcc 1
		.amdhsa_reserve_flat_scratch 0
		.amdhsa_float_round_mode_32 0
		.amdhsa_float_round_mode_16_64 0
		.amdhsa_float_denorm_mode_32 3
		.amdhsa_float_denorm_mode_16_64 3
		.amdhsa_dx10_clamp 1
		.amdhsa_ieee_mode 1
		.amdhsa_fp16_overflow 0
		.amdhsa_tg_split 0
		.amdhsa_exception_fp_ieee_invalid_op 0
		.amdhsa_exception_fp_denorm_src 0
		.amdhsa_exception_fp_ieee_div_zero 0
		.amdhsa_exception_fp_ieee_overflow 0
		.amdhsa_exception_fp_ieee_underflow 0
		.amdhsa_exception_fp_ieee_inexact 0
		.amdhsa_exception_int_div_zero 0
	.end_amdhsa_kernel
	.section	.text._Z18lower_bound_kernelIyEvmPT_Pl,"axG",@progbits,_Z18lower_bound_kernelIyEvmPT_Pl,comdat
.Lfunc_end24:
	.size	_Z18lower_bound_kernelIyEvmPT_Pl, .Lfunc_end24-_Z18lower_bound_kernelIyEvmPT_Pl
                                        ; -- End function
	.section	.AMDGPU.csdata,"",@progbits
; Kernel info:
; codeLenInByte = 1376
; NumSgprs: 24
; NumVgprs: 4
; NumAgprs: 0
; TotalNumVgprs: 4
; ScratchSize: 0
; MemoryBound: 0
; FloatMode: 240
; IeeeMode: 1
; LDSByteSize: 0 bytes/workgroup (compile time only)
; SGPRBlocks: 2
; VGPRBlocks: 0
; NumSGPRsForWavesPerEU: 24
; NumVGPRsForWavesPerEU: 4
; AccumOffset: 4
; Occupancy: 8
; WaveLimiterHint : 0
; COMPUTE_PGM_RSRC2:SCRATCH_EN: 0
; COMPUTE_PGM_RSRC2:USER_SGPR: 6
; COMPUTE_PGM_RSRC2:TRAP_HANDLER: 0
; COMPUTE_PGM_RSRC2:TGID_X_EN: 1
; COMPUTE_PGM_RSRC2:TGID_Y_EN: 0
; COMPUTE_PGM_RSRC2:TGID_Z_EN: 0
; COMPUTE_PGM_RSRC2:TIDIG_COMP_CNT: 0
; COMPUTE_PGM_RSRC3_GFX90A:ACCUM_OFFSET: 0
; COMPUTE_PGM_RSRC3_GFX90A:TG_SPLIT: 0
	.section	.text._ZN7rocprim17ROCPRIM_400000_NS6detail17trampoline_kernelINS0_14default_configENS1_27lower_bound_config_selectorIylEEZNS1_14transform_implILb0ES3_S5_N6thrust23THRUST_200600_302600_NS17counting_iteratorIyNS8_11use_defaultESA_SA_EEPlZNS1_13binary_searchIS3_S5_PySB_SC_NS1_21lower_bound_search_opENS8_6detail16wrapped_functionI11custom_lessbEEEE10hipError_tPvRmT1_T2_T3_mmT4_T5_P12ihipStream_tbEUlRKyE_EESK_SO_SP_mSQ_ST_bEUlT_E_NS1_11comp_targetILNS1_3genE0ELNS1_11target_archE4294967295ELNS1_3gpuE0ELNS1_3repE0EEENS1_30default_config_static_selectorELNS0_4arch9wavefront6targetE1EEEvSN_,"axG",@progbits,_ZN7rocprim17ROCPRIM_400000_NS6detail17trampoline_kernelINS0_14default_configENS1_27lower_bound_config_selectorIylEEZNS1_14transform_implILb0ES3_S5_N6thrust23THRUST_200600_302600_NS17counting_iteratorIyNS8_11use_defaultESA_SA_EEPlZNS1_13binary_searchIS3_S5_PySB_SC_NS1_21lower_bound_search_opENS8_6detail16wrapped_functionI11custom_lessbEEEE10hipError_tPvRmT1_T2_T3_mmT4_T5_P12ihipStream_tbEUlRKyE_EESK_SO_SP_mSQ_ST_bEUlT_E_NS1_11comp_targetILNS1_3genE0ELNS1_11target_archE4294967295ELNS1_3gpuE0ELNS1_3repE0EEENS1_30default_config_static_selectorELNS0_4arch9wavefront6targetE1EEEvSN_,comdat
	.protected	_ZN7rocprim17ROCPRIM_400000_NS6detail17trampoline_kernelINS0_14default_configENS1_27lower_bound_config_selectorIylEEZNS1_14transform_implILb0ES3_S5_N6thrust23THRUST_200600_302600_NS17counting_iteratorIyNS8_11use_defaultESA_SA_EEPlZNS1_13binary_searchIS3_S5_PySB_SC_NS1_21lower_bound_search_opENS8_6detail16wrapped_functionI11custom_lessbEEEE10hipError_tPvRmT1_T2_T3_mmT4_T5_P12ihipStream_tbEUlRKyE_EESK_SO_SP_mSQ_ST_bEUlT_E_NS1_11comp_targetILNS1_3genE0ELNS1_11target_archE4294967295ELNS1_3gpuE0ELNS1_3repE0EEENS1_30default_config_static_selectorELNS0_4arch9wavefront6targetE1EEEvSN_ ; -- Begin function _ZN7rocprim17ROCPRIM_400000_NS6detail17trampoline_kernelINS0_14default_configENS1_27lower_bound_config_selectorIylEEZNS1_14transform_implILb0ES3_S5_N6thrust23THRUST_200600_302600_NS17counting_iteratorIyNS8_11use_defaultESA_SA_EEPlZNS1_13binary_searchIS3_S5_PySB_SC_NS1_21lower_bound_search_opENS8_6detail16wrapped_functionI11custom_lessbEEEE10hipError_tPvRmT1_T2_T3_mmT4_T5_P12ihipStream_tbEUlRKyE_EESK_SO_SP_mSQ_ST_bEUlT_E_NS1_11comp_targetILNS1_3genE0ELNS1_11target_archE4294967295ELNS1_3gpuE0ELNS1_3repE0EEENS1_30default_config_static_selectorELNS0_4arch9wavefront6targetE1EEEvSN_
	.globl	_ZN7rocprim17ROCPRIM_400000_NS6detail17trampoline_kernelINS0_14default_configENS1_27lower_bound_config_selectorIylEEZNS1_14transform_implILb0ES3_S5_N6thrust23THRUST_200600_302600_NS17counting_iteratorIyNS8_11use_defaultESA_SA_EEPlZNS1_13binary_searchIS3_S5_PySB_SC_NS1_21lower_bound_search_opENS8_6detail16wrapped_functionI11custom_lessbEEEE10hipError_tPvRmT1_T2_T3_mmT4_T5_P12ihipStream_tbEUlRKyE_EESK_SO_SP_mSQ_ST_bEUlT_E_NS1_11comp_targetILNS1_3genE0ELNS1_11target_archE4294967295ELNS1_3gpuE0ELNS1_3repE0EEENS1_30default_config_static_selectorELNS0_4arch9wavefront6targetE1EEEvSN_
	.p2align	8
	.type	_ZN7rocprim17ROCPRIM_400000_NS6detail17trampoline_kernelINS0_14default_configENS1_27lower_bound_config_selectorIylEEZNS1_14transform_implILb0ES3_S5_N6thrust23THRUST_200600_302600_NS17counting_iteratorIyNS8_11use_defaultESA_SA_EEPlZNS1_13binary_searchIS3_S5_PySB_SC_NS1_21lower_bound_search_opENS8_6detail16wrapped_functionI11custom_lessbEEEE10hipError_tPvRmT1_T2_T3_mmT4_T5_P12ihipStream_tbEUlRKyE_EESK_SO_SP_mSQ_ST_bEUlT_E_NS1_11comp_targetILNS1_3genE0ELNS1_11target_archE4294967295ELNS1_3gpuE0ELNS1_3repE0EEENS1_30default_config_static_selectorELNS0_4arch9wavefront6targetE1EEEvSN_,@function
_ZN7rocprim17ROCPRIM_400000_NS6detail17trampoline_kernelINS0_14default_configENS1_27lower_bound_config_selectorIylEEZNS1_14transform_implILb0ES3_S5_N6thrust23THRUST_200600_302600_NS17counting_iteratorIyNS8_11use_defaultESA_SA_EEPlZNS1_13binary_searchIS3_S5_PySB_SC_NS1_21lower_bound_search_opENS8_6detail16wrapped_functionI11custom_lessbEEEE10hipError_tPvRmT1_T2_T3_mmT4_T5_P12ihipStream_tbEUlRKyE_EESK_SO_SP_mSQ_ST_bEUlT_E_NS1_11comp_targetILNS1_3genE0ELNS1_11target_archE4294967295ELNS1_3gpuE0ELNS1_3repE0EEENS1_30default_config_static_selectorELNS0_4arch9wavefront6targetE1EEEvSN_: ; @_ZN7rocprim17ROCPRIM_400000_NS6detail17trampoline_kernelINS0_14default_configENS1_27lower_bound_config_selectorIylEEZNS1_14transform_implILb0ES3_S5_N6thrust23THRUST_200600_302600_NS17counting_iteratorIyNS8_11use_defaultESA_SA_EEPlZNS1_13binary_searchIS3_S5_PySB_SC_NS1_21lower_bound_search_opENS8_6detail16wrapped_functionI11custom_lessbEEEE10hipError_tPvRmT1_T2_T3_mmT4_T5_P12ihipStream_tbEUlRKyE_EESK_SO_SP_mSQ_ST_bEUlT_E_NS1_11comp_targetILNS1_3genE0ELNS1_11target_archE4294967295ELNS1_3gpuE0ELNS1_3repE0EEENS1_30default_config_static_selectorELNS0_4arch9wavefront6targetE1EEEvSN_
; %bb.0:
	.section	.rodata,"a",@progbits
	.p2align	6, 0x0
	.amdhsa_kernel _ZN7rocprim17ROCPRIM_400000_NS6detail17trampoline_kernelINS0_14default_configENS1_27lower_bound_config_selectorIylEEZNS1_14transform_implILb0ES3_S5_N6thrust23THRUST_200600_302600_NS17counting_iteratorIyNS8_11use_defaultESA_SA_EEPlZNS1_13binary_searchIS3_S5_PySB_SC_NS1_21lower_bound_search_opENS8_6detail16wrapped_functionI11custom_lessbEEEE10hipError_tPvRmT1_T2_T3_mmT4_T5_P12ihipStream_tbEUlRKyE_EESK_SO_SP_mSQ_ST_bEUlT_E_NS1_11comp_targetILNS1_3genE0ELNS1_11target_archE4294967295ELNS1_3gpuE0ELNS1_3repE0EEENS1_30default_config_static_selectorELNS0_4arch9wavefront6targetE1EEEvSN_
		.amdhsa_group_segment_fixed_size 0
		.amdhsa_private_segment_fixed_size 0
		.amdhsa_kernarg_size 56
		.amdhsa_user_sgpr_count 6
		.amdhsa_user_sgpr_private_segment_buffer 1
		.amdhsa_user_sgpr_dispatch_ptr 0
		.amdhsa_user_sgpr_queue_ptr 0
		.amdhsa_user_sgpr_kernarg_segment_ptr 1
		.amdhsa_user_sgpr_dispatch_id 0
		.amdhsa_user_sgpr_flat_scratch_init 0
		.amdhsa_user_sgpr_kernarg_preload_length 0
		.amdhsa_user_sgpr_kernarg_preload_offset 0
		.amdhsa_user_sgpr_private_segment_size 0
		.amdhsa_uses_dynamic_stack 0
		.amdhsa_system_sgpr_private_segment_wavefront_offset 0
		.amdhsa_system_sgpr_workgroup_id_x 1
		.amdhsa_system_sgpr_workgroup_id_y 0
		.amdhsa_system_sgpr_workgroup_id_z 0
		.amdhsa_system_sgpr_workgroup_info 0
		.amdhsa_system_vgpr_workitem_id 0
		.amdhsa_next_free_vgpr 1
		.amdhsa_next_free_sgpr 0
		.amdhsa_accum_offset 4
		.amdhsa_reserve_vcc 0
		.amdhsa_reserve_flat_scratch 0
		.amdhsa_float_round_mode_32 0
		.amdhsa_float_round_mode_16_64 0
		.amdhsa_float_denorm_mode_32 3
		.amdhsa_float_denorm_mode_16_64 3
		.amdhsa_dx10_clamp 1
		.amdhsa_ieee_mode 1
		.amdhsa_fp16_overflow 0
		.amdhsa_tg_split 0
		.amdhsa_exception_fp_ieee_invalid_op 0
		.amdhsa_exception_fp_denorm_src 0
		.amdhsa_exception_fp_ieee_div_zero 0
		.amdhsa_exception_fp_ieee_overflow 0
		.amdhsa_exception_fp_ieee_underflow 0
		.amdhsa_exception_fp_ieee_inexact 0
		.amdhsa_exception_int_div_zero 0
	.end_amdhsa_kernel
	.section	.text._ZN7rocprim17ROCPRIM_400000_NS6detail17trampoline_kernelINS0_14default_configENS1_27lower_bound_config_selectorIylEEZNS1_14transform_implILb0ES3_S5_N6thrust23THRUST_200600_302600_NS17counting_iteratorIyNS8_11use_defaultESA_SA_EEPlZNS1_13binary_searchIS3_S5_PySB_SC_NS1_21lower_bound_search_opENS8_6detail16wrapped_functionI11custom_lessbEEEE10hipError_tPvRmT1_T2_T3_mmT4_T5_P12ihipStream_tbEUlRKyE_EESK_SO_SP_mSQ_ST_bEUlT_E_NS1_11comp_targetILNS1_3genE0ELNS1_11target_archE4294967295ELNS1_3gpuE0ELNS1_3repE0EEENS1_30default_config_static_selectorELNS0_4arch9wavefront6targetE1EEEvSN_,"axG",@progbits,_ZN7rocprim17ROCPRIM_400000_NS6detail17trampoline_kernelINS0_14default_configENS1_27lower_bound_config_selectorIylEEZNS1_14transform_implILb0ES3_S5_N6thrust23THRUST_200600_302600_NS17counting_iteratorIyNS8_11use_defaultESA_SA_EEPlZNS1_13binary_searchIS3_S5_PySB_SC_NS1_21lower_bound_search_opENS8_6detail16wrapped_functionI11custom_lessbEEEE10hipError_tPvRmT1_T2_T3_mmT4_T5_P12ihipStream_tbEUlRKyE_EESK_SO_SP_mSQ_ST_bEUlT_E_NS1_11comp_targetILNS1_3genE0ELNS1_11target_archE4294967295ELNS1_3gpuE0ELNS1_3repE0EEENS1_30default_config_static_selectorELNS0_4arch9wavefront6targetE1EEEvSN_,comdat
.Lfunc_end25:
	.size	_ZN7rocprim17ROCPRIM_400000_NS6detail17trampoline_kernelINS0_14default_configENS1_27lower_bound_config_selectorIylEEZNS1_14transform_implILb0ES3_S5_N6thrust23THRUST_200600_302600_NS17counting_iteratorIyNS8_11use_defaultESA_SA_EEPlZNS1_13binary_searchIS3_S5_PySB_SC_NS1_21lower_bound_search_opENS8_6detail16wrapped_functionI11custom_lessbEEEE10hipError_tPvRmT1_T2_T3_mmT4_T5_P12ihipStream_tbEUlRKyE_EESK_SO_SP_mSQ_ST_bEUlT_E_NS1_11comp_targetILNS1_3genE0ELNS1_11target_archE4294967295ELNS1_3gpuE0ELNS1_3repE0EEENS1_30default_config_static_selectorELNS0_4arch9wavefront6targetE1EEEvSN_, .Lfunc_end25-_ZN7rocprim17ROCPRIM_400000_NS6detail17trampoline_kernelINS0_14default_configENS1_27lower_bound_config_selectorIylEEZNS1_14transform_implILb0ES3_S5_N6thrust23THRUST_200600_302600_NS17counting_iteratorIyNS8_11use_defaultESA_SA_EEPlZNS1_13binary_searchIS3_S5_PySB_SC_NS1_21lower_bound_search_opENS8_6detail16wrapped_functionI11custom_lessbEEEE10hipError_tPvRmT1_T2_T3_mmT4_T5_P12ihipStream_tbEUlRKyE_EESK_SO_SP_mSQ_ST_bEUlT_E_NS1_11comp_targetILNS1_3genE0ELNS1_11target_archE4294967295ELNS1_3gpuE0ELNS1_3repE0EEENS1_30default_config_static_selectorELNS0_4arch9wavefront6targetE1EEEvSN_
                                        ; -- End function
	.section	.AMDGPU.csdata,"",@progbits
; Kernel info:
; codeLenInByte = 0
; NumSgprs: 4
; NumVgprs: 0
; NumAgprs: 0
; TotalNumVgprs: 0
; ScratchSize: 0
; MemoryBound: 0
; FloatMode: 240
; IeeeMode: 1
; LDSByteSize: 0 bytes/workgroup (compile time only)
; SGPRBlocks: 0
; VGPRBlocks: 0
; NumSGPRsForWavesPerEU: 4
; NumVGPRsForWavesPerEU: 1
; AccumOffset: 4
; Occupancy: 8
; WaveLimiterHint : 0
; COMPUTE_PGM_RSRC2:SCRATCH_EN: 0
; COMPUTE_PGM_RSRC2:USER_SGPR: 6
; COMPUTE_PGM_RSRC2:TRAP_HANDLER: 0
; COMPUTE_PGM_RSRC2:TGID_X_EN: 1
; COMPUTE_PGM_RSRC2:TGID_Y_EN: 0
; COMPUTE_PGM_RSRC2:TGID_Z_EN: 0
; COMPUTE_PGM_RSRC2:TIDIG_COMP_CNT: 0
; COMPUTE_PGM_RSRC3_GFX90A:ACCUM_OFFSET: 0
; COMPUTE_PGM_RSRC3_GFX90A:TG_SPLIT: 0
	.section	.text._ZN7rocprim17ROCPRIM_400000_NS6detail17trampoline_kernelINS0_14default_configENS1_27lower_bound_config_selectorIylEEZNS1_14transform_implILb0ES3_S5_N6thrust23THRUST_200600_302600_NS17counting_iteratorIyNS8_11use_defaultESA_SA_EEPlZNS1_13binary_searchIS3_S5_PySB_SC_NS1_21lower_bound_search_opENS8_6detail16wrapped_functionI11custom_lessbEEEE10hipError_tPvRmT1_T2_T3_mmT4_T5_P12ihipStream_tbEUlRKyE_EESK_SO_SP_mSQ_ST_bEUlT_E_NS1_11comp_targetILNS1_3genE5ELNS1_11target_archE942ELNS1_3gpuE9ELNS1_3repE0EEENS1_30default_config_static_selectorELNS0_4arch9wavefront6targetE1EEEvSN_,"axG",@progbits,_ZN7rocprim17ROCPRIM_400000_NS6detail17trampoline_kernelINS0_14default_configENS1_27lower_bound_config_selectorIylEEZNS1_14transform_implILb0ES3_S5_N6thrust23THRUST_200600_302600_NS17counting_iteratorIyNS8_11use_defaultESA_SA_EEPlZNS1_13binary_searchIS3_S5_PySB_SC_NS1_21lower_bound_search_opENS8_6detail16wrapped_functionI11custom_lessbEEEE10hipError_tPvRmT1_T2_T3_mmT4_T5_P12ihipStream_tbEUlRKyE_EESK_SO_SP_mSQ_ST_bEUlT_E_NS1_11comp_targetILNS1_3genE5ELNS1_11target_archE942ELNS1_3gpuE9ELNS1_3repE0EEENS1_30default_config_static_selectorELNS0_4arch9wavefront6targetE1EEEvSN_,comdat
	.protected	_ZN7rocprim17ROCPRIM_400000_NS6detail17trampoline_kernelINS0_14default_configENS1_27lower_bound_config_selectorIylEEZNS1_14transform_implILb0ES3_S5_N6thrust23THRUST_200600_302600_NS17counting_iteratorIyNS8_11use_defaultESA_SA_EEPlZNS1_13binary_searchIS3_S5_PySB_SC_NS1_21lower_bound_search_opENS8_6detail16wrapped_functionI11custom_lessbEEEE10hipError_tPvRmT1_T2_T3_mmT4_T5_P12ihipStream_tbEUlRKyE_EESK_SO_SP_mSQ_ST_bEUlT_E_NS1_11comp_targetILNS1_3genE5ELNS1_11target_archE942ELNS1_3gpuE9ELNS1_3repE0EEENS1_30default_config_static_selectorELNS0_4arch9wavefront6targetE1EEEvSN_ ; -- Begin function _ZN7rocprim17ROCPRIM_400000_NS6detail17trampoline_kernelINS0_14default_configENS1_27lower_bound_config_selectorIylEEZNS1_14transform_implILb0ES3_S5_N6thrust23THRUST_200600_302600_NS17counting_iteratorIyNS8_11use_defaultESA_SA_EEPlZNS1_13binary_searchIS3_S5_PySB_SC_NS1_21lower_bound_search_opENS8_6detail16wrapped_functionI11custom_lessbEEEE10hipError_tPvRmT1_T2_T3_mmT4_T5_P12ihipStream_tbEUlRKyE_EESK_SO_SP_mSQ_ST_bEUlT_E_NS1_11comp_targetILNS1_3genE5ELNS1_11target_archE942ELNS1_3gpuE9ELNS1_3repE0EEENS1_30default_config_static_selectorELNS0_4arch9wavefront6targetE1EEEvSN_
	.globl	_ZN7rocprim17ROCPRIM_400000_NS6detail17trampoline_kernelINS0_14default_configENS1_27lower_bound_config_selectorIylEEZNS1_14transform_implILb0ES3_S5_N6thrust23THRUST_200600_302600_NS17counting_iteratorIyNS8_11use_defaultESA_SA_EEPlZNS1_13binary_searchIS3_S5_PySB_SC_NS1_21lower_bound_search_opENS8_6detail16wrapped_functionI11custom_lessbEEEE10hipError_tPvRmT1_T2_T3_mmT4_T5_P12ihipStream_tbEUlRKyE_EESK_SO_SP_mSQ_ST_bEUlT_E_NS1_11comp_targetILNS1_3genE5ELNS1_11target_archE942ELNS1_3gpuE9ELNS1_3repE0EEENS1_30default_config_static_selectorELNS0_4arch9wavefront6targetE1EEEvSN_
	.p2align	8
	.type	_ZN7rocprim17ROCPRIM_400000_NS6detail17trampoline_kernelINS0_14default_configENS1_27lower_bound_config_selectorIylEEZNS1_14transform_implILb0ES3_S5_N6thrust23THRUST_200600_302600_NS17counting_iteratorIyNS8_11use_defaultESA_SA_EEPlZNS1_13binary_searchIS3_S5_PySB_SC_NS1_21lower_bound_search_opENS8_6detail16wrapped_functionI11custom_lessbEEEE10hipError_tPvRmT1_T2_T3_mmT4_T5_P12ihipStream_tbEUlRKyE_EESK_SO_SP_mSQ_ST_bEUlT_E_NS1_11comp_targetILNS1_3genE5ELNS1_11target_archE942ELNS1_3gpuE9ELNS1_3repE0EEENS1_30default_config_static_selectorELNS0_4arch9wavefront6targetE1EEEvSN_,@function
_ZN7rocprim17ROCPRIM_400000_NS6detail17trampoline_kernelINS0_14default_configENS1_27lower_bound_config_selectorIylEEZNS1_14transform_implILb0ES3_S5_N6thrust23THRUST_200600_302600_NS17counting_iteratorIyNS8_11use_defaultESA_SA_EEPlZNS1_13binary_searchIS3_S5_PySB_SC_NS1_21lower_bound_search_opENS8_6detail16wrapped_functionI11custom_lessbEEEE10hipError_tPvRmT1_T2_T3_mmT4_T5_P12ihipStream_tbEUlRKyE_EESK_SO_SP_mSQ_ST_bEUlT_E_NS1_11comp_targetILNS1_3genE5ELNS1_11target_archE942ELNS1_3gpuE9ELNS1_3repE0EEENS1_30default_config_static_selectorELNS0_4arch9wavefront6targetE1EEEvSN_: ; @_ZN7rocprim17ROCPRIM_400000_NS6detail17trampoline_kernelINS0_14default_configENS1_27lower_bound_config_selectorIylEEZNS1_14transform_implILb0ES3_S5_N6thrust23THRUST_200600_302600_NS17counting_iteratorIyNS8_11use_defaultESA_SA_EEPlZNS1_13binary_searchIS3_S5_PySB_SC_NS1_21lower_bound_search_opENS8_6detail16wrapped_functionI11custom_lessbEEEE10hipError_tPvRmT1_T2_T3_mmT4_T5_P12ihipStream_tbEUlRKyE_EESK_SO_SP_mSQ_ST_bEUlT_E_NS1_11comp_targetILNS1_3genE5ELNS1_11target_archE942ELNS1_3gpuE9ELNS1_3repE0EEENS1_30default_config_static_selectorELNS0_4arch9wavefront6targetE1EEEvSN_
; %bb.0:
	.section	.rodata,"a",@progbits
	.p2align	6, 0x0
	.amdhsa_kernel _ZN7rocprim17ROCPRIM_400000_NS6detail17trampoline_kernelINS0_14default_configENS1_27lower_bound_config_selectorIylEEZNS1_14transform_implILb0ES3_S5_N6thrust23THRUST_200600_302600_NS17counting_iteratorIyNS8_11use_defaultESA_SA_EEPlZNS1_13binary_searchIS3_S5_PySB_SC_NS1_21lower_bound_search_opENS8_6detail16wrapped_functionI11custom_lessbEEEE10hipError_tPvRmT1_T2_T3_mmT4_T5_P12ihipStream_tbEUlRKyE_EESK_SO_SP_mSQ_ST_bEUlT_E_NS1_11comp_targetILNS1_3genE5ELNS1_11target_archE942ELNS1_3gpuE9ELNS1_3repE0EEENS1_30default_config_static_selectorELNS0_4arch9wavefront6targetE1EEEvSN_
		.amdhsa_group_segment_fixed_size 0
		.amdhsa_private_segment_fixed_size 0
		.amdhsa_kernarg_size 56
		.amdhsa_user_sgpr_count 6
		.amdhsa_user_sgpr_private_segment_buffer 1
		.amdhsa_user_sgpr_dispatch_ptr 0
		.amdhsa_user_sgpr_queue_ptr 0
		.amdhsa_user_sgpr_kernarg_segment_ptr 1
		.amdhsa_user_sgpr_dispatch_id 0
		.amdhsa_user_sgpr_flat_scratch_init 0
		.amdhsa_user_sgpr_kernarg_preload_length 0
		.amdhsa_user_sgpr_kernarg_preload_offset 0
		.amdhsa_user_sgpr_private_segment_size 0
		.amdhsa_uses_dynamic_stack 0
		.amdhsa_system_sgpr_private_segment_wavefront_offset 0
		.amdhsa_system_sgpr_workgroup_id_x 1
		.amdhsa_system_sgpr_workgroup_id_y 0
		.amdhsa_system_sgpr_workgroup_id_z 0
		.amdhsa_system_sgpr_workgroup_info 0
		.amdhsa_system_vgpr_workitem_id 0
		.amdhsa_next_free_vgpr 1
		.amdhsa_next_free_sgpr 0
		.amdhsa_accum_offset 4
		.amdhsa_reserve_vcc 0
		.amdhsa_reserve_flat_scratch 0
		.amdhsa_float_round_mode_32 0
		.amdhsa_float_round_mode_16_64 0
		.amdhsa_float_denorm_mode_32 3
		.amdhsa_float_denorm_mode_16_64 3
		.amdhsa_dx10_clamp 1
		.amdhsa_ieee_mode 1
		.amdhsa_fp16_overflow 0
		.amdhsa_tg_split 0
		.amdhsa_exception_fp_ieee_invalid_op 0
		.amdhsa_exception_fp_denorm_src 0
		.amdhsa_exception_fp_ieee_div_zero 0
		.amdhsa_exception_fp_ieee_overflow 0
		.amdhsa_exception_fp_ieee_underflow 0
		.amdhsa_exception_fp_ieee_inexact 0
		.amdhsa_exception_int_div_zero 0
	.end_amdhsa_kernel
	.section	.text._ZN7rocprim17ROCPRIM_400000_NS6detail17trampoline_kernelINS0_14default_configENS1_27lower_bound_config_selectorIylEEZNS1_14transform_implILb0ES3_S5_N6thrust23THRUST_200600_302600_NS17counting_iteratorIyNS8_11use_defaultESA_SA_EEPlZNS1_13binary_searchIS3_S5_PySB_SC_NS1_21lower_bound_search_opENS8_6detail16wrapped_functionI11custom_lessbEEEE10hipError_tPvRmT1_T2_T3_mmT4_T5_P12ihipStream_tbEUlRKyE_EESK_SO_SP_mSQ_ST_bEUlT_E_NS1_11comp_targetILNS1_3genE5ELNS1_11target_archE942ELNS1_3gpuE9ELNS1_3repE0EEENS1_30default_config_static_selectorELNS0_4arch9wavefront6targetE1EEEvSN_,"axG",@progbits,_ZN7rocprim17ROCPRIM_400000_NS6detail17trampoline_kernelINS0_14default_configENS1_27lower_bound_config_selectorIylEEZNS1_14transform_implILb0ES3_S5_N6thrust23THRUST_200600_302600_NS17counting_iteratorIyNS8_11use_defaultESA_SA_EEPlZNS1_13binary_searchIS3_S5_PySB_SC_NS1_21lower_bound_search_opENS8_6detail16wrapped_functionI11custom_lessbEEEE10hipError_tPvRmT1_T2_T3_mmT4_T5_P12ihipStream_tbEUlRKyE_EESK_SO_SP_mSQ_ST_bEUlT_E_NS1_11comp_targetILNS1_3genE5ELNS1_11target_archE942ELNS1_3gpuE9ELNS1_3repE0EEENS1_30default_config_static_selectorELNS0_4arch9wavefront6targetE1EEEvSN_,comdat
.Lfunc_end26:
	.size	_ZN7rocprim17ROCPRIM_400000_NS6detail17trampoline_kernelINS0_14default_configENS1_27lower_bound_config_selectorIylEEZNS1_14transform_implILb0ES3_S5_N6thrust23THRUST_200600_302600_NS17counting_iteratorIyNS8_11use_defaultESA_SA_EEPlZNS1_13binary_searchIS3_S5_PySB_SC_NS1_21lower_bound_search_opENS8_6detail16wrapped_functionI11custom_lessbEEEE10hipError_tPvRmT1_T2_T3_mmT4_T5_P12ihipStream_tbEUlRKyE_EESK_SO_SP_mSQ_ST_bEUlT_E_NS1_11comp_targetILNS1_3genE5ELNS1_11target_archE942ELNS1_3gpuE9ELNS1_3repE0EEENS1_30default_config_static_selectorELNS0_4arch9wavefront6targetE1EEEvSN_, .Lfunc_end26-_ZN7rocprim17ROCPRIM_400000_NS6detail17trampoline_kernelINS0_14default_configENS1_27lower_bound_config_selectorIylEEZNS1_14transform_implILb0ES3_S5_N6thrust23THRUST_200600_302600_NS17counting_iteratorIyNS8_11use_defaultESA_SA_EEPlZNS1_13binary_searchIS3_S5_PySB_SC_NS1_21lower_bound_search_opENS8_6detail16wrapped_functionI11custom_lessbEEEE10hipError_tPvRmT1_T2_T3_mmT4_T5_P12ihipStream_tbEUlRKyE_EESK_SO_SP_mSQ_ST_bEUlT_E_NS1_11comp_targetILNS1_3genE5ELNS1_11target_archE942ELNS1_3gpuE9ELNS1_3repE0EEENS1_30default_config_static_selectorELNS0_4arch9wavefront6targetE1EEEvSN_
                                        ; -- End function
	.section	.AMDGPU.csdata,"",@progbits
; Kernel info:
; codeLenInByte = 0
; NumSgprs: 4
; NumVgprs: 0
; NumAgprs: 0
; TotalNumVgprs: 0
; ScratchSize: 0
; MemoryBound: 0
; FloatMode: 240
; IeeeMode: 1
; LDSByteSize: 0 bytes/workgroup (compile time only)
; SGPRBlocks: 0
; VGPRBlocks: 0
; NumSGPRsForWavesPerEU: 4
; NumVGPRsForWavesPerEU: 1
; AccumOffset: 4
; Occupancy: 8
; WaveLimiterHint : 0
; COMPUTE_PGM_RSRC2:SCRATCH_EN: 0
; COMPUTE_PGM_RSRC2:USER_SGPR: 6
; COMPUTE_PGM_RSRC2:TRAP_HANDLER: 0
; COMPUTE_PGM_RSRC2:TGID_X_EN: 1
; COMPUTE_PGM_RSRC2:TGID_Y_EN: 0
; COMPUTE_PGM_RSRC2:TGID_Z_EN: 0
; COMPUTE_PGM_RSRC2:TIDIG_COMP_CNT: 0
; COMPUTE_PGM_RSRC3_GFX90A:ACCUM_OFFSET: 0
; COMPUTE_PGM_RSRC3_GFX90A:TG_SPLIT: 0
	.section	.text._ZN7rocprim17ROCPRIM_400000_NS6detail17trampoline_kernelINS0_14default_configENS1_27lower_bound_config_selectorIylEEZNS1_14transform_implILb0ES3_S5_N6thrust23THRUST_200600_302600_NS17counting_iteratorIyNS8_11use_defaultESA_SA_EEPlZNS1_13binary_searchIS3_S5_PySB_SC_NS1_21lower_bound_search_opENS8_6detail16wrapped_functionI11custom_lessbEEEE10hipError_tPvRmT1_T2_T3_mmT4_T5_P12ihipStream_tbEUlRKyE_EESK_SO_SP_mSQ_ST_bEUlT_E_NS1_11comp_targetILNS1_3genE4ELNS1_11target_archE910ELNS1_3gpuE8ELNS1_3repE0EEENS1_30default_config_static_selectorELNS0_4arch9wavefront6targetE1EEEvSN_,"axG",@progbits,_ZN7rocprim17ROCPRIM_400000_NS6detail17trampoline_kernelINS0_14default_configENS1_27lower_bound_config_selectorIylEEZNS1_14transform_implILb0ES3_S5_N6thrust23THRUST_200600_302600_NS17counting_iteratorIyNS8_11use_defaultESA_SA_EEPlZNS1_13binary_searchIS3_S5_PySB_SC_NS1_21lower_bound_search_opENS8_6detail16wrapped_functionI11custom_lessbEEEE10hipError_tPvRmT1_T2_T3_mmT4_T5_P12ihipStream_tbEUlRKyE_EESK_SO_SP_mSQ_ST_bEUlT_E_NS1_11comp_targetILNS1_3genE4ELNS1_11target_archE910ELNS1_3gpuE8ELNS1_3repE0EEENS1_30default_config_static_selectorELNS0_4arch9wavefront6targetE1EEEvSN_,comdat
	.protected	_ZN7rocprim17ROCPRIM_400000_NS6detail17trampoline_kernelINS0_14default_configENS1_27lower_bound_config_selectorIylEEZNS1_14transform_implILb0ES3_S5_N6thrust23THRUST_200600_302600_NS17counting_iteratorIyNS8_11use_defaultESA_SA_EEPlZNS1_13binary_searchIS3_S5_PySB_SC_NS1_21lower_bound_search_opENS8_6detail16wrapped_functionI11custom_lessbEEEE10hipError_tPvRmT1_T2_T3_mmT4_T5_P12ihipStream_tbEUlRKyE_EESK_SO_SP_mSQ_ST_bEUlT_E_NS1_11comp_targetILNS1_3genE4ELNS1_11target_archE910ELNS1_3gpuE8ELNS1_3repE0EEENS1_30default_config_static_selectorELNS0_4arch9wavefront6targetE1EEEvSN_ ; -- Begin function _ZN7rocprim17ROCPRIM_400000_NS6detail17trampoline_kernelINS0_14default_configENS1_27lower_bound_config_selectorIylEEZNS1_14transform_implILb0ES3_S5_N6thrust23THRUST_200600_302600_NS17counting_iteratorIyNS8_11use_defaultESA_SA_EEPlZNS1_13binary_searchIS3_S5_PySB_SC_NS1_21lower_bound_search_opENS8_6detail16wrapped_functionI11custom_lessbEEEE10hipError_tPvRmT1_T2_T3_mmT4_T5_P12ihipStream_tbEUlRKyE_EESK_SO_SP_mSQ_ST_bEUlT_E_NS1_11comp_targetILNS1_3genE4ELNS1_11target_archE910ELNS1_3gpuE8ELNS1_3repE0EEENS1_30default_config_static_selectorELNS0_4arch9wavefront6targetE1EEEvSN_
	.globl	_ZN7rocprim17ROCPRIM_400000_NS6detail17trampoline_kernelINS0_14default_configENS1_27lower_bound_config_selectorIylEEZNS1_14transform_implILb0ES3_S5_N6thrust23THRUST_200600_302600_NS17counting_iteratorIyNS8_11use_defaultESA_SA_EEPlZNS1_13binary_searchIS3_S5_PySB_SC_NS1_21lower_bound_search_opENS8_6detail16wrapped_functionI11custom_lessbEEEE10hipError_tPvRmT1_T2_T3_mmT4_T5_P12ihipStream_tbEUlRKyE_EESK_SO_SP_mSQ_ST_bEUlT_E_NS1_11comp_targetILNS1_3genE4ELNS1_11target_archE910ELNS1_3gpuE8ELNS1_3repE0EEENS1_30default_config_static_selectorELNS0_4arch9wavefront6targetE1EEEvSN_
	.p2align	8
	.type	_ZN7rocprim17ROCPRIM_400000_NS6detail17trampoline_kernelINS0_14default_configENS1_27lower_bound_config_selectorIylEEZNS1_14transform_implILb0ES3_S5_N6thrust23THRUST_200600_302600_NS17counting_iteratorIyNS8_11use_defaultESA_SA_EEPlZNS1_13binary_searchIS3_S5_PySB_SC_NS1_21lower_bound_search_opENS8_6detail16wrapped_functionI11custom_lessbEEEE10hipError_tPvRmT1_T2_T3_mmT4_T5_P12ihipStream_tbEUlRKyE_EESK_SO_SP_mSQ_ST_bEUlT_E_NS1_11comp_targetILNS1_3genE4ELNS1_11target_archE910ELNS1_3gpuE8ELNS1_3repE0EEENS1_30default_config_static_selectorELNS0_4arch9wavefront6targetE1EEEvSN_,@function
_ZN7rocprim17ROCPRIM_400000_NS6detail17trampoline_kernelINS0_14default_configENS1_27lower_bound_config_selectorIylEEZNS1_14transform_implILb0ES3_S5_N6thrust23THRUST_200600_302600_NS17counting_iteratorIyNS8_11use_defaultESA_SA_EEPlZNS1_13binary_searchIS3_S5_PySB_SC_NS1_21lower_bound_search_opENS8_6detail16wrapped_functionI11custom_lessbEEEE10hipError_tPvRmT1_T2_T3_mmT4_T5_P12ihipStream_tbEUlRKyE_EESK_SO_SP_mSQ_ST_bEUlT_E_NS1_11comp_targetILNS1_3genE4ELNS1_11target_archE910ELNS1_3gpuE8ELNS1_3repE0EEENS1_30default_config_static_selectorELNS0_4arch9wavefront6targetE1EEEvSN_: ; @_ZN7rocprim17ROCPRIM_400000_NS6detail17trampoline_kernelINS0_14default_configENS1_27lower_bound_config_selectorIylEEZNS1_14transform_implILb0ES3_S5_N6thrust23THRUST_200600_302600_NS17counting_iteratorIyNS8_11use_defaultESA_SA_EEPlZNS1_13binary_searchIS3_S5_PySB_SC_NS1_21lower_bound_search_opENS8_6detail16wrapped_functionI11custom_lessbEEEE10hipError_tPvRmT1_T2_T3_mmT4_T5_P12ihipStream_tbEUlRKyE_EESK_SO_SP_mSQ_ST_bEUlT_E_NS1_11comp_targetILNS1_3genE4ELNS1_11target_archE910ELNS1_3gpuE8ELNS1_3repE0EEENS1_30default_config_static_selectorELNS0_4arch9wavefront6targetE1EEEvSN_
; %bb.0:
	s_load_dwordx4 s[0:3], s[4:5], 0x0
	s_load_dwordx2 s[12:13], s[4:5], 0x28
	s_load_dword s7, s[4:5], 0x38
	s_load_dwordx4 s[8:11], s[4:5], 0x18
	s_waitcnt lgkmcnt(0)
	s_add_u32 s16, s2, s0
	s_addc_u32 s17, s3, s1
	s_lshl_b32 s0, s6, 6
	s_add_i32 s7, s7, -1
	s_cmp_lg_u32 s6, s7
	s_mov_b32 s1, 0
	s_cbranch_scc0 .LBB27_6
; %bb.1:
	v_mov_b32_e32 v1, 0
	s_mov_b64 s[14:15], 0
	s_cmp_eq_u64 s[12:13], 0
	v_pk_mov_b32 v[2:3], 0, 0
	s_cbranch_scc1 .LBB27_5
; %bb.2:
	s_add_u32 s6, s16, s0
	s_addc_u32 s7, s17, 0
	v_mov_b32_e32 v2, s7
	v_add_co_u32_e32 v4, vcc, s6, v0
	v_addc_co_u32_e32 v5, vcc, 0, v2, vcc
	s_mov_b64 s[6:7], 0
	v_pk_mov_b32 v[2:3], 0, 0
	v_pk_mov_b32 v[6:7], s[12:13], s[12:13] op_sel:[0,1]
	v_mov_b32_e32 v8, s11
.LBB27_3:                               ; =>This Inner Loop Header: Depth=1
	v_sub_co_u32_e32 v10, vcc, v6, v2
	v_subb_co_u32_e32 v11, vcc, v7, v3, vcc
	v_lshrrev_b64 v[12:13], 1, v[10:11]
	v_add_co_u32_e32 v9, vcc, v12, v2
	v_lshrrev_b64 v[10:11], 6, v[10:11]
	v_addc_co_u32_e32 v12, vcc, v13, v3, vcc
	v_add_co_u32_e32 v10, vcc, v9, v10
	v_addc_co_u32_e32 v11, vcc, v12, v11, vcc
	v_lshlrev_b64 v[12:13], 3, v[10:11]
	v_add_co_u32_e32 v12, vcc, s10, v12
	v_addc_co_u32_e32 v13, vcc, v8, v13, vcc
	global_load_dwordx2 v[12:13], v[12:13], off
	v_add_co_u32_e32 v9, vcc, 1, v10
	v_addc_co_u32_e32 v14, vcc, 0, v11, vcc
	s_waitcnt vmcnt(0)
	v_cmp_lt_u64_e32 vcc, v[12:13], v[4:5]
	v_cndmask_b32_e32 v7, v11, v7, vcc
	v_cndmask_b32_e32 v6, v10, v6, vcc
	v_cndmask_b32_e32 v3, v3, v14, vcc
	v_cndmask_b32_e32 v2, v2, v9, vcc
	v_cmp_ge_u64_e32 vcc, v[2:3], v[6:7]
	s_or_b64 s[6:7], vcc, s[6:7]
	s_andn2_b64 exec, exec, s[6:7]
	s_cbranch_execnz .LBB27_3
; %bb.4:
	s_or_b64 exec, exec, s[6:7]
.LBB27_5:
	s_mov_b64 s[6:7], -1
	s_andn2_b64 vcc, exec, s[14:15]
	s_cbranch_vccz .LBB27_7
	s_branch .LBB27_13
.LBB27_6:
	s_mov_b64 s[6:7], 0
                                        ; implicit-def: $vgpr2_vgpr3
.LBB27_7:
	s_load_dword s4, s[4:5], 0x10
	v_mov_b32_e32 v1, 0
                                        ; implicit-def: $vgpr2_vgpr3
	s_waitcnt lgkmcnt(0)
	s_sub_i32 s4, s4, s0
	v_cmp_gt_u32_e64 s[6:7], s4, v0
	s_and_saveexec_b64 s[4:5], s[6:7]
	s_cbranch_execz .LBB27_12
; %bb.8:
	s_mov_b64 s[14:15], 0
	s_cmp_eq_u64 s[12:13], 0
	v_pk_mov_b32 v[2:3], 0, 0
	s_cbranch_scc1 .LBB27_12
; %bb.9:
	s_add_u32 s16, s16, s0
	s_addc_u32 s17, s17, 0
	v_mov_b32_e32 v2, s17
	v_add_co_u32_e32 v4, vcc, s16, v0
	v_addc_co_u32_e32 v5, vcc, 0, v2, vcc
	v_pk_mov_b32 v[2:3], 0, 0
	v_pk_mov_b32 v[6:7], s[12:13], s[12:13] op_sel:[0,1]
	v_mov_b32_e32 v8, s11
.LBB27_10:                              ; =>This Inner Loop Header: Depth=1
	v_sub_co_u32_e32 v10, vcc, v6, v2
	v_subb_co_u32_e32 v11, vcc, v7, v3, vcc
	v_lshrrev_b64 v[12:13], 1, v[10:11]
	v_add_co_u32_e32 v9, vcc, v12, v2
	v_lshrrev_b64 v[10:11], 6, v[10:11]
	v_addc_co_u32_e32 v12, vcc, v13, v3, vcc
	v_add_co_u32_e32 v10, vcc, v9, v10
	v_addc_co_u32_e32 v11, vcc, v12, v11, vcc
	v_lshlrev_b64 v[12:13], 3, v[10:11]
	v_add_co_u32_e32 v12, vcc, s10, v12
	v_addc_co_u32_e32 v13, vcc, v8, v13, vcc
	global_load_dwordx2 v[12:13], v[12:13], off
	v_add_co_u32_e32 v9, vcc, 1, v10
	v_addc_co_u32_e32 v14, vcc, 0, v11, vcc
	s_waitcnt vmcnt(0)
	v_cmp_lt_u64_e32 vcc, v[12:13], v[4:5]
	v_cndmask_b32_e32 v7, v11, v7, vcc
	v_cndmask_b32_e32 v6, v10, v6, vcc
	;; [unrolled: 1-line block ×4, first 2 shown]
	v_cmp_ge_u64_e32 vcc, v[2:3], v[6:7]
	s_or_b64 s[14:15], vcc, s[14:15]
	s_andn2_b64 exec, exec, s[14:15]
	s_cbranch_execnz .LBB27_10
; %bb.11:
	s_or_b64 exec, exec, s[14:15]
.LBB27_12:
	s_or_b64 exec, exec, s[4:5]
.LBB27_13:
	s_and_saveexec_b64 s[4:5], s[6:7]
	s_cbranch_execnz .LBB27_15
; %bb.14:
	s_endpgm
.LBB27_15:
	s_lshl_b64 s[2:3], s[2:3], 3
	s_add_u32 s2, s8, s2
	s_addc_u32 s3, s9, s3
	s_lshl_b64 s[0:1], s[0:1], 3
	s_add_u32 s0, s2, s0
	s_addc_u32 s1, s3, s1
	v_lshlrev_b64 v[0:1], 3, v[0:1]
	v_mov_b32_e32 v4, s1
	v_add_co_u32_e32 v0, vcc, s0, v0
	v_addc_co_u32_e32 v1, vcc, v4, v1, vcc
	global_store_dwordx2 v[0:1], v[2:3], off
	s_endpgm
	.section	.rodata,"a",@progbits
	.p2align	6, 0x0
	.amdhsa_kernel _ZN7rocprim17ROCPRIM_400000_NS6detail17trampoline_kernelINS0_14default_configENS1_27lower_bound_config_selectorIylEEZNS1_14transform_implILb0ES3_S5_N6thrust23THRUST_200600_302600_NS17counting_iteratorIyNS8_11use_defaultESA_SA_EEPlZNS1_13binary_searchIS3_S5_PySB_SC_NS1_21lower_bound_search_opENS8_6detail16wrapped_functionI11custom_lessbEEEE10hipError_tPvRmT1_T2_T3_mmT4_T5_P12ihipStream_tbEUlRKyE_EESK_SO_SP_mSQ_ST_bEUlT_E_NS1_11comp_targetILNS1_3genE4ELNS1_11target_archE910ELNS1_3gpuE8ELNS1_3repE0EEENS1_30default_config_static_selectorELNS0_4arch9wavefront6targetE1EEEvSN_
		.amdhsa_group_segment_fixed_size 0
		.amdhsa_private_segment_fixed_size 0
		.amdhsa_kernarg_size 312
		.amdhsa_user_sgpr_count 6
		.amdhsa_user_sgpr_private_segment_buffer 1
		.amdhsa_user_sgpr_dispatch_ptr 0
		.amdhsa_user_sgpr_queue_ptr 0
		.amdhsa_user_sgpr_kernarg_segment_ptr 1
		.amdhsa_user_sgpr_dispatch_id 0
		.amdhsa_user_sgpr_flat_scratch_init 0
		.amdhsa_user_sgpr_kernarg_preload_length 0
		.amdhsa_user_sgpr_kernarg_preload_offset 0
		.amdhsa_user_sgpr_private_segment_size 0
		.amdhsa_uses_dynamic_stack 0
		.amdhsa_system_sgpr_private_segment_wavefront_offset 0
		.amdhsa_system_sgpr_workgroup_id_x 1
		.amdhsa_system_sgpr_workgroup_id_y 0
		.amdhsa_system_sgpr_workgroup_id_z 0
		.amdhsa_system_sgpr_workgroup_info 0
		.amdhsa_system_vgpr_workitem_id 0
		.amdhsa_next_free_vgpr 15
		.amdhsa_next_free_sgpr 18
		.amdhsa_accum_offset 16
		.amdhsa_reserve_vcc 1
		.amdhsa_reserve_flat_scratch 0
		.amdhsa_float_round_mode_32 0
		.amdhsa_float_round_mode_16_64 0
		.amdhsa_float_denorm_mode_32 3
		.amdhsa_float_denorm_mode_16_64 3
		.amdhsa_dx10_clamp 1
		.amdhsa_ieee_mode 1
		.amdhsa_fp16_overflow 0
		.amdhsa_tg_split 0
		.amdhsa_exception_fp_ieee_invalid_op 0
		.amdhsa_exception_fp_denorm_src 0
		.amdhsa_exception_fp_ieee_div_zero 0
		.amdhsa_exception_fp_ieee_overflow 0
		.amdhsa_exception_fp_ieee_underflow 0
		.amdhsa_exception_fp_ieee_inexact 0
		.amdhsa_exception_int_div_zero 0
	.end_amdhsa_kernel
	.section	.text._ZN7rocprim17ROCPRIM_400000_NS6detail17trampoline_kernelINS0_14default_configENS1_27lower_bound_config_selectorIylEEZNS1_14transform_implILb0ES3_S5_N6thrust23THRUST_200600_302600_NS17counting_iteratorIyNS8_11use_defaultESA_SA_EEPlZNS1_13binary_searchIS3_S5_PySB_SC_NS1_21lower_bound_search_opENS8_6detail16wrapped_functionI11custom_lessbEEEE10hipError_tPvRmT1_T2_T3_mmT4_T5_P12ihipStream_tbEUlRKyE_EESK_SO_SP_mSQ_ST_bEUlT_E_NS1_11comp_targetILNS1_3genE4ELNS1_11target_archE910ELNS1_3gpuE8ELNS1_3repE0EEENS1_30default_config_static_selectorELNS0_4arch9wavefront6targetE1EEEvSN_,"axG",@progbits,_ZN7rocprim17ROCPRIM_400000_NS6detail17trampoline_kernelINS0_14default_configENS1_27lower_bound_config_selectorIylEEZNS1_14transform_implILb0ES3_S5_N6thrust23THRUST_200600_302600_NS17counting_iteratorIyNS8_11use_defaultESA_SA_EEPlZNS1_13binary_searchIS3_S5_PySB_SC_NS1_21lower_bound_search_opENS8_6detail16wrapped_functionI11custom_lessbEEEE10hipError_tPvRmT1_T2_T3_mmT4_T5_P12ihipStream_tbEUlRKyE_EESK_SO_SP_mSQ_ST_bEUlT_E_NS1_11comp_targetILNS1_3genE4ELNS1_11target_archE910ELNS1_3gpuE8ELNS1_3repE0EEENS1_30default_config_static_selectorELNS0_4arch9wavefront6targetE1EEEvSN_,comdat
.Lfunc_end27:
	.size	_ZN7rocprim17ROCPRIM_400000_NS6detail17trampoline_kernelINS0_14default_configENS1_27lower_bound_config_selectorIylEEZNS1_14transform_implILb0ES3_S5_N6thrust23THRUST_200600_302600_NS17counting_iteratorIyNS8_11use_defaultESA_SA_EEPlZNS1_13binary_searchIS3_S5_PySB_SC_NS1_21lower_bound_search_opENS8_6detail16wrapped_functionI11custom_lessbEEEE10hipError_tPvRmT1_T2_T3_mmT4_T5_P12ihipStream_tbEUlRKyE_EESK_SO_SP_mSQ_ST_bEUlT_E_NS1_11comp_targetILNS1_3genE4ELNS1_11target_archE910ELNS1_3gpuE8ELNS1_3repE0EEENS1_30default_config_static_selectorELNS0_4arch9wavefront6targetE1EEEvSN_, .Lfunc_end27-_ZN7rocprim17ROCPRIM_400000_NS6detail17trampoline_kernelINS0_14default_configENS1_27lower_bound_config_selectorIylEEZNS1_14transform_implILb0ES3_S5_N6thrust23THRUST_200600_302600_NS17counting_iteratorIyNS8_11use_defaultESA_SA_EEPlZNS1_13binary_searchIS3_S5_PySB_SC_NS1_21lower_bound_search_opENS8_6detail16wrapped_functionI11custom_lessbEEEE10hipError_tPvRmT1_T2_T3_mmT4_T5_P12ihipStream_tbEUlRKyE_EESK_SO_SP_mSQ_ST_bEUlT_E_NS1_11comp_targetILNS1_3genE4ELNS1_11target_archE910ELNS1_3gpuE8ELNS1_3repE0EEENS1_30default_config_static_selectorELNS0_4arch9wavefront6targetE1EEEvSN_
                                        ; -- End function
	.section	.AMDGPU.csdata,"",@progbits
; Kernel info:
; codeLenInByte = 552
; NumSgprs: 22
; NumVgprs: 15
; NumAgprs: 0
; TotalNumVgprs: 15
; ScratchSize: 0
; MemoryBound: 0
; FloatMode: 240
; IeeeMode: 1
; LDSByteSize: 0 bytes/workgroup (compile time only)
; SGPRBlocks: 2
; VGPRBlocks: 1
; NumSGPRsForWavesPerEU: 22
; NumVGPRsForWavesPerEU: 15
; AccumOffset: 16
; Occupancy: 8
; WaveLimiterHint : 0
; COMPUTE_PGM_RSRC2:SCRATCH_EN: 0
; COMPUTE_PGM_RSRC2:USER_SGPR: 6
; COMPUTE_PGM_RSRC2:TRAP_HANDLER: 0
; COMPUTE_PGM_RSRC2:TGID_X_EN: 1
; COMPUTE_PGM_RSRC2:TGID_Y_EN: 0
; COMPUTE_PGM_RSRC2:TGID_Z_EN: 0
; COMPUTE_PGM_RSRC2:TIDIG_COMP_CNT: 0
; COMPUTE_PGM_RSRC3_GFX90A:ACCUM_OFFSET: 3
; COMPUTE_PGM_RSRC3_GFX90A:TG_SPLIT: 0
	.section	.text._ZN7rocprim17ROCPRIM_400000_NS6detail17trampoline_kernelINS0_14default_configENS1_27lower_bound_config_selectorIylEEZNS1_14transform_implILb0ES3_S5_N6thrust23THRUST_200600_302600_NS17counting_iteratorIyNS8_11use_defaultESA_SA_EEPlZNS1_13binary_searchIS3_S5_PySB_SC_NS1_21lower_bound_search_opENS8_6detail16wrapped_functionI11custom_lessbEEEE10hipError_tPvRmT1_T2_T3_mmT4_T5_P12ihipStream_tbEUlRKyE_EESK_SO_SP_mSQ_ST_bEUlT_E_NS1_11comp_targetILNS1_3genE3ELNS1_11target_archE908ELNS1_3gpuE7ELNS1_3repE0EEENS1_30default_config_static_selectorELNS0_4arch9wavefront6targetE1EEEvSN_,"axG",@progbits,_ZN7rocprim17ROCPRIM_400000_NS6detail17trampoline_kernelINS0_14default_configENS1_27lower_bound_config_selectorIylEEZNS1_14transform_implILb0ES3_S5_N6thrust23THRUST_200600_302600_NS17counting_iteratorIyNS8_11use_defaultESA_SA_EEPlZNS1_13binary_searchIS3_S5_PySB_SC_NS1_21lower_bound_search_opENS8_6detail16wrapped_functionI11custom_lessbEEEE10hipError_tPvRmT1_T2_T3_mmT4_T5_P12ihipStream_tbEUlRKyE_EESK_SO_SP_mSQ_ST_bEUlT_E_NS1_11comp_targetILNS1_3genE3ELNS1_11target_archE908ELNS1_3gpuE7ELNS1_3repE0EEENS1_30default_config_static_selectorELNS0_4arch9wavefront6targetE1EEEvSN_,comdat
	.protected	_ZN7rocprim17ROCPRIM_400000_NS6detail17trampoline_kernelINS0_14default_configENS1_27lower_bound_config_selectorIylEEZNS1_14transform_implILb0ES3_S5_N6thrust23THRUST_200600_302600_NS17counting_iteratorIyNS8_11use_defaultESA_SA_EEPlZNS1_13binary_searchIS3_S5_PySB_SC_NS1_21lower_bound_search_opENS8_6detail16wrapped_functionI11custom_lessbEEEE10hipError_tPvRmT1_T2_T3_mmT4_T5_P12ihipStream_tbEUlRKyE_EESK_SO_SP_mSQ_ST_bEUlT_E_NS1_11comp_targetILNS1_3genE3ELNS1_11target_archE908ELNS1_3gpuE7ELNS1_3repE0EEENS1_30default_config_static_selectorELNS0_4arch9wavefront6targetE1EEEvSN_ ; -- Begin function _ZN7rocprim17ROCPRIM_400000_NS6detail17trampoline_kernelINS0_14default_configENS1_27lower_bound_config_selectorIylEEZNS1_14transform_implILb0ES3_S5_N6thrust23THRUST_200600_302600_NS17counting_iteratorIyNS8_11use_defaultESA_SA_EEPlZNS1_13binary_searchIS3_S5_PySB_SC_NS1_21lower_bound_search_opENS8_6detail16wrapped_functionI11custom_lessbEEEE10hipError_tPvRmT1_T2_T3_mmT4_T5_P12ihipStream_tbEUlRKyE_EESK_SO_SP_mSQ_ST_bEUlT_E_NS1_11comp_targetILNS1_3genE3ELNS1_11target_archE908ELNS1_3gpuE7ELNS1_3repE0EEENS1_30default_config_static_selectorELNS0_4arch9wavefront6targetE1EEEvSN_
	.globl	_ZN7rocprim17ROCPRIM_400000_NS6detail17trampoline_kernelINS0_14default_configENS1_27lower_bound_config_selectorIylEEZNS1_14transform_implILb0ES3_S5_N6thrust23THRUST_200600_302600_NS17counting_iteratorIyNS8_11use_defaultESA_SA_EEPlZNS1_13binary_searchIS3_S5_PySB_SC_NS1_21lower_bound_search_opENS8_6detail16wrapped_functionI11custom_lessbEEEE10hipError_tPvRmT1_T2_T3_mmT4_T5_P12ihipStream_tbEUlRKyE_EESK_SO_SP_mSQ_ST_bEUlT_E_NS1_11comp_targetILNS1_3genE3ELNS1_11target_archE908ELNS1_3gpuE7ELNS1_3repE0EEENS1_30default_config_static_selectorELNS0_4arch9wavefront6targetE1EEEvSN_
	.p2align	8
	.type	_ZN7rocprim17ROCPRIM_400000_NS6detail17trampoline_kernelINS0_14default_configENS1_27lower_bound_config_selectorIylEEZNS1_14transform_implILb0ES3_S5_N6thrust23THRUST_200600_302600_NS17counting_iteratorIyNS8_11use_defaultESA_SA_EEPlZNS1_13binary_searchIS3_S5_PySB_SC_NS1_21lower_bound_search_opENS8_6detail16wrapped_functionI11custom_lessbEEEE10hipError_tPvRmT1_T2_T3_mmT4_T5_P12ihipStream_tbEUlRKyE_EESK_SO_SP_mSQ_ST_bEUlT_E_NS1_11comp_targetILNS1_3genE3ELNS1_11target_archE908ELNS1_3gpuE7ELNS1_3repE0EEENS1_30default_config_static_selectorELNS0_4arch9wavefront6targetE1EEEvSN_,@function
_ZN7rocprim17ROCPRIM_400000_NS6detail17trampoline_kernelINS0_14default_configENS1_27lower_bound_config_selectorIylEEZNS1_14transform_implILb0ES3_S5_N6thrust23THRUST_200600_302600_NS17counting_iteratorIyNS8_11use_defaultESA_SA_EEPlZNS1_13binary_searchIS3_S5_PySB_SC_NS1_21lower_bound_search_opENS8_6detail16wrapped_functionI11custom_lessbEEEE10hipError_tPvRmT1_T2_T3_mmT4_T5_P12ihipStream_tbEUlRKyE_EESK_SO_SP_mSQ_ST_bEUlT_E_NS1_11comp_targetILNS1_3genE3ELNS1_11target_archE908ELNS1_3gpuE7ELNS1_3repE0EEENS1_30default_config_static_selectorELNS0_4arch9wavefront6targetE1EEEvSN_: ; @_ZN7rocprim17ROCPRIM_400000_NS6detail17trampoline_kernelINS0_14default_configENS1_27lower_bound_config_selectorIylEEZNS1_14transform_implILb0ES3_S5_N6thrust23THRUST_200600_302600_NS17counting_iteratorIyNS8_11use_defaultESA_SA_EEPlZNS1_13binary_searchIS3_S5_PySB_SC_NS1_21lower_bound_search_opENS8_6detail16wrapped_functionI11custom_lessbEEEE10hipError_tPvRmT1_T2_T3_mmT4_T5_P12ihipStream_tbEUlRKyE_EESK_SO_SP_mSQ_ST_bEUlT_E_NS1_11comp_targetILNS1_3genE3ELNS1_11target_archE908ELNS1_3gpuE7ELNS1_3repE0EEENS1_30default_config_static_selectorELNS0_4arch9wavefront6targetE1EEEvSN_
; %bb.0:
	.section	.rodata,"a",@progbits
	.p2align	6, 0x0
	.amdhsa_kernel _ZN7rocprim17ROCPRIM_400000_NS6detail17trampoline_kernelINS0_14default_configENS1_27lower_bound_config_selectorIylEEZNS1_14transform_implILb0ES3_S5_N6thrust23THRUST_200600_302600_NS17counting_iteratorIyNS8_11use_defaultESA_SA_EEPlZNS1_13binary_searchIS3_S5_PySB_SC_NS1_21lower_bound_search_opENS8_6detail16wrapped_functionI11custom_lessbEEEE10hipError_tPvRmT1_T2_T3_mmT4_T5_P12ihipStream_tbEUlRKyE_EESK_SO_SP_mSQ_ST_bEUlT_E_NS1_11comp_targetILNS1_3genE3ELNS1_11target_archE908ELNS1_3gpuE7ELNS1_3repE0EEENS1_30default_config_static_selectorELNS0_4arch9wavefront6targetE1EEEvSN_
		.amdhsa_group_segment_fixed_size 0
		.amdhsa_private_segment_fixed_size 0
		.amdhsa_kernarg_size 56
		.amdhsa_user_sgpr_count 6
		.amdhsa_user_sgpr_private_segment_buffer 1
		.amdhsa_user_sgpr_dispatch_ptr 0
		.amdhsa_user_sgpr_queue_ptr 0
		.amdhsa_user_sgpr_kernarg_segment_ptr 1
		.amdhsa_user_sgpr_dispatch_id 0
		.amdhsa_user_sgpr_flat_scratch_init 0
		.amdhsa_user_sgpr_kernarg_preload_length 0
		.amdhsa_user_sgpr_kernarg_preload_offset 0
		.amdhsa_user_sgpr_private_segment_size 0
		.amdhsa_uses_dynamic_stack 0
		.amdhsa_system_sgpr_private_segment_wavefront_offset 0
		.amdhsa_system_sgpr_workgroup_id_x 1
		.amdhsa_system_sgpr_workgroup_id_y 0
		.amdhsa_system_sgpr_workgroup_id_z 0
		.amdhsa_system_sgpr_workgroup_info 0
		.amdhsa_system_vgpr_workitem_id 0
		.amdhsa_next_free_vgpr 1
		.amdhsa_next_free_sgpr 0
		.amdhsa_accum_offset 4
		.amdhsa_reserve_vcc 0
		.amdhsa_reserve_flat_scratch 0
		.amdhsa_float_round_mode_32 0
		.amdhsa_float_round_mode_16_64 0
		.amdhsa_float_denorm_mode_32 3
		.amdhsa_float_denorm_mode_16_64 3
		.amdhsa_dx10_clamp 1
		.amdhsa_ieee_mode 1
		.amdhsa_fp16_overflow 0
		.amdhsa_tg_split 0
		.amdhsa_exception_fp_ieee_invalid_op 0
		.amdhsa_exception_fp_denorm_src 0
		.amdhsa_exception_fp_ieee_div_zero 0
		.amdhsa_exception_fp_ieee_overflow 0
		.amdhsa_exception_fp_ieee_underflow 0
		.amdhsa_exception_fp_ieee_inexact 0
		.amdhsa_exception_int_div_zero 0
	.end_amdhsa_kernel
	.section	.text._ZN7rocprim17ROCPRIM_400000_NS6detail17trampoline_kernelINS0_14default_configENS1_27lower_bound_config_selectorIylEEZNS1_14transform_implILb0ES3_S5_N6thrust23THRUST_200600_302600_NS17counting_iteratorIyNS8_11use_defaultESA_SA_EEPlZNS1_13binary_searchIS3_S5_PySB_SC_NS1_21lower_bound_search_opENS8_6detail16wrapped_functionI11custom_lessbEEEE10hipError_tPvRmT1_T2_T3_mmT4_T5_P12ihipStream_tbEUlRKyE_EESK_SO_SP_mSQ_ST_bEUlT_E_NS1_11comp_targetILNS1_3genE3ELNS1_11target_archE908ELNS1_3gpuE7ELNS1_3repE0EEENS1_30default_config_static_selectorELNS0_4arch9wavefront6targetE1EEEvSN_,"axG",@progbits,_ZN7rocprim17ROCPRIM_400000_NS6detail17trampoline_kernelINS0_14default_configENS1_27lower_bound_config_selectorIylEEZNS1_14transform_implILb0ES3_S5_N6thrust23THRUST_200600_302600_NS17counting_iteratorIyNS8_11use_defaultESA_SA_EEPlZNS1_13binary_searchIS3_S5_PySB_SC_NS1_21lower_bound_search_opENS8_6detail16wrapped_functionI11custom_lessbEEEE10hipError_tPvRmT1_T2_T3_mmT4_T5_P12ihipStream_tbEUlRKyE_EESK_SO_SP_mSQ_ST_bEUlT_E_NS1_11comp_targetILNS1_3genE3ELNS1_11target_archE908ELNS1_3gpuE7ELNS1_3repE0EEENS1_30default_config_static_selectorELNS0_4arch9wavefront6targetE1EEEvSN_,comdat
.Lfunc_end28:
	.size	_ZN7rocprim17ROCPRIM_400000_NS6detail17trampoline_kernelINS0_14default_configENS1_27lower_bound_config_selectorIylEEZNS1_14transform_implILb0ES3_S5_N6thrust23THRUST_200600_302600_NS17counting_iteratorIyNS8_11use_defaultESA_SA_EEPlZNS1_13binary_searchIS3_S5_PySB_SC_NS1_21lower_bound_search_opENS8_6detail16wrapped_functionI11custom_lessbEEEE10hipError_tPvRmT1_T2_T3_mmT4_T5_P12ihipStream_tbEUlRKyE_EESK_SO_SP_mSQ_ST_bEUlT_E_NS1_11comp_targetILNS1_3genE3ELNS1_11target_archE908ELNS1_3gpuE7ELNS1_3repE0EEENS1_30default_config_static_selectorELNS0_4arch9wavefront6targetE1EEEvSN_, .Lfunc_end28-_ZN7rocprim17ROCPRIM_400000_NS6detail17trampoline_kernelINS0_14default_configENS1_27lower_bound_config_selectorIylEEZNS1_14transform_implILb0ES3_S5_N6thrust23THRUST_200600_302600_NS17counting_iteratorIyNS8_11use_defaultESA_SA_EEPlZNS1_13binary_searchIS3_S5_PySB_SC_NS1_21lower_bound_search_opENS8_6detail16wrapped_functionI11custom_lessbEEEE10hipError_tPvRmT1_T2_T3_mmT4_T5_P12ihipStream_tbEUlRKyE_EESK_SO_SP_mSQ_ST_bEUlT_E_NS1_11comp_targetILNS1_3genE3ELNS1_11target_archE908ELNS1_3gpuE7ELNS1_3repE0EEENS1_30default_config_static_selectorELNS0_4arch9wavefront6targetE1EEEvSN_
                                        ; -- End function
	.section	.AMDGPU.csdata,"",@progbits
; Kernel info:
; codeLenInByte = 0
; NumSgprs: 4
; NumVgprs: 0
; NumAgprs: 0
; TotalNumVgprs: 0
; ScratchSize: 0
; MemoryBound: 0
; FloatMode: 240
; IeeeMode: 1
; LDSByteSize: 0 bytes/workgroup (compile time only)
; SGPRBlocks: 0
; VGPRBlocks: 0
; NumSGPRsForWavesPerEU: 4
; NumVGPRsForWavesPerEU: 1
; AccumOffset: 4
; Occupancy: 8
; WaveLimiterHint : 0
; COMPUTE_PGM_RSRC2:SCRATCH_EN: 0
; COMPUTE_PGM_RSRC2:USER_SGPR: 6
; COMPUTE_PGM_RSRC2:TRAP_HANDLER: 0
; COMPUTE_PGM_RSRC2:TGID_X_EN: 1
; COMPUTE_PGM_RSRC2:TGID_Y_EN: 0
; COMPUTE_PGM_RSRC2:TGID_Z_EN: 0
; COMPUTE_PGM_RSRC2:TIDIG_COMP_CNT: 0
; COMPUTE_PGM_RSRC3_GFX90A:ACCUM_OFFSET: 0
; COMPUTE_PGM_RSRC3_GFX90A:TG_SPLIT: 0
	.section	.text._ZN7rocprim17ROCPRIM_400000_NS6detail17trampoline_kernelINS0_14default_configENS1_27lower_bound_config_selectorIylEEZNS1_14transform_implILb0ES3_S5_N6thrust23THRUST_200600_302600_NS17counting_iteratorIyNS8_11use_defaultESA_SA_EEPlZNS1_13binary_searchIS3_S5_PySB_SC_NS1_21lower_bound_search_opENS8_6detail16wrapped_functionI11custom_lessbEEEE10hipError_tPvRmT1_T2_T3_mmT4_T5_P12ihipStream_tbEUlRKyE_EESK_SO_SP_mSQ_ST_bEUlT_E_NS1_11comp_targetILNS1_3genE2ELNS1_11target_archE906ELNS1_3gpuE6ELNS1_3repE0EEENS1_30default_config_static_selectorELNS0_4arch9wavefront6targetE1EEEvSN_,"axG",@progbits,_ZN7rocprim17ROCPRIM_400000_NS6detail17trampoline_kernelINS0_14default_configENS1_27lower_bound_config_selectorIylEEZNS1_14transform_implILb0ES3_S5_N6thrust23THRUST_200600_302600_NS17counting_iteratorIyNS8_11use_defaultESA_SA_EEPlZNS1_13binary_searchIS3_S5_PySB_SC_NS1_21lower_bound_search_opENS8_6detail16wrapped_functionI11custom_lessbEEEE10hipError_tPvRmT1_T2_T3_mmT4_T5_P12ihipStream_tbEUlRKyE_EESK_SO_SP_mSQ_ST_bEUlT_E_NS1_11comp_targetILNS1_3genE2ELNS1_11target_archE906ELNS1_3gpuE6ELNS1_3repE0EEENS1_30default_config_static_selectorELNS0_4arch9wavefront6targetE1EEEvSN_,comdat
	.protected	_ZN7rocprim17ROCPRIM_400000_NS6detail17trampoline_kernelINS0_14default_configENS1_27lower_bound_config_selectorIylEEZNS1_14transform_implILb0ES3_S5_N6thrust23THRUST_200600_302600_NS17counting_iteratorIyNS8_11use_defaultESA_SA_EEPlZNS1_13binary_searchIS3_S5_PySB_SC_NS1_21lower_bound_search_opENS8_6detail16wrapped_functionI11custom_lessbEEEE10hipError_tPvRmT1_T2_T3_mmT4_T5_P12ihipStream_tbEUlRKyE_EESK_SO_SP_mSQ_ST_bEUlT_E_NS1_11comp_targetILNS1_3genE2ELNS1_11target_archE906ELNS1_3gpuE6ELNS1_3repE0EEENS1_30default_config_static_selectorELNS0_4arch9wavefront6targetE1EEEvSN_ ; -- Begin function _ZN7rocprim17ROCPRIM_400000_NS6detail17trampoline_kernelINS0_14default_configENS1_27lower_bound_config_selectorIylEEZNS1_14transform_implILb0ES3_S5_N6thrust23THRUST_200600_302600_NS17counting_iteratorIyNS8_11use_defaultESA_SA_EEPlZNS1_13binary_searchIS3_S5_PySB_SC_NS1_21lower_bound_search_opENS8_6detail16wrapped_functionI11custom_lessbEEEE10hipError_tPvRmT1_T2_T3_mmT4_T5_P12ihipStream_tbEUlRKyE_EESK_SO_SP_mSQ_ST_bEUlT_E_NS1_11comp_targetILNS1_3genE2ELNS1_11target_archE906ELNS1_3gpuE6ELNS1_3repE0EEENS1_30default_config_static_selectorELNS0_4arch9wavefront6targetE1EEEvSN_
	.globl	_ZN7rocprim17ROCPRIM_400000_NS6detail17trampoline_kernelINS0_14default_configENS1_27lower_bound_config_selectorIylEEZNS1_14transform_implILb0ES3_S5_N6thrust23THRUST_200600_302600_NS17counting_iteratorIyNS8_11use_defaultESA_SA_EEPlZNS1_13binary_searchIS3_S5_PySB_SC_NS1_21lower_bound_search_opENS8_6detail16wrapped_functionI11custom_lessbEEEE10hipError_tPvRmT1_T2_T3_mmT4_T5_P12ihipStream_tbEUlRKyE_EESK_SO_SP_mSQ_ST_bEUlT_E_NS1_11comp_targetILNS1_3genE2ELNS1_11target_archE906ELNS1_3gpuE6ELNS1_3repE0EEENS1_30default_config_static_selectorELNS0_4arch9wavefront6targetE1EEEvSN_
	.p2align	8
	.type	_ZN7rocprim17ROCPRIM_400000_NS6detail17trampoline_kernelINS0_14default_configENS1_27lower_bound_config_selectorIylEEZNS1_14transform_implILb0ES3_S5_N6thrust23THRUST_200600_302600_NS17counting_iteratorIyNS8_11use_defaultESA_SA_EEPlZNS1_13binary_searchIS3_S5_PySB_SC_NS1_21lower_bound_search_opENS8_6detail16wrapped_functionI11custom_lessbEEEE10hipError_tPvRmT1_T2_T3_mmT4_T5_P12ihipStream_tbEUlRKyE_EESK_SO_SP_mSQ_ST_bEUlT_E_NS1_11comp_targetILNS1_3genE2ELNS1_11target_archE906ELNS1_3gpuE6ELNS1_3repE0EEENS1_30default_config_static_selectorELNS0_4arch9wavefront6targetE1EEEvSN_,@function
_ZN7rocprim17ROCPRIM_400000_NS6detail17trampoline_kernelINS0_14default_configENS1_27lower_bound_config_selectorIylEEZNS1_14transform_implILb0ES3_S5_N6thrust23THRUST_200600_302600_NS17counting_iteratorIyNS8_11use_defaultESA_SA_EEPlZNS1_13binary_searchIS3_S5_PySB_SC_NS1_21lower_bound_search_opENS8_6detail16wrapped_functionI11custom_lessbEEEE10hipError_tPvRmT1_T2_T3_mmT4_T5_P12ihipStream_tbEUlRKyE_EESK_SO_SP_mSQ_ST_bEUlT_E_NS1_11comp_targetILNS1_3genE2ELNS1_11target_archE906ELNS1_3gpuE6ELNS1_3repE0EEENS1_30default_config_static_selectorELNS0_4arch9wavefront6targetE1EEEvSN_: ; @_ZN7rocprim17ROCPRIM_400000_NS6detail17trampoline_kernelINS0_14default_configENS1_27lower_bound_config_selectorIylEEZNS1_14transform_implILb0ES3_S5_N6thrust23THRUST_200600_302600_NS17counting_iteratorIyNS8_11use_defaultESA_SA_EEPlZNS1_13binary_searchIS3_S5_PySB_SC_NS1_21lower_bound_search_opENS8_6detail16wrapped_functionI11custom_lessbEEEE10hipError_tPvRmT1_T2_T3_mmT4_T5_P12ihipStream_tbEUlRKyE_EESK_SO_SP_mSQ_ST_bEUlT_E_NS1_11comp_targetILNS1_3genE2ELNS1_11target_archE906ELNS1_3gpuE6ELNS1_3repE0EEENS1_30default_config_static_selectorELNS0_4arch9wavefront6targetE1EEEvSN_
; %bb.0:
	.section	.rodata,"a",@progbits
	.p2align	6, 0x0
	.amdhsa_kernel _ZN7rocprim17ROCPRIM_400000_NS6detail17trampoline_kernelINS0_14default_configENS1_27lower_bound_config_selectorIylEEZNS1_14transform_implILb0ES3_S5_N6thrust23THRUST_200600_302600_NS17counting_iteratorIyNS8_11use_defaultESA_SA_EEPlZNS1_13binary_searchIS3_S5_PySB_SC_NS1_21lower_bound_search_opENS8_6detail16wrapped_functionI11custom_lessbEEEE10hipError_tPvRmT1_T2_T3_mmT4_T5_P12ihipStream_tbEUlRKyE_EESK_SO_SP_mSQ_ST_bEUlT_E_NS1_11comp_targetILNS1_3genE2ELNS1_11target_archE906ELNS1_3gpuE6ELNS1_3repE0EEENS1_30default_config_static_selectorELNS0_4arch9wavefront6targetE1EEEvSN_
		.amdhsa_group_segment_fixed_size 0
		.amdhsa_private_segment_fixed_size 0
		.amdhsa_kernarg_size 56
		.amdhsa_user_sgpr_count 6
		.amdhsa_user_sgpr_private_segment_buffer 1
		.amdhsa_user_sgpr_dispatch_ptr 0
		.amdhsa_user_sgpr_queue_ptr 0
		.amdhsa_user_sgpr_kernarg_segment_ptr 1
		.amdhsa_user_sgpr_dispatch_id 0
		.amdhsa_user_sgpr_flat_scratch_init 0
		.amdhsa_user_sgpr_kernarg_preload_length 0
		.amdhsa_user_sgpr_kernarg_preload_offset 0
		.amdhsa_user_sgpr_private_segment_size 0
		.amdhsa_uses_dynamic_stack 0
		.amdhsa_system_sgpr_private_segment_wavefront_offset 0
		.amdhsa_system_sgpr_workgroup_id_x 1
		.amdhsa_system_sgpr_workgroup_id_y 0
		.amdhsa_system_sgpr_workgroup_id_z 0
		.amdhsa_system_sgpr_workgroup_info 0
		.amdhsa_system_vgpr_workitem_id 0
		.amdhsa_next_free_vgpr 1
		.amdhsa_next_free_sgpr 0
		.amdhsa_accum_offset 4
		.amdhsa_reserve_vcc 0
		.amdhsa_reserve_flat_scratch 0
		.amdhsa_float_round_mode_32 0
		.amdhsa_float_round_mode_16_64 0
		.amdhsa_float_denorm_mode_32 3
		.amdhsa_float_denorm_mode_16_64 3
		.amdhsa_dx10_clamp 1
		.amdhsa_ieee_mode 1
		.amdhsa_fp16_overflow 0
		.amdhsa_tg_split 0
		.amdhsa_exception_fp_ieee_invalid_op 0
		.amdhsa_exception_fp_denorm_src 0
		.amdhsa_exception_fp_ieee_div_zero 0
		.amdhsa_exception_fp_ieee_overflow 0
		.amdhsa_exception_fp_ieee_underflow 0
		.amdhsa_exception_fp_ieee_inexact 0
		.amdhsa_exception_int_div_zero 0
	.end_amdhsa_kernel
	.section	.text._ZN7rocprim17ROCPRIM_400000_NS6detail17trampoline_kernelINS0_14default_configENS1_27lower_bound_config_selectorIylEEZNS1_14transform_implILb0ES3_S5_N6thrust23THRUST_200600_302600_NS17counting_iteratorIyNS8_11use_defaultESA_SA_EEPlZNS1_13binary_searchIS3_S5_PySB_SC_NS1_21lower_bound_search_opENS8_6detail16wrapped_functionI11custom_lessbEEEE10hipError_tPvRmT1_T2_T3_mmT4_T5_P12ihipStream_tbEUlRKyE_EESK_SO_SP_mSQ_ST_bEUlT_E_NS1_11comp_targetILNS1_3genE2ELNS1_11target_archE906ELNS1_3gpuE6ELNS1_3repE0EEENS1_30default_config_static_selectorELNS0_4arch9wavefront6targetE1EEEvSN_,"axG",@progbits,_ZN7rocprim17ROCPRIM_400000_NS6detail17trampoline_kernelINS0_14default_configENS1_27lower_bound_config_selectorIylEEZNS1_14transform_implILb0ES3_S5_N6thrust23THRUST_200600_302600_NS17counting_iteratorIyNS8_11use_defaultESA_SA_EEPlZNS1_13binary_searchIS3_S5_PySB_SC_NS1_21lower_bound_search_opENS8_6detail16wrapped_functionI11custom_lessbEEEE10hipError_tPvRmT1_T2_T3_mmT4_T5_P12ihipStream_tbEUlRKyE_EESK_SO_SP_mSQ_ST_bEUlT_E_NS1_11comp_targetILNS1_3genE2ELNS1_11target_archE906ELNS1_3gpuE6ELNS1_3repE0EEENS1_30default_config_static_selectorELNS0_4arch9wavefront6targetE1EEEvSN_,comdat
.Lfunc_end29:
	.size	_ZN7rocprim17ROCPRIM_400000_NS6detail17trampoline_kernelINS0_14default_configENS1_27lower_bound_config_selectorIylEEZNS1_14transform_implILb0ES3_S5_N6thrust23THRUST_200600_302600_NS17counting_iteratorIyNS8_11use_defaultESA_SA_EEPlZNS1_13binary_searchIS3_S5_PySB_SC_NS1_21lower_bound_search_opENS8_6detail16wrapped_functionI11custom_lessbEEEE10hipError_tPvRmT1_T2_T3_mmT4_T5_P12ihipStream_tbEUlRKyE_EESK_SO_SP_mSQ_ST_bEUlT_E_NS1_11comp_targetILNS1_3genE2ELNS1_11target_archE906ELNS1_3gpuE6ELNS1_3repE0EEENS1_30default_config_static_selectorELNS0_4arch9wavefront6targetE1EEEvSN_, .Lfunc_end29-_ZN7rocprim17ROCPRIM_400000_NS6detail17trampoline_kernelINS0_14default_configENS1_27lower_bound_config_selectorIylEEZNS1_14transform_implILb0ES3_S5_N6thrust23THRUST_200600_302600_NS17counting_iteratorIyNS8_11use_defaultESA_SA_EEPlZNS1_13binary_searchIS3_S5_PySB_SC_NS1_21lower_bound_search_opENS8_6detail16wrapped_functionI11custom_lessbEEEE10hipError_tPvRmT1_T2_T3_mmT4_T5_P12ihipStream_tbEUlRKyE_EESK_SO_SP_mSQ_ST_bEUlT_E_NS1_11comp_targetILNS1_3genE2ELNS1_11target_archE906ELNS1_3gpuE6ELNS1_3repE0EEENS1_30default_config_static_selectorELNS0_4arch9wavefront6targetE1EEEvSN_
                                        ; -- End function
	.section	.AMDGPU.csdata,"",@progbits
; Kernel info:
; codeLenInByte = 0
; NumSgprs: 4
; NumVgprs: 0
; NumAgprs: 0
; TotalNumVgprs: 0
; ScratchSize: 0
; MemoryBound: 0
; FloatMode: 240
; IeeeMode: 1
; LDSByteSize: 0 bytes/workgroup (compile time only)
; SGPRBlocks: 0
; VGPRBlocks: 0
; NumSGPRsForWavesPerEU: 4
; NumVGPRsForWavesPerEU: 1
; AccumOffset: 4
; Occupancy: 8
; WaveLimiterHint : 0
; COMPUTE_PGM_RSRC2:SCRATCH_EN: 0
; COMPUTE_PGM_RSRC2:USER_SGPR: 6
; COMPUTE_PGM_RSRC2:TRAP_HANDLER: 0
; COMPUTE_PGM_RSRC2:TGID_X_EN: 1
; COMPUTE_PGM_RSRC2:TGID_Y_EN: 0
; COMPUTE_PGM_RSRC2:TGID_Z_EN: 0
; COMPUTE_PGM_RSRC2:TIDIG_COMP_CNT: 0
; COMPUTE_PGM_RSRC3_GFX90A:ACCUM_OFFSET: 0
; COMPUTE_PGM_RSRC3_GFX90A:TG_SPLIT: 0
	.section	.text._ZN7rocprim17ROCPRIM_400000_NS6detail17trampoline_kernelINS0_14default_configENS1_27lower_bound_config_selectorIylEEZNS1_14transform_implILb0ES3_S5_N6thrust23THRUST_200600_302600_NS17counting_iteratorIyNS8_11use_defaultESA_SA_EEPlZNS1_13binary_searchIS3_S5_PySB_SC_NS1_21lower_bound_search_opENS8_6detail16wrapped_functionI11custom_lessbEEEE10hipError_tPvRmT1_T2_T3_mmT4_T5_P12ihipStream_tbEUlRKyE_EESK_SO_SP_mSQ_ST_bEUlT_E_NS1_11comp_targetILNS1_3genE10ELNS1_11target_archE1201ELNS1_3gpuE5ELNS1_3repE0EEENS1_30default_config_static_selectorELNS0_4arch9wavefront6targetE1EEEvSN_,"axG",@progbits,_ZN7rocprim17ROCPRIM_400000_NS6detail17trampoline_kernelINS0_14default_configENS1_27lower_bound_config_selectorIylEEZNS1_14transform_implILb0ES3_S5_N6thrust23THRUST_200600_302600_NS17counting_iteratorIyNS8_11use_defaultESA_SA_EEPlZNS1_13binary_searchIS3_S5_PySB_SC_NS1_21lower_bound_search_opENS8_6detail16wrapped_functionI11custom_lessbEEEE10hipError_tPvRmT1_T2_T3_mmT4_T5_P12ihipStream_tbEUlRKyE_EESK_SO_SP_mSQ_ST_bEUlT_E_NS1_11comp_targetILNS1_3genE10ELNS1_11target_archE1201ELNS1_3gpuE5ELNS1_3repE0EEENS1_30default_config_static_selectorELNS0_4arch9wavefront6targetE1EEEvSN_,comdat
	.protected	_ZN7rocprim17ROCPRIM_400000_NS6detail17trampoline_kernelINS0_14default_configENS1_27lower_bound_config_selectorIylEEZNS1_14transform_implILb0ES3_S5_N6thrust23THRUST_200600_302600_NS17counting_iteratorIyNS8_11use_defaultESA_SA_EEPlZNS1_13binary_searchIS3_S5_PySB_SC_NS1_21lower_bound_search_opENS8_6detail16wrapped_functionI11custom_lessbEEEE10hipError_tPvRmT1_T2_T3_mmT4_T5_P12ihipStream_tbEUlRKyE_EESK_SO_SP_mSQ_ST_bEUlT_E_NS1_11comp_targetILNS1_3genE10ELNS1_11target_archE1201ELNS1_3gpuE5ELNS1_3repE0EEENS1_30default_config_static_selectorELNS0_4arch9wavefront6targetE1EEEvSN_ ; -- Begin function _ZN7rocprim17ROCPRIM_400000_NS6detail17trampoline_kernelINS0_14default_configENS1_27lower_bound_config_selectorIylEEZNS1_14transform_implILb0ES3_S5_N6thrust23THRUST_200600_302600_NS17counting_iteratorIyNS8_11use_defaultESA_SA_EEPlZNS1_13binary_searchIS3_S5_PySB_SC_NS1_21lower_bound_search_opENS8_6detail16wrapped_functionI11custom_lessbEEEE10hipError_tPvRmT1_T2_T3_mmT4_T5_P12ihipStream_tbEUlRKyE_EESK_SO_SP_mSQ_ST_bEUlT_E_NS1_11comp_targetILNS1_3genE10ELNS1_11target_archE1201ELNS1_3gpuE5ELNS1_3repE0EEENS1_30default_config_static_selectorELNS0_4arch9wavefront6targetE1EEEvSN_
	.globl	_ZN7rocprim17ROCPRIM_400000_NS6detail17trampoline_kernelINS0_14default_configENS1_27lower_bound_config_selectorIylEEZNS1_14transform_implILb0ES3_S5_N6thrust23THRUST_200600_302600_NS17counting_iteratorIyNS8_11use_defaultESA_SA_EEPlZNS1_13binary_searchIS3_S5_PySB_SC_NS1_21lower_bound_search_opENS8_6detail16wrapped_functionI11custom_lessbEEEE10hipError_tPvRmT1_T2_T3_mmT4_T5_P12ihipStream_tbEUlRKyE_EESK_SO_SP_mSQ_ST_bEUlT_E_NS1_11comp_targetILNS1_3genE10ELNS1_11target_archE1201ELNS1_3gpuE5ELNS1_3repE0EEENS1_30default_config_static_selectorELNS0_4arch9wavefront6targetE1EEEvSN_
	.p2align	8
	.type	_ZN7rocprim17ROCPRIM_400000_NS6detail17trampoline_kernelINS0_14default_configENS1_27lower_bound_config_selectorIylEEZNS1_14transform_implILb0ES3_S5_N6thrust23THRUST_200600_302600_NS17counting_iteratorIyNS8_11use_defaultESA_SA_EEPlZNS1_13binary_searchIS3_S5_PySB_SC_NS1_21lower_bound_search_opENS8_6detail16wrapped_functionI11custom_lessbEEEE10hipError_tPvRmT1_T2_T3_mmT4_T5_P12ihipStream_tbEUlRKyE_EESK_SO_SP_mSQ_ST_bEUlT_E_NS1_11comp_targetILNS1_3genE10ELNS1_11target_archE1201ELNS1_3gpuE5ELNS1_3repE0EEENS1_30default_config_static_selectorELNS0_4arch9wavefront6targetE1EEEvSN_,@function
_ZN7rocprim17ROCPRIM_400000_NS6detail17trampoline_kernelINS0_14default_configENS1_27lower_bound_config_selectorIylEEZNS1_14transform_implILb0ES3_S5_N6thrust23THRUST_200600_302600_NS17counting_iteratorIyNS8_11use_defaultESA_SA_EEPlZNS1_13binary_searchIS3_S5_PySB_SC_NS1_21lower_bound_search_opENS8_6detail16wrapped_functionI11custom_lessbEEEE10hipError_tPvRmT1_T2_T3_mmT4_T5_P12ihipStream_tbEUlRKyE_EESK_SO_SP_mSQ_ST_bEUlT_E_NS1_11comp_targetILNS1_3genE10ELNS1_11target_archE1201ELNS1_3gpuE5ELNS1_3repE0EEENS1_30default_config_static_selectorELNS0_4arch9wavefront6targetE1EEEvSN_: ; @_ZN7rocprim17ROCPRIM_400000_NS6detail17trampoline_kernelINS0_14default_configENS1_27lower_bound_config_selectorIylEEZNS1_14transform_implILb0ES3_S5_N6thrust23THRUST_200600_302600_NS17counting_iteratorIyNS8_11use_defaultESA_SA_EEPlZNS1_13binary_searchIS3_S5_PySB_SC_NS1_21lower_bound_search_opENS8_6detail16wrapped_functionI11custom_lessbEEEE10hipError_tPvRmT1_T2_T3_mmT4_T5_P12ihipStream_tbEUlRKyE_EESK_SO_SP_mSQ_ST_bEUlT_E_NS1_11comp_targetILNS1_3genE10ELNS1_11target_archE1201ELNS1_3gpuE5ELNS1_3repE0EEENS1_30default_config_static_selectorELNS0_4arch9wavefront6targetE1EEEvSN_
; %bb.0:
	.section	.rodata,"a",@progbits
	.p2align	6, 0x0
	.amdhsa_kernel _ZN7rocprim17ROCPRIM_400000_NS6detail17trampoline_kernelINS0_14default_configENS1_27lower_bound_config_selectorIylEEZNS1_14transform_implILb0ES3_S5_N6thrust23THRUST_200600_302600_NS17counting_iteratorIyNS8_11use_defaultESA_SA_EEPlZNS1_13binary_searchIS3_S5_PySB_SC_NS1_21lower_bound_search_opENS8_6detail16wrapped_functionI11custom_lessbEEEE10hipError_tPvRmT1_T2_T3_mmT4_T5_P12ihipStream_tbEUlRKyE_EESK_SO_SP_mSQ_ST_bEUlT_E_NS1_11comp_targetILNS1_3genE10ELNS1_11target_archE1201ELNS1_3gpuE5ELNS1_3repE0EEENS1_30default_config_static_selectorELNS0_4arch9wavefront6targetE1EEEvSN_
		.amdhsa_group_segment_fixed_size 0
		.amdhsa_private_segment_fixed_size 0
		.amdhsa_kernarg_size 56
		.amdhsa_user_sgpr_count 6
		.amdhsa_user_sgpr_private_segment_buffer 1
		.amdhsa_user_sgpr_dispatch_ptr 0
		.amdhsa_user_sgpr_queue_ptr 0
		.amdhsa_user_sgpr_kernarg_segment_ptr 1
		.amdhsa_user_sgpr_dispatch_id 0
		.amdhsa_user_sgpr_flat_scratch_init 0
		.amdhsa_user_sgpr_kernarg_preload_length 0
		.amdhsa_user_sgpr_kernarg_preload_offset 0
		.amdhsa_user_sgpr_private_segment_size 0
		.amdhsa_uses_dynamic_stack 0
		.amdhsa_system_sgpr_private_segment_wavefront_offset 0
		.amdhsa_system_sgpr_workgroup_id_x 1
		.amdhsa_system_sgpr_workgroup_id_y 0
		.amdhsa_system_sgpr_workgroup_id_z 0
		.amdhsa_system_sgpr_workgroup_info 0
		.amdhsa_system_vgpr_workitem_id 0
		.amdhsa_next_free_vgpr 1
		.amdhsa_next_free_sgpr 0
		.amdhsa_accum_offset 4
		.amdhsa_reserve_vcc 0
		.amdhsa_reserve_flat_scratch 0
		.amdhsa_float_round_mode_32 0
		.amdhsa_float_round_mode_16_64 0
		.amdhsa_float_denorm_mode_32 3
		.amdhsa_float_denorm_mode_16_64 3
		.amdhsa_dx10_clamp 1
		.amdhsa_ieee_mode 1
		.amdhsa_fp16_overflow 0
		.amdhsa_tg_split 0
		.amdhsa_exception_fp_ieee_invalid_op 0
		.amdhsa_exception_fp_denorm_src 0
		.amdhsa_exception_fp_ieee_div_zero 0
		.amdhsa_exception_fp_ieee_overflow 0
		.amdhsa_exception_fp_ieee_underflow 0
		.amdhsa_exception_fp_ieee_inexact 0
		.amdhsa_exception_int_div_zero 0
	.end_amdhsa_kernel
	.section	.text._ZN7rocprim17ROCPRIM_400000_NS6detail17trampoline_kernelINS0_14default_configENS1_27lower_bound_config_selectorIylEEZNS1_14transform_implILb0ES3_S5_N6thrust23THRUST_200600_302600_NS17counting_iteratorIyNS8_11use_defaultESA_SA_EEPlZNS1_13binary_searchIS3_S5_PySB_SC_NS1_21lower_bound_search_opENS8_6detail16wrapped_functionI11custom_lessbEEEE10hipError_tPvRmT1_T2_T3_mmT4_T5_P12ihipStream_tbEUlRKyE_EESK_SO_SP_mSQ_ST_bEUlT_E_NS1_11comp_targetILNS1_3genE10ELNS1_11target_archE1201ELNS1_3gpuE5ELNS1_3repE0EEENS1_30default_config_static_selectorELNS0_4arch9wavefront6targetE1EEEvSN_,"axG",@progbits,_ZN7rocprim17ROCPRIM_400000_NS6detail17trampoline_kernelINS0_14default_configENS1_27lower_bound_config_selectorIylEEZNS1_14transform_implILb0ES3_S5_N6thrust23THRUST_200600_302600_NS17counting_iteratorIyNS8_11use_defaultESA_SA_EEPlZNS1_13binary_searchIS3_S5_PySB_SC_NS1_21lower_bound_search_opENS8_6detail16wrapped_functionI11custom_lessbEEEE10hipError_tPvRmT1_T2_T3_mmT4_T5_P12ihipStream_tbEUlRKyE_EESK_SO_SP_mSQ_ST_bEUlT_E_NS1_11comp_targetILNS1_3genE10ELNS1_11target_archE1201ELNS1_3gpuE5ELNS1_3repE0EEENS1_30default_config_static_selectorELNS0_4arch9wavefront6targetE1EEEvSN_,comdat
.Lfunc_end30:
	.size	_ZN7rocprim17ROCPRIM_400000_NS6detail17trampoline_kernelINS0_14default_configENS1_27lower_bound_config_selectorIylEEZNS1_14transform_implILb0ES3_S5_N6thrust23THRUST_200600_302600_NS17counting_iteratorIyNS8_11use_defaultESA_SA_EEPlZNS1_13binary_searchIS3_S5_PySB_SC_NS1_21lower_bound_search_opENS8_6detail16wrapped_functionI11custom_lessbEEEE10hipError_tPvRmT1_T2_T3_mmT4_T5_P12ihipStream_tbEUlRKyE_EESK_SO_SP_mSQ_ST_bEUlT_E_NS1_11comp_targetILNS1_3genE10ELNS1_11target_archE1201ELNS1_3gpuE5ELNS1_3repE0EEENS1_30default_config_static_selectorELNS0_4arch9wavefront6targetE1EEEvSN_, .Lfunc_end30-_ZN7rocprim17ROCPRIM_400000_NS6detail17trampoline_kernelINS0_14default_configENS1_27lower_bound_config_selectorIylEEZNS1_14transform_implILb0ES3_S5_N6thrust23THRUST_200600_302600_NS17counting_iteratorIyNS8_11use_defaultESA_SA_EEPlZNS1_13binary_searchIS3_S5_PySB_SC_NS1_21lower_bound_search_opENS8_6detail16wrapped_functionI11custom_lessbEEEE10hipError_tPvRmT1_T2_T3_mmT4_T5_P12ihipStream_tbEUlRKyE_EESK_SO_SP_mSQ_ST_bEUlT_E_NS1_11comp_targetILNS1_3genE10ELNS1_11target_archE1201ELNS1_3gpuE5ELNS1_3repE0EEENS1_30default_config_static_selectorELNS0_4arch9wavefront6targetE1EEEvSN_
                                        ; -- End function
	.section	.AMDGPU.csdata,"",@progbits
; Kernel info:
; codeLenInByte = 0
; NumSgprs: 4
; NumVgprs: 0
; NumAgprs: 0
; TotalNumVgprs: 0
; ScratchSize: 0
; MemoryBound: 0
; FloatMode: 240
; IeeeMode: 1
; LDSByteSize: 0 bytes/workgroup (compile time only)
; SGPRBlocks: 0
; VGPRBlocks: 0
; NumSGPRsForWavesPerEU: 4
; NumVGPRsForWavesPerEU: 1
; AccumOffset: 4
; Occupancy: 8
; WaveLimiterHint : 0
; COMPUTE_PGM_RSRC2:SCRATCH_EN: 0
; COMPUTE_PGM_RSRC2:USER_SGPR: 6
; COMPUTE_PGM_RSRC2:TRAP_HANDLER: 0
; COMPUTE_PGM_RSRC2:TGID_X_EN: 1
; COMPUTE_PGM_RSRC2:TGID_Y_EN: 0
; COMPUTE_PGM_RSRC2:TGID_Z_EN: 0
; COMPUTE_PGM_RSRC2:TIDIG_COMP_CNT: 0
; COMPUTE_PGM_RSRC3_GFX90A:ACCUM_OFFSET: 0
; COMPUTE_PGM_RSRC3_GFX90A:TG_SPLIT: 0
	.section	.text._ZN7rocprim17ROCPRIM_400000_NS6detail17trampoline_kernelINS0_14default_configENS1_27lower_bound_config_selectorIylEEZNS1_14transform_implILb0ES3_S5_N6thrust23THRUST_200600_302600_NS17counting_iteratorIyNS8_11use_defaultESA_SA_EEPlZNS1_13binary_searchIS3_S5_PySB_SC_NS1_21lower_bound_search_opENS8_6detail16wrapped_functionI11custom_lessbEEEE10hipError_tPvRmT1_T2_T3_mmT4_T5_P12ihipStream_tbEUlRKyE_EESK_SO_SP_mSQ_ST_bEUlT_E_NS1_11comp_targetILNS1_3genE10ELNS1_11target_archE1200ELNS1_3gpuE4ELNS1_3repE0EEENS1_30default_config_static_selectorELNS0_4arch9wavefront6targetE1EEEvSN_,"axG",@progbits,_ZN7rocprim17ROCPRIM_400000_NS6detail17trampoline_kernelINS0_14default_configENS1_27lower_bound_config_selectorIylEEZNS1_14transform_implILb0ES3_S5_N6thrust23THRUST_200600_302600_NS17counting_iteratorIyNS8_11use_defaultESA_SA_EEPlZNS1_13binary_searchIS3_S5_PySB_SC_NS1_21lower_bound_search_opENS8_6detail16wrapped_functionI11custom_lessbEEEE10hipError_tPvRmT1_T2_T3_mmT4_T5_P12ihipStream_tbEUlRKyE_EESK_SO_SP_mSQ_ST_bEUlT_E_NS1_11comp_targetILNS1_3genE10ELNS1_11target_archE1200ELNS1_3gpuE4ELNS1_3repE0EEENS1_30default_config_static_selectorELNS0_4arch9wavefront6targetE1EEEvSN_,comdat
	.protected	_ZN7rocprim17ROCPRIM_400000_NS6detail17trampoline_kernelINS0_14default_configENS1_27lower_bound_config_selectorIylEEZNS1_14transform_implILb0ES3_S5_N6thrust23THRUST_200600_302600_NS17counting_iteratorIyNS8_11use_defaultESA_SA_EEPlZNS1_13binary_searchIS3_S5_PySB_SC_NS1_21lower_bound_search_opENS8_6detail16wrapped_functionI11custom_lessbEEEE10hipError_tPvRmT1_T2_T3_mmT4_T5_P12ihipStream_tbEUlRKyE_EESK_SO_SP_mSQ_ST_bEUlT_E_NS1_11comp_targetILNS1_3genE10ELNS1_11target_archE1200ELNS1_3gpuE4ELNS1_3repE0EEENS1_30default_config_static_selectorELNS0_4arch9wavefront6targetE1EEEvSN_ ; -- Begin function _ZN7rocprim17ROCPRIM_400000_NS6detail17trampoline_kernelINS0_14default_configENS1_27lower_bound_config_selectorIylEEZNS1_14transform_implILb0ES3_S5_N6thrust23THRUST_200600_302600_NS17counting_iteratorIyNS8_11use_defaultESA_SA_EEPlZNS1_13binary_searchIS3_S5_PySB_SC_NS1_21lower_bound_search_opENS8_6detail16wrapped_functionI11custom_lessbEEEE10hipError_tPvRmT1_T2_T3_mmT4_T5_P12ihipStream_tbEUlRKyE_EESK_SO_SP_mSQ_ST_bEUlT_E_NS1_11comp_targetILNS1_3genE10ELNS1_11target_archE1200ELNS1_3gpuE4ELNS1_3repE0EEENS1_30default_config_static_selectorELNS0_4arch9wavefront6targetE1EEEvSN_
	.globl	_ZN7rocprim17ROCPRIM_400000_NS6detail17trampoline_kernelINS0_14default_configENS1_27lower_bound_config_selectorIylEEZNS1_14transform_implILb0ES3_S5_N6thrust23THRUST_200600_302600_NS17counting_iteratorIyNS8_11use_defaultESA_SA_EEPlZNS1_13binary_searchIS3_S5_PySB_SC_NS1_21lower_bound_search_opENS8_6detail16wrapped_functionI11custom_lessbEEEE10hipError_tPvRmT1_T2_T3_mmT4_T5_P12ihipStream_tbEUlRKyE_EESK_SO_SP_mSQ_ST_bEUlT_E_NS1_11comp_targetILNS1_3genE10ELNS1_11target_archE1200ELNS1_3gpuE4ELNS1_3repE0EEENS1_30default_config_static_selectorELNS0_4arch9wavefront6targetE1EEEvSN_
	.p2align	8
	.type	_ZN7rocprim17ROCPRIM_400000_NS6detail17trampoline_kernelINS0_14default_configENS1_27lower_bound_config_selectorIylEEZNS1_14transform_implILb0ES3_S5_N6thrust23THRUST_200600_302600_NS17counting_iteratorIyNS8_11use_defaultESA_SA_EEPlZNS1_13binary_searchIS3_S5_PySB_SC_NS1_21lower_bound_search_opENS8_6detail16wrapped_functionI11custom_lessbEEEE10hipError_tPvRmT1_T2_T3_mmT4_T5_P12ihipStream_tbEUlRKyE_EESK_SO_SP_mSQ_ST_bEUlT_E_NS1_11comp_targetILNS1_3genE10ELNS1_11target_archE1200ELNS1_3gpuE4ELNS1_3repE0EEENS1_30default_config_static_selectorELNS0_4arch9wavefront6targetE1EEEvSN_,@function
_ZN7rocprim17ROCPRIM_400000_NS6detail17trampoline_kernelINS0_14default_configENS1_27lower_bound_config_selectorIylEEZNS1_14transform_implILb0ES3_S5_N6thrust23THRUST_200600_302600_NS17counting_iteratorIyNS8_11use_defaultESA_SA_EEPlZNS1_13binary_searchIS3_S5_PySB_SC_NS1_21lower_bound_search_opENS8_6detail16wrapped_functionI11custom_lessbEEEE10hipError_tPvRmT1_T2_T3_mmT4_T5_P12ihipStream_tbEUlRKyE_EESK_SO_SP_mSQ_ST_bEUlT_E_NS1_11comp_targetILNS1_3genE10ELNS1_11target_archE1200ELNS1_3gpuE4ELNS1_3repE0EEENS1_30default_config_static_selectorELNS0_4arch9wavefront6targetE1EEEvSN_: ; @_ZN7rocprim17ROCPRIM_400000_NS6detail17trampoline_kernelINS0_14default_configENS1_27lower_bound_config_selectorIylEEZNS1_14transform_implILb0ES3_S5_N6thrust23THRUST_200600_302600_NS17counting_iteratorIyNS8_11use_defaultESA_SA_EEPlZNS1_13binary_searchIS3_S5_PySB_SC_NS1_21lower_bound_search_opENS8_6detail16wrapped_functionI11custom_lessbEEEE10hipError_tPvRmT1_T2_T3_mmT4_T5_P12ihipStream_tbEUlRKyE_EESK_SO_SP_mSQ_ST_bEUlT_E_NS1_11comp_targetILNS1_3genE10ELNS1_11target_archE1200ELNS1_3gpuE4ELNS1_3repE0EEENS1_30default_config_static_selectorELNS0_4arch9wavefront6targetE1EEEvSN_
; %bb.0:
	.section	.rodata,"a",@progbits
	.p2align	6, 0x0
	.amdhsa_kernel _ZN7rocprim17ROCPRIM_400000_NS6detail17trampoline_kernelINS0_14default_configENS1_27lower_bound_config_selectorIylEEZNS1_14transform_implILb0ES3_S5_N6thrust23THRUST_200600_302600_NS17counting_iteratorIyNS8_11use_defaultESA_SA_EEPlZNS1_13binary_searchIS3_S5_PySB_SC_NS1_21lower_bound_search_opENS8_6detail16wrapped_functionI11custom_lessbEEEE10hipError_tPvRmT1_T2_T3_mmT4_T5_P12ihipStream_tbEUlRKyE_EESK_SO_SP_mSQ_ST_bEUlT_E_NS1_11comp_targetILNS1_3genE10ELNS1_11target_archE1200ELNS1_3gpuE4ELNS1_3repE0EEENS1_30default_config_static_selectorELNS0_4arch9wavefront6targetE1EEEvSN_
		.amdhsa_group_segment_fixed_size 0
		.amdhsa_private_segment_fixed_size 0
		.amdhsa_kernarg_size 56
		.amdhsa_user_sgpr_count 6
		.amdhsa_user_sgpr_private_segment_buffer 1
		.amdhsa_user_sgpr_dispatch_ptr 0
		.amdhsa_user_sgpr_queue_ptr 0
		.amdhsa_user_sgpr_kernarg_segment_ptr 1
		.amdhsa_user_sgpr_dispatch_id 0
		.amdhsa_user_sgpr_flat_scratch_init 0
		.amdhsa_user_sgpr_kernarg_preload_length 0
		.amdhsa_user_sgpr_kernarg_preload_offset 0
		.amdhsa_user_sgpr_private_segment_size 0
		.amdhsa_uses_dynamic_stack 0
		.amdhsa_system_sgpr_private_segment_wavefront_offset 0
		.amdhsa_system_sgpr_workgroup_id_x 1
		.amdhsa_system_sgpr_workgroup_id_y 0
		.amdhsa_system_sgpr_workgroup_id_z 0
		.amdhsa_system_sgpr_workgroup_info 0
		.amdhsa_system_vgpr_workitem_id 0
		.amdhsa_next_free_vgpr 1
		.amdhsa_next_free_sgpr 0
		.amdhsa_accum_offset 4
		.amdhsa_reserve_vcc 0
		.amdhsa_reserve_flat_scratch 0
		.amdhsa_float_round_mode_32 0
		.amdhsa_float_round_mode_16_64 0
		.amdhsa_float_denorm_mode_32 3
		.amdhsa_float_denorm_mode_16_64 3
		.amdhsa_dx10_clamp 1
		.amdhsa_ieee_mode 1
		.amdhsa_fp16_overflow 0
		.amdhsa_tg_split 0
		.amdhsa_exception_fp_ieee_invalid_op 0
		.amdhsa_exception_fp_denorm_src 0
		.amdhsa_exception_fp_ieee_div_zero 0
		.amdhsa_exception_fp_ieee_overflow 0
		.amdhsa_exception_fp_ieee_underflow 0
		.amdhsa_exception_fp_ieee_inexact 0
		.amdhsa_exception_int_div_zero 0
	.end_amdhsa_kernel
	.section	.text._ZN7rocprim17ROCPRIM_400000_NS6detail17trampoline_kernelINS0_14default_configENS1_27lower_bound_config_selectorIylEEZNS1_14transform_implILb0ES3_S5_N6thrust23THRUST_200600_302600_NS17counting_iteratorIyNS8_11use_defaultESA_SA_EEPlZNS1_13binary_searchIS3_S5_PySB_SC_NS1_21lower_bound_search_opENS8_6detail16wrapped_functionI11custom_lessbEEEE10hipError_tPvRmT1_T2_T3_mmT4_T5_P12ihipStream_tbEUlRKyE_EESK_SO_SP_mSQ_ST_bEUlT_E_NS1_11comp_targetILNS1_3genE10ELNS1_11target_archE1200ELNS1_3gpuE4ELNS1_3repE0EEENS1_30default_config_static_selectorELNS0_4arch9wavefront6targetE1EEEvSN_,"axG",@progbits,_ZN7rocprim17ROCPRIM_400000_NS6detail17trampoline_kernelINS0_14default_configENS1_27lower_bound_config_selectorIylEEZNS1_14transform_implILb0ES3_S5_N6thrust23THRUST_200600_302600_NS17counting_iteratorIyNS8_11use_defaultESA_SA_EEPlZNS1_13binary_searchIS3_S5_PySB_SC_NS1_21lower_bound_search_opENS8_6detail16wrapped_functionI11custom_lessbEEEE10hipError_tPvRmT1_T2_T3_mmT4_T5_P12ihipStream_tbEUlRKyE_EESK_SO_SP_mSQ_ST_bEUlT_E_NS1_11comp_targetILNS1_3genE10ELNS1_11target_archE1200ELNS1_3gpuE4ELNS1_3repE0EEENS1_30default_config_static_selectorELNS0_4arch9wavefront6targetE1EEEvSN_,comdat
.Lfunc_end31:
	.size	_ZN7rocprim17ROCPRIM_400000_NS6detail17trampoline_kernelINS0_14default_configENS1_27lower_bound_config_selectorIylEEZNS1_14transform_implILb0ES3_S5_N6thrust23THRUST_200600_302600_NS17counting_iteratorIyNS8_11use_defaultESA_SA_EEPlZNS1_13binary_searchIS3_S5_PySB_SC_NS1_21lower_bound_search_opENS8_6detail16wrapped_functionI11custom_lessbEEEE10hipError_tPvRmT1_T2_T3_mmT4_T5_P12ihipStream_tbEUlRKyE_EESK_SO_SP_mSQ_ST_bEUlT_E_NS1_11comp_targetILNS1_3genE10ELNS1_11target_archE1200ELNS1_3gpuE4ELNS1_3repE0EEENS1_30default_config_static_selectorELNS0_4arch9wavefront6targetE1EEEvSN_, .Lfunc_end31-_ZN7rocprim17ROCPRIM_400000_NS6detail17trampoline_kernelINS0_14default_configENS1_27lower_bound_config_selectorIylEEZNS1_14transform_implILb0ES3_S5_N6thrust23THRUST_200600_302600_NS17counting_iteratorIyNS8_11use_defaultESA_SA_EEPlZNS1_13binary_searchIS3_S5_PySB_SC_NS1_21lower_bound_search_opENS8_6detail16wrapped_functionI11custom_lessbEEEE10hipError_tPvRmT1_T2_T3_mmT4_T5_P12ihipStream_tbEUlRKyE_EESK_SO_SP_mSQ_ST_bEUlT_E_NS1_11comp_targetILNS1_3genE10ELNS1_11target_archE1200ELNS1_3gpuE4ELNS1_3repE0EEENS1_30default_config_static_selectorELNS0_4arch9wavefront6targetE1EEEvSN_
                                        ; -- End function
	.section	.AMDGPU.csdata,"",@progbits
; Kernel info:
; codeLenInByte = 0
; NumSgprs: 4
; NumVgprs: 0
; NumAgprs: 0
; TotalNumVgprs: 0
; ScratchSize: 0
; MemoryBound: 0
; FloatMode: 240
; IeeeMode: 1
; LDSByteSize: 0 bytes/workgroup (compile time only)
; SGPRBlocks: 0
; VGPRBlocks: 0
; NumSGPRsForWavesPerEU: 4
; NumVGPRsForWavesPerEU: 1
; AccumOffset: 4
; Occupancy: 8
; WaveLimiterHint : 0
; COMPUTE_PGM_RSRC2:SCRATCH_EN: 0
; COMPUTE_PGM_RSRC2:USER_SGPR: 6
; COMPUTE_PGM_RSRC2:TRAP_HANDLER: 0
; COMPUTE_PGM_RSRC2:TGID_X_EN: 1
; COMPUTE_PGM_RSRC2:TGID_Y_EN: 0
; COMPUTE_PGM_RSRC2:TGID_Z_EN: 0
; COMPUTE_PGM_RSRC2:TIDIG_COMP_CNT: 0
; COMPUTE_PGM_RSRC3_GFX90A:ACCUM_OFFSET: 0
; COMPUTE_PGM_RSRC3_GFX90A:TG_SPLIT: 0
	.section	.text._ZN7rocprim17ROCPRIM_400000_NS6detail17trampoline_kernelINS0_14default_configENS1_27lower_bound_config_selectorIylEEZNS1_14transform_implILb0ES3_S5_N6thrust23THRUST_200600_302600_NS17counting_iteratorIyNS8_11use_defaultESA_SA_EEPlZNS1_13binary_searchIS3_S5_PySB_SC_NS1_21lower_bound_search_opENS8_6detail16wrapped_functionI11custom_lessbEEEE10hipError_tPvRmT1_T2_T3_mmT4_T5_P12ihipStream_tbEUlRKyE_EESK_SO_SP_mSQ_ST_bEUlT_E_NS1_11comp_targetILNS1_3genE9ELNS1_11target_archE1100ELNS1_3gpuE3ELNS1_3repE0EEENS1_30default_config_static_selectorELNS0_4arch9wavefront6targetE1EEEvSN_,"axG",@progbits,_ZN7rocprim17ROCPRIM_400000_NS6detail17trampoline_kernelINS0_14default_configENS1_27lower_bound_config_selectorIylEEZNS1_14transform_implILb0ES3_S5_N6thrust23THRUST_200600_302600_NS17counting_iteratorIyNS8_11use_defaultESA_SA_EEPlZNS1_13binary_searchIS3_S5_PySB_SC_NS1_21lower_bound_search_opENS8_6detail16wrapped_functionI11custom_lessbEEEE10hipError_tPvRmT1_T2_T3_mmT4_T5_P12ihipStream_tbEUlRKyE_EESK_SO_SP_mSQ_ST_bEUlT_E_NS1_11comp_targetILNS1_3genE9ELNS1_11target_archE1100ELNS1_3gpuE3ELNS1_3repE0EEENS1_30default_config_static_selectorELNS0_4arch9wavefront6targetE1EEEvSN_,comdat
	.protected	_ZN7rocprim17ROCPRIM_400000_NS6detail17trampoline_kernelINS0_14default_configENS1_27lower_bound_config_selectorIylEEZNS1_14transform_implILb0ES3_S5_N6thrust23THRUST_200600_302600_NS17counting_iteratorIyNS8_11use_defaultESA_SA_EEPlZNS1_13binary_searchIS3_S5_PySB_SC_NS1_21lower_bound_search_opENS8_6detail16wrapped_functionI11custom_lessbEEEE10hipError_tPvRmT1_T2_T3_mmT4_T5_P12ihipStream_tbEUlRKyE_EESK_SO_SP_mSQ_ST_bEUlT_E_NS1_11comp_targetILNS1_3genE9ELNS1_11target_archE1100ELNS1_3gpuE3ELNS1_3repE0EEENS1_30default_config_static_selectorELNS0_4arch9wavefront6targetE1EEEvSN_ ; -- Begin function _ZN7rocprim17ROCPRIM_400000_NS6detail17trampoline_kernelINS0_14default_configENS1_27lower_bound_config_selectorIylEEZNS1_14transform_implILb0ES3_S5_N6thrust23THRUST_200600_302600_NS17counting_iteratorIyNS8_11use_defaultESA_SA_EEPlZNS1_13binary_searchIS3_S5_PySB_SC_NS1_21lower_bound_search_opENS8_6detail16wrapped_functionI11custom_lessbEEEE10hipError_tPvRmT1_T2_T3_mmT4_T5_P12ihipStream_tbEUlRKyE_EESK_SO_SP_mSQ_ST_bEUlT_E_NS1_11comp_targetILNS1_3genE9ELNS1_11target_archE1100ELNS1_3gpuE3ELNS1_3repE0EEENS1_30default_config_static_selectorELNS0_4arch9wavefront6targetE1EEEvSN_
	.globl	_ZN7rocprim17ROCPRIM_400000_NS6detail17trampoline_kernelINS0_14default_configENS1_27lower_bound_config_selectorIylEEZNS1_14transform_implILb0ES3_S5_N6thrust23THRUST_200600_302600_NS17counting_iteratorIyNS8_11use_defaultESA_SA_EEPlZNS1_13binary_searchIS3_S5_PySB_SC_NS1_21lower_bound_search_opENS8_6detail16wrapped_functionI11custom_lessbEEEE10hipError_tPvRmT1_T2_T3_mmT4_T5_P12ihipStream_tbEUlRKyE_EESK_SO_SP_mSQ_ST_bEUlT_E_NS1_11comp_targetILNS1_3genE9ELNS1_11target_archE1100ELNS1_3gpuE3ELNS1_3repE0EEENS1_30default_config_static_selectorELNS0_4arch9wavefront6targetE1EEEvSN_
	.p2align	8
	.type	_ZN7rocprim17ROCPRIM_400000_NS6detail17trampoline_kernelINS0_14default_configENS1_27lower_bound_config_selectorIylEEZNS1_14transform_implILb0ES3_S5_N6thrust23THRUST_200600_302600_NS17counting_iteratorIyNS8_11use_defaultESA_SA_EEPlZNS1_13binary_searchIS3_S5_PySB_SC_NS1_21lower_bound_search_opENS8_6detail16wrapped_functionI11custom_lessbEEEE10hipError_tPvRmT1_T2_T3_mmT4_T5_P12ihipStream_tbEUlRKyE_EESK_SO_SP_mSQ_ST_bEUlT_E_NS1_11comp_targetILNS1_3genE9ELNS1_11target_archE1100ELNS1_3gpuE3ELNS1_3repE0EEENS1_30default_config_static_selectorELNS0_4arch9wavefront6targetE1EEEvSN_,@function
_ZN7rocprim17ROCPRIM_400000_NS6detail17trampoline_kernelINS0_14default_configENS1_27lower_bound_config_selectorIylEEZNS1_14transform_implILb0ES3_S5_N6thrust23THRUST_200600_302600_NS17counting_iteratorIyNS8_11use_defaultESA_SA_EEPlZNS1_13binary_searchIS3_S5_PySB_SC_NS1_21lower_bound_search_opENS8_6detail16wrapped_functionI11custom_lessbEEEE10hipError_tPvRmT1_T2_T3_mmT4_T5_P12ihipStream_tbEUlRKyE_EESK_SO_SP_mSQ_ST_bEUlT_E_NS1_11comp_targetILNS1_3genE9ELNS1_11target_archE1100ELNS1_3gpuE3ELNS1_3repE0EEENS1_30default_config_static_selectorELNS0_4arch9wavefront6targetE1EEEvSN_: ; @_ZN7rocprim17ROCPRIM_400000_NS6detail17trampoline_kernelINS0_14default_configENS1_27lower_bound_config_selectorIylEEZNS1_14transform_implILb0ES3_S5_N6thrust23THRUST_200600_302600_NS17counting_iteratorIyNS8_11use_defaultESA_SA_EEPlZNS1_13binary_searchIS3_S5_PySB_SC_NS1_21lower_bound_search_opENS8_6detail16wrapped_functionI11custom_lessbEEEE10hipError_tPvRmT1_T2_T3_mmT4_T5_P12ihipStream_tbEUlRKyE_EESK_SO_SP_mSQ_ST_bEUlT_E_NS1_11comp_targetILNS1_3genE9ELNS1_11target_archE1100ELNS1_3gpuE3ELNS1_3repE0EEENS1_30default_config_static_selectorELNS0_4arch9wavefront6targetE1EEEvSN_
; %bb.0:
	.section	.rodata,"a",@progbits
	.p2align	6, 0x0
	.amdhsa_kernel _ZN7rocprim17ROCPRIM_400000_NS6detail17trampoline_kernelINS0_14default_configENS1_27lower_bound_config_selectorIylEEZNS1_14transform_implILb0ES3_S5_N6thrust23THRUST_200600_302600_NS17counting_iteratorIyNS8_11use_defaultESA_SA_EEPlZNS1_13binary_searchIS3_S5_PySB_SC_NS1_21lower_bound_search_opENS8_6detail16wrapped_functionI11custom_lessbEEEE10hipError_tPvRmT1_T2_T3_mmT4_T5_P12ihipStream_tbEUlRKyE_EESK_SO_SP_mSQ_ST_bEUlT_E_NS1_11comp_targetILNS1_3genE9ELNS1_11target_archE1100ELNS1_3gpuE3ELNS1_3repE0EEENS1_30default_config_static_selectorELNS0_4arch9wavefront6targetE1EEEvSN_
		.amdhsa_group_segment_fixed_size 0
		.amdhsa_private_segment_fixed_size 0
		.amdhsa_kernarg_size 56
		.amdhsa_user_sgpr_count 6
		.amdhsa_user_sgpr_private_segment_buffer 1
		.amdhsa_user_sgpr_dispatch_ptr 0
		.amdhsa_user_sgpr_queue_ptr 0
		.amdhsa_user_sgpr_kernarg_segment_ptr 1
		.amdhsa_user_sgpr_dispatch_id 0
		.amdhsa_user_sgpr_flat_scratch_init 0
		.amdhsa_user_sgpr_kernarg_preload_length 0
		.amdhsa_user_sgpr_kernarg_preload_offset 0
		.amdhsa_user_sgpr_private_segment_size 0
		.amdhsa_uses_dynamic_stack 0
		.amdhsa_system_sgpr_private_segment_wavefront_offset 0
		.amdhsa_system_sgpr_workgroup_id_x 1
		.amdhsa_system_sgpr_workgroup_id_y 0
		.amdhsa_system_sgpr_workgroup_id_z 0
		.amdhsa_system_sgpr_workgroup_info 0
		.amdhsa_system_vgpr_workitem_id 0
		.amdhsa_next_free_vgpr 1
		.amdhsa_next_free_sgpr 0
		.amdhsa_accum_offset 4
		.amdhsa_reserve_vcc 0
		.amdhsa_reserve_flat_scratch 0
		.amdhsa_float_round_mode_32 0
		.amdhsa_float_round_mode_16_64 0
		.amdhsa_float_denorm_mode_32 3
		.amdhsa_float_denorm_mode_16_64 3
		.amdhsa_dx10_clamp 1
		.amdhsa_ieee_mode 1
		.amdhsa_fp16_overflow 0
		.amdhsa_tg_split 0
		.amdhsa_exception_fp_ieee_invalid_op 0
		.amdhsa_exception_fp_denorm_src 0
		.amdhsa_exception_fp_ieee_div_zero 0
		.amdhsa_exception_fp_ieee_overflow 0
		.amdhsa_exception_fp_ieee_underflow 0
		.amdhsa_exception_fp_ieee_inexact 0
		.amdhsa_exception_int_div_zero 0
	.end_amdhsa_kernel
	.section	.text._ZN7rocprim17ROCPRIM_400000_NS6detail17trampoline_kernelINS0_14default_configENS1_27lower_bound_config_selectorIylEEZNS1_14transform_implILb0ES3_S5_N6thrust23THRUST_200600_302600_NS17counting_iteratorIyNS8_11use_defaultESA_SA_EEPlZNS1_13binary_searchIS3_S5_PySB_SC_NS1_21lower_bound_search_opENS8_6detail16wrapped_functionI11custom_lessbEEEE10hipError_tPvRmT1_T2_T3_mmT4_T5_P12ihipStream_tbEUlRKyE_EESK_SO_SP_mSQ_ST_bEUlT_E_NS1_11comp_targetILNS1_3genE9ELNS1_11target_archE1100ELNS1_3gpuE3ELNS1_3repE0EEENS1_30default_config_static_selectorELNS0_4arch9wavefront6targetE1EEEvSN_,"axG",@progbits,_ZN7rocprim17ROCPRIM_400000_NS6detail17trampoline_kernelINS0_14default_configENS1_27lower_bound_config_selectorIylEEZNS1_14transform_implILb0ES3_S5_N6thrust23THRUST_200600_302600_NS17counting_iteratorIyNS8_11use_defaultESA_SA_EEPlZNS1_13binary_searchIS3_S5_PySB_SC_NS1_21lower_bound_search_opENS8_6detail16wrapped_functionI11custom_lessbEEEE10hipError_tPvRmT1_T2_T3_mmT4_T5_P12ihipStream_tbEUlRKyE_EESK_SO_SP_mSQ_ST_bEUlT_E_NS1_11comp_targetILNS1_3genE9ELNS1_11target_archE1100ELNS1_3gpuE3ELNS1_3repE0EEENS1_30default_config_static_selectorELNS0_4arch9wavefront6targetE1EEEvSN_,comdat
.Lfunc_end32:
	.size	_ZN7rocprim17ROCPRIM_400000_NS6detail17trampoline_kernelINS0_14default_configENS1_27lower_bound_config_selectorIylEEZNS1_14transform_implILb0ES3_S5_N6thrust23THRUST_200600_302600_NS17counting_iteratorIyNS8_11use_defaultESA_SA_EEPlZNS1_13binary_searchIS3_S5_PySB_SC_NS1_21lower_bound_search_opENS8_6detail16wrapped_functionI11custom_lessbEEEE10hipError_tPvRmT1_T2_T3_mmT4_T5_P12ihipStream_tbEUlRKyE_EESK_SO_SP_mSQ_ST_bEUlT_E_NS1_11comp_targetILNS1_3genE9ELNS1_11target_archE1100ELNS1_3gpuE3ELNS1_3repE0EEENS1_30default_config_static_selectorELNS0_4arch9wavefront6targetE1EEEvSN_, .Lfunc_end32-_ZN7rocprim17ROCPRIM_400000_NS6detail17trampoline_kernelINS0_14default_configENS1_27lower_bound_config_selectorIylEEZNS1_14transform_implILb0ES3_S5_N6thrust23THRUST_200600_302600_NS17counting_iteratorIyNS8_11use_defaultESA_SA_EEPlZNS1_13binary_searchIS3_S5_PySB_SC_NS1_21lower_bound_search_opENS8_6detail16wrapped_functionI11custom_lessbEEEE10hipError_tPvRmT1_T2_T3_mmT4_T5_P12ihipStream_tbEUlRKyE_EESK_SO_SP_mSQ_ST_bEUlT_E_NS1_11comp_targetILNS1_3genE9ELNS1_11target_archE1100ELNS1_3gpuE3ELNS1_3repE0EEENS1_30default_config_static_selectorELNS0_4arch9wavefront6targetE1EEEvSN_
                                        ; -- End function
	.section	.AMDGPU.csdata,"",@progbits
; Kernel info:
; codeLenInByte = 0
; NumSgprs: 4
; NumVgprs: 0
; NumAgprs: 0
; TotalNumVgprs: 0
; ScratchSize: 0
; MemoryBound: 0
; FloatMode: 240
; IeeeMode: 1
; LDSByteSize: 0 bytes/workgroup (compile time only)
; SGPRBlocks: 0
; VGPRBlocks: 0
; NumSGPRsForWavesPerEU: 4
; NumVGPRsForWavesPerEU: 1
; AccumOffset: 4
; Occupancy: 8
; WaveLimiterHint : 0
; COMPUTE_PGM_RSRC2:SCRATCH_EN: 0
; COMPUTE_PGM_RSRC2:USER_SGPR: 6
; COMPUTE_PGM_RSRC2:TRAP_HANDLER: 0
; COMPUTE_PGM_RSRC2:TGID_X_EN: 1
; COMPUTE_PGM_RSRC2:TGID_Y_EN: 0
; COMPUTE_PGM_RSRC2:TGID_Z_EN: 0
; COMPUTE_PGM_RSRC2:TIDIG_COMP_CNT: 0
; COMPUTE_PGM_RSRC3_GFX90A:ACCUM_OFFSET: 0
; COMPUTE_PGM_RSRC3_GFX90A:TG_SPLIT: 0
	.section	.text._ZN7rocprim17ROCPRIM_400000_NS6detail17trampoline_kernelINS0_14default_configENS1_27lower_bound_config_selectorIylEEZNS1_14transform_implILb0ES3_S5_N6thrust23THRUST_200600_302600_NS17counting_iteratorIyNS8_11use_defaultESA_SA_EEPlZNS1_13binary_searchIS3_S5_PySB_SC_NS1_21lower_bound_search_opENS8_6detail16wrapped_functionI11custom_lessbEEEE10hipError_tPvRmT1_T2_T3_mmT4_T5_P12ihipStream_tbEUlRKyE_EESK_SO_SP_mSQ_ST_bEUlT_E_NS1_11comp_targetILNS1_3genE8ELNS1_11target_archE1030ELNS1_3gpuE2ELNS1_3repE0EEENS1_30default_config_static_selectorELNS0_4arch9wavefront6targetE1EEEvSN_,"axG",@progbits,_ZN7rocprim17ROCPRIM_400000_NS6detail17trampoline_kernelINS0_14default_configENS1_27lower_bound_config_selectorIylEEZNS1_14transform_implILb0ES3_S5_N6thrust23THRUST_200600_302600_NS17counting_iteratorIyNS8_11use_defaultESA_SA_EEPlZNS1_13binary_searchIS3_S5_PySB_SC_NS1_21lower_bound_search_opENS8_6detail16wrapped_functionI11custom_lessbEEEE10hipError_tPvRmT1_T2_T3_mmT4_T5_P12ihipStream_tbEUlRKyE_EESK_SO_SP_mSQ_ST_bEUlT_E_NS1_11comp_targetILNS1_3genE8ELNS1_11target_archE1030ELNS1_3gpuE2ELNS1_3repE0EEENS1_30default_config_static_selectorELNS0_4arch9wavefront6targetE1EEEvSN_,comdat
	.protected	_ZN7rocprim17ROCPRIM_400000_NS6detail17trampoline_kernelINS0_14default_configENS1_27lower_bound_config_selectorIylEEZNS1_14transform_implILb0ES3_S5_N6thrust23THRUST_200600_302600_NS17counting_iteratorIyNS8_11use_defaultESA_SA_EEPlZNS1_13binary_searchIS3_S5_PySB_SC_NS1_21lower_bound_search_opENS8_6detail16wrapped_functionI11custom_lessbEEEE10hipError_tPvRmT1_T2_T3_mmT4_T5_P12ihipStream_tbEUlRKyE_EESK_SO_SP_mSQ_ST_bEUlT_E_NS1_11comp_targetILNS1_3genE8ELNS1_11target_archE1030ELNS1_3gpuE2ELNS1_3repE0EEENS1_30default_config_static_selectorELNS0_4arch9wavefront6targetE1EEEvSN_ ; -- Begin function _ZN7rocprim17ROCPRIM_400000_NS6detail17trampoline_kernelINS0_14default_configENS1_27lower_bound_config_selectorIylEEZNS1_14transform_implILb0ES3_S5_N6thrust23THRUST_200600_302600_NS17counting_iteratorIyNS8_11use_defaultESA_SA_EEPlZNS1_13binary_searchIS3_S5_PySB_SC_NS1_21lower_bound_search_opENS8_6detail16wrapped_functionI11custom_lessbEEEE10hipError_tPvRmT1_T2_T3_mmT4_T5_P12ihipStream_tbEUlRKyE_EESK_SO_SP_mSQ_ST_bEUlT_E_NS1_11comp_targetILNS1_3genE8ELNS1_11target_archE1030ELNS1_3gpuE2ELNS1_3repE0EEENS1_30default_config_static_selectorELNS0_4arch9wavefront6targetE1EEEvSN_
	.globl	_ZN7rocprim17ROCPRIM_400000_NS6detail17trampoline_kernelINS0_14default_configENS1_27lower_bound_config_selectorIylEEZNS1_14transform_implILb0ES3_S5_N6thrust23THRUST_200600_302600_NS17counting_iteratorIyNS8_11use_defaultESA_SA_EEPlZNS1_13binary_searchIS3_S5_PySB_SC_NS1_21lower_bound_search_opENS8_6detail16wrapped_functionI11custom_lessbEEEE10hipError_tPvRmT1_T2_T3_mmT4_T5_P12ihipStream_tbEUlRKyE_EESK_SO_SP_mSQ_ST_bEUlT_E_NS1_11comp_targetILNS1_3genE8ELNS1_11target_archE1030ELNS1_3gpuE2ELNS1_3repE0EEENS1_30default_config_static_selectorELNS0_4arch9wavefront6targetE1EEEvSN_
	.p2align	8
	.type	_ZN7rocprim17ROCPRIM_400000_NS6detail17trampoline_kernelINS0_14default_configENS1_27lower_bound_config_selectorIylEEZNS1_14transform_implILb0ES3_S5_N6thrust23THRUST_200600_302600_NS17counting_iteratorIyNS8_11use_defaultESA_SA_EEPlZNS1_13binary_searchIS3_S5_PySB_SC_NS1_21lower_bound_search_opENS8_6detail16wrapped_functionI11custom_lessbEEEE10hipError_tPvRmT1_T2_T3_mmT4_T5_P12ihipStream_tbEUlRKyE_EESK_SO_SP_mSQ_ST_bEUlT_E_NS1_11comp_targetILNS1_3genE8ELNS1_11target_archE1030ELNS1_3gpuE2ELNS1_3repE0EEENS1_30default_config_static_selectorELNS0_4arch9wavefront6targetE1EEEvSN_,@function
_ZN7rocprim17ROCPRIM_400000_NS6detail17trampoline_kernelINS0_14default_configENS1_27lower_bound_config_selectorIylEEZNS1_14transform_implILb0ES3_S5_N6thrust23THRUST_200600_302600_NS17counting_iteratorIyNS8_11use_defaultESA_SA_EEPlZNS1_13binary_searchIS3_S5_PySB_SC_NS1_21lower_bound_search_opENS8_6detail16wrapped_functionI11custom_lessbEEEE10hipError_tPvRmT1_T2_T3_mmT4_T5_P12ihipStream_tbEUlRKyE_EESK_SO_SP_mSQ_ST_bEUlT_E_NS1_11comp_targetILNS1_3genE8ELNS1_11target_archE1030ELNS1_3gpuE2ELNS1_3repE0EEENS1_30default_config_static_selectorELNS0_4arch9wavefront6targetE1EEEvSN_: ; @_ZN7rocprim17ROCPRIM_400000_NS6detail17trampoline_kernelINS0_14default_configENS1_27lower_bound_config_selectorIylEEZNS1_14transform_implILb0ES3_S5_N6thrust23THRUST_200600_302600_NS17counting_iteratorIyNS8_11use_defaultESA_SA_EEPlZNS1_13binary_searchIS3_S5_PySB_SC_NS1_21lower_bound_search_opENS8_6detail16wrapped_functionI11custom_lessbEEEE10hipError_tPvRmT1_T2_T3_mmT4_T5_P12ihipStream_tbEUlRKyE_EESK_SO_SP_mSQ_ST_bEUlT_E_NS1_11comp_targetILNS1_3genE8ELNS1_11target_archE1030ELNS1_3gpuE2ELNS1_3repE0EEENS1_30default_config_static_selectorELNS0_4arch9wavefront6targetE1EEEvSN_
; %bb.0:
	.section	.rodata,"a",@progbits
	.p2align	6, 0x0
	.amdhsa_kernel _ZN7rocprim17ROCPRIM_400000_NS6detail17trampoline_kernelINS0_14default_configENS1_27lower_bound_config_selectorIylEEZNS1_14transform_implILb0ES3_S5_N6thrust23THRUST_200600_302600_NS17counting_iteratorIyNS8_11use_defaultESA_SA_EEPlZNS1_13binary_searchIS3_S5_PySB_SC_NS1_21lower_bound_search_opENS8_6detail16wrapped_functionI11custom_lessbEEEE10hipError_tPvRmT1_T2_T3_mmT4_T5_P12ihipStream_tbEUlRKyE_EESK_SO_SP_mSQ_ST_bEUlT_E_NS1_11comp_targetILNS1_3genE8ELNS1_11target_archE1030ELNS1_3gpuE2ELNS1_3repE0EEENS1_30default_config_static_selectorELNS0_4arch9wavefront6targetE1EEEvSN_
		.amdhsa_group_segment_fixed_size 0
		.amdhsa_private_segment_fixed_size 0
		.amdhsa_kernarg_size 56
		.amdhsa_user_sgpr_count 6
		.amdhsa_user_sgpr_private_segment_buffer 1
		.amdhsa_user_sgpr_dispatch_ptr 0
		.amdhsa_user_sgpr_queue_ptr 0
		.amdhsa_user_sgpr_kernarg_segment_ptr 1
		.amdhsa_user_sgpr_dispatch_id 0
		.amdhsa_user_sgpr_flat_scratch_init 0
		.amdhsa_user_sgpr_kernarg_preload_length 0
		.amdhsa_user_sgpr_kernarg_preload_offset 0
		.amdhsa_user_sgpr_private_segment_size 0
		.amdhsa_uses_dynamic_stack 0
		.amdhsa_system_sgpr_private_segment_wavefront_offset 0
		.amdhsa_system_sgpr_workgroup_id_x 1
		.amdhsa_system_sgpr_workgroup_id_y 0
		.amdhsa_system_sgpr_workgroup_id_z 0
		.amdhsa_system_sgpr_workgroup_info 0
		.amdhsa_system_vgpr_workitem_id 0
		.amdhsa_next_free_vgpr 1
		.amdhsa_next_free_sgpr 0
		.amdhsa_accum_offset 4
		.amdhsa_reserve_vcc 0
		.amdhsa_reserve_flat_scratch 0
		.amdhsa_float_round_mode_32 0
		.amdhsa_float_round_mode_16_64 0
		.amdhsa_float_denorm_mode_32 3
		.amdhsa_float_denorm_mode_16_64 3
		.amdhsa_dx10_clamp 1
		.amdhsa_ieee_mode 1
		.amdhsa_fp16_overflow 0
		.amdhsa_tg_split 0
		.amdhsa_exception_fp_ieee_invalid_op 0
		.amdhsa_exception_fp_denorm_src 0
		.amdhsa_exception_fp_ieee_div_zero 0
		.amdhsa_exception_fp_ieee_overflow 0
		.amdhsa_exception_fp_ieee_underflow 0
		.amdhsa_exception_fp_ieee_inexact 0
		.amdhsa_exception_int_div_zero 0
	.end_amdhsa_kernel
	.section	.text._ZN7rocprim17ROCPRIM_400000_NS6detail17trampoline_kernelINS0_14default_configENS1_27lower_bound_config_selectorIylEEZNS1_14transform_implILb0ES3_S5_N6thrust23THRUST_200600_302600_NS17counting_iteratorIyNS8_11use_defaultESA_SA_EEPlZNS1_13binary_searchIS3_S5_PySB_SC_NS1_21lower_bound_search_opENS8_6detail16wrapped_functionI11custom_lessbEEEE10hipError_tPvRmT1_T2_T3_mmT4_T5_P12ihipStream_tbEUlRKyE_EESK_SO_SP_mSQ_ST_bEUlT_E_NS1_11comp_targetILNS1_3genE8ELNS1_11target_archE1030ELNS1_3gpuE2ELNS1_3repE0EEENS1_30default_config_static_selectorELNS0_4arch9wavefront6targetE1EEEvSN_,"axG",@progbits,_ZN7rocprim17ROCPRIM_400000_NS6detail17trampoline_kernelINS0_14default_configENS1_27lower_bound_config_selectorIylEEZNS1_14transform_implILb0ES3_S5_N6thrust23THRUST_200600_302600_NS17counting_iteratorIyNS8_11use_defaultESA_SA_EEPlZNS1_13binary_searchIS3_S5_PySB_SC_NS1_21lower_bound_search_opENS8_6detail16wrapped_functionI11custom_lessbEEEE10hipError_tPvRmT1_T2_T3_mmT4_T5_P12ihipStream_tbEUlRKyE_EESK_SO_SP_mSQ_ST_bEUlT_E_NS1_11comp_targetILNS1_3genE8ELNS1_11target_archE1030ELNS1_3gpuE2ELNS1_3repE0EEENS1_30default_config_static_selectorELNS0_4arch9wavefront6targetE1EEEvSN_,comdat
.Lfunc_end33:
	.size	_ZN7rocprim17ROCPRIM_400000_NS6detail17trampoline_kernelINS0_14default_configENS1_27lower_bound_config_selectorIylEEZNS1_14transform_implILb0ES3_S5_N6thrust23THRUST_200600_302600_NS17counting_iteratorIyNS8_11use_defaultESA_SA_EEPlZNS1_13binary_searchIS3_S5_PySB_SC_NS1_21lower_bound_search_opENS8_6detail16wrapped_functionI11custom_lessbEEEE10hipError_tPvRmT1_T2_T3_mmT4_T5_P12ihipStream_tbEUlRKyE_EESK_SO_SP_mSQ_ST_bEUlT_E_NS1_11comp_targetILNS1_3genE8ELNS1_11target_archE1030ELNS1_3gpuE2ELNS1_3repE0EEENS1_30default_config_static_selectorELNS0_4arch9wavefront6targetE1EEEvSN_, .Lfunc_end33-_ZN7rocprim17ROCPRIM_400000_NS6detail17trampoline_kernelINS0_14default_configENS1_27lower_bound_config_selectorIylEEZNS1_14transform_implILb0ES3_S5_N6thrust23THRUST_200600_302600_NS17counting_iteratorIyNS8_11use_defaultESA_SA_EEPlZNS1_13binary_searchIS3_S5_PySB_SC_NS1_21lower_bound_search_opENS8_6detail16wrapped_functionI11custom_lessbEEEE10hipError_tPvRmT1_T2_T3_mmT4_T5_P12ihipStream_tbEUlRKyE_EESK_SO_SP_mSQ_ST_bEUlT_E_NS1_11comp_targetILNS1_3genE8ELNS1_11target_archE1030ELNS1_3gpuE2ELNS1_3repE0EEENS1_30default_config_static_selectorELNS0_4arch9wavefront6targetE1EEEvSN_
                                        ; -- End function
	.section	.AMDGPU.csdata,"",@progbits
; Kernel info:
; codeLenInByte = 0
; NumSgprs: 4
; NumVgprs: 0
; NumAgprs: 0
; TotalNumVgprs: 0
; ScratchSize: 0
; MemoryBound: 0
; FloatMode: 240
; IeeeMode: 1
; LDSByteSize: 0 bytes/workgroup (compile time only)
; SGPRBlocks: 0
; VGPRBlocks: 0
; NumSGPRsForWavesPerEU: 4
; NumVGPRsForWavesPerEU: 1
; AccumOffset: 4
; Occupancy: 8
; WaveLimiterHint : 0
; COMPUTE_PGM_RSRC2:SCRATCH_EN: 0
; COMPUTE_PGM_RSRC2:USER_SGPR: 6
; COMPUTE_PGM_RSRC2:TRAP_HANDLER: 0
; COMPUTE_PGM_RSRC2:TGID_X_EN: 1
; COMPUTE_PGM_RSRC2:TGID_Y_EN: 0
; COMPUTE_PGM_RSRC2:TGID_Z_EN: 0
; COMPUTE_PGM_RSRC2:TIDIG_COMP_CNT: 0
; COMPUTE_PGM_RSRC3_GFX90A:ACCUM_OFFSET: 0
; COMPUTE_PGM_RSRC3_GFX90A:TG_SPLIT: 0
	.section	.text._ZN6thrust23THRUST_200600_302600_NS11hip_rocprim14__parallel_for6kernelILj256ENS1_20__uninitialized_fill7functorINS0_10device_ptrIjEEjEEmLj1EEEvT0_T1_SA_,"axG",@progbits,_ZN6thrust23THRUST_200600_302600_NS11hip_rocprim14__parallel_for6kernelILj256ENS1_20__uninitialized_fill7functorINS0_10device_ptrIjEEjEEmLj1EEEvT0_T1_SA_,comdat
	.protected	_ZN6thrust23THRUST_200600_302600_NS11hip_rocprim14__parallel_for6kernelILj256ENS1_20__uninitialized_fill7functorINS0_10device_ptrIjEEjEEmLj1EEEvT0_T1_SA_ ; -- Begin function _ZN6thrust23THRUST_200600_302600_NS11hip_rocprim14__parallel_for6kernelILj256ENS1_20__uninitialized_fill7functorINS0_10device_ptrIjEEjEEmLj1EEEvT0_T1_SA_
	.globl	_ZN6thrust23THRUST_200600_302600_NS11hip_rocprim14__parallel_for6kernelILj256ENS1_20__uninitialized_fill7functorINS0_10device_ptrIjEEjEEmLj1EEEvT0_T1_SA_
	.p2align	8
	.type	_ZN6thrust23THRUST_200600_302600_NS11hip_rocprim14__parallel_for6kernelILj256ENS1_20__uninitialized_fill7functorINS0_10device_ptrIjEEjEEmLj1EEEvT0_T1_SA_,@function
_ZN6thrust23THRUST_200600_302600_NS11hip_rocprim14__parallel_for6kernelILj256ENS1_20__uninitialized_fill7functorINS0_10device_ptrIjEEjEEmLj1EEEvT0_T1_SA_: ; @_ZN6thrust23THRUST_200600_302600_NS11hip_rocprim14__parallel_for6kernelILj256ENS1_20__uninitialized_fill7functorINS0_10device_ptrIjEEjEEmLj1EEEvT0_T1_SA_
; %bb.0:
	s_load_dwordx4 s[8:11], s[4:5], 0x10
	s_lshl_b32 s0, s6, 8
	v_mov_b32_e32 v2, 0x100
	v_mov_b32_e32 v3, 0
	s_waitcnt lgkmcnt(0)
	s_add_u32 s0, s0, s10
	s_addc_u32 s1, 0, s11
	s_sub_u32 s2, s8, s0
	s_subb_u32 s3, s9, s1
	v_cmp_lt_u64_e32 vcc, s[2:3], v[2:3]
	s_cbranch_vccz .LBB34_2
; %bb.1:
	v_cmp_gt_u32_e32 vcc, s2, v0
	s_and_b64 s[2:3], vcc, exec
	s_cbranch_execz .LBB34_3
	s_branch .LBB34_4
.LBB34_2:
	s_mov_b64 s[2:3], 0
.LBB34_3:
	s_or_b64 s[2:3], s[2:3], exec
.LBB34_4:
	s_and_saveexec_b64 s[6:7], s[2:3]
	s_cbranch_execnz .LBB34_6
; %bb.5:
	s_endpgm
.LBB34_6:
	s_load_dwordx2 s[2:3], s[4:5], 0x0
	s_load_dword s6, s[4:5], 0x8
	s_lshl_b64 s[0:1], s[0:1], 2
	v_mov_b32_e32 v1, 0
	v_lshlrev_b64 v[0:1], 2, v[0:1]
	s_waitcnt lgkmcnt(0)
	s_add_u32 s0, s2, s0
	s_addc_u32 s1, s3, s1
	v_mov_b32_e32 v2, s1
	v_add_co_u32_e32 v0, vcc, s0, v0
	v_addc_co_u32_e32 v1, vcc, v2, v1, vcc
	v_mov_b32_e32 v2, s6
	flat_store_dword v[0:1], v2
	s_endpgm
	.section	.rodata,"a",@progbits
	.p2align	6, 0x0
	.amdhsa_kernel _ZN6thrust23THRUST_200600_302600_NS11hip_rocprim14__parallel_for6kernelILj256ENS1_20__uninitialized_fill7functorINS0_10device_ptrIjEEjEEmLj1EEEvT0_T1_SA_
		.amdhsa_group_segment_fixed_size 0
		.amdhsa_private_segment_fixed_size 0
		.amdhsa_kernarg_size 32
		.amdhsa_user_sgpr_count 6
		.amdhsa_user_sgpr_private_segment_buffer 1
		.amdhsa_user_sgpr_dispatch_ptr 0
		.amdhsa_user_sgpr_queue_ptr 0
		.amdhsa_user_sgpr_kernarg_segment_ptr 1
		.amdhsa_user_sgpr_dispatch_id 0
		.amdhsa_user_sgpr_flat_scratch_init 0
		.amdhsa_user_sgpr_kernarg_preload_length 0
		.amdhsa_user_sgpr_kernarg_preload_offset 0
		.amdhsa_user_sgpr_private_segment_size 0
		.amdhsa_uses_dynamic_stack 0
		.amdhsa_system_sgpr_private_segment_wavefront_offset 0
		.amdhsa_system_sgpr_workgroup_id_x 1
		.amdhsa_system_sgpr_workgroup_id_y 0
		.amdhsa_system_sgpr_workgroup_id_z 0
		.amdhsa_system_sgpr_workgroup_info 0
		.amdhsa_system_vgpr_workitem_id 0
		.amdhsa_next_free_vgpr 4
		.amdhsa_next_free_sgpr 12
		.amdhsa_accum_offset 4
		.amdhsa_reserve_vcc 1
		.amdhsa_reserve_flat_scratch 0
		.amdhsa_float_round_mode_32 0
		.amdhsa_float_round_mode_16_64 0
		.amdhsa_float_denorm_mode_32 3
		.amdhsa_float_denorm_mode_16_64 3
		.amdhsa_dx10_clamp 1
		.amdhsa_ieee_mode 1
		.amdhsa_fp16_overflow 0
		.amdhsa_tg_split 0
		.amdhsa_exception_fp_ieee_invalid_op 0
		.amdhsa_exception_fp_denorm_src 0
		.amdhsa_exception_fp_ieee_div_zero 0
		.amdhsa_exception_fp_ieee_overflow 0
		.amdhsa_exception_fp_ieee_underflow 0
		.amdhsa_exception_fp_ieee_inexact 0
		.amdhsa_exception_int_div_zero 0
	.end_amdhsa_kernel
	.section	.text._ZN6thrust23THRUST_200600_302600_NS11hip_rocprim14__parallel_for6kernelILj256ENS1_20__uninitialized_fill7functorINS0_10device_ptrIjEEjEEmLj1EEEvT0_T1_SA_,"axG",@progbits,_ZN6thrust23THRUST_200600_302600_NS11hip_rocprim14__parallel_for6kernelILj256ENS1_20__uninitialized_fill7functorINS0_10device_ptrIjEEjEEmLj1EEEvT0_T1_SA_,comdat
.Lfunc_end34:
	.size	_ZN6thrust23THRUST_200600_302600_NS11hip_rocprim14__parallel_for6kernelILj256ENS1_20__uninitialized_fill7functorINS0_10device_ptrIjEEjEEmLj1EEEvT0_T1_SA_, .Lfunc_end34-_ZN6thrust23THRUST_200600_302600_NS11hip_rocprim14__parallel_for6kernelILj256ENS1_20__uninitialized_fill7functorINS0_10device_ptrIjEEjEEmLj1EEEvT0_T1_SA_
                                        ; -- End function
	.section	.AMDGPU.csdata,"",@progbits
; Kernel info:
; codeLenInByte = 160
; NumSgprs: 16
; NumVgprs: 4
; NumAgprs: 0
; TotalNumVgprs: 4
; ScratchSize: 0
; MemoryBound: 0
; FloatMode: 240
; IeeeMode: 1
; LDSByteSize: 0 bytes/workgroup (compile time only)
; SGPRBlocks: 1
; VGPRBlocks: 0
; NumSGPRsForWavesPerEU: 16
; NumVGPRsForWavesPerEU: 4
; AccumOffset: 4
; Occupancy: 8
; WaveLimiterHint : 0
; COMPUTE_PGM_RSRC2:SCRATCH_EN: 0
; COMPUTE_PGM_RSRC2:USER_SGPR: 6
; COMPUTE_PGM_RSRC2:TRAP_HANDLER: 0
; COMPUTE_PGM_RSRC2:TGID_X_EN: 1
; COMPUTE_PGM_RSRC2:TGID_Y_EN: 0
; COMPUTE_PGM_RSRC2:TGID_Z_EN: 0
; COMPUTE_PGM_RSRC2:TIDIG_COMP_CNT: 0
; COMPUTE_PGM_RSRC3_GFX90A:ACCUM_OFFSET: 0
; COMPUTE_PGM_RSRC3_GFX90A:TG_SPLIT: 0
	.section	.text._Z18lower_bound_kernelIjEvmPT_Pl,"axG",@progbits,_Z18lower_bound_kernelIjEvmPT_Pl,comdat
	.protected	_Z18lower_bound_kernelIjEvmPT_Pl ; -- Begin function _Z18lower_bound_kernelIjEvmPT_Pl
	.globl	_Z18lower_bound_kernelIjEvmPT_Pl
	.p2align	8
	.type	_Z18lower_bound_kernelIjEvmPT_Pl,@function
_Z18lower_bound_kernelIjEvmPT_Pl:       ; @_Z18lower_bound_kernelIjEvmPT_Pl
; %bb.0:
	s_load_dwordx4 s[8:11], s[4:5], 0x0
	s_load_dwordx2 s[6:7], s[4:5], 0x10
	v_mov_b32_e32 v0, 0
	s_mov_b64 s[2:3], 0
	v_mov_b32_e32 v1, v0
	s_waitcnt lgkmcnt(0)
	v_cmp_lt_i64_e64 s[0:1], s[8:9], 1
	s_and_b64 s[0:1], exec, s[0:1]
	s_mov_b64 vcc, s[0:1]
	global_store_dwordx2 v0, v[0:1], s[6:7]
	s_cbranch_vccnz .LBB35_3
; %bb.1:
	s_mov_b64 s[4:5], s[8:9]
.LBB35_2:                               ; =>This Inner Loop Header: Depth=1
	s_sub_u32 s12, s4, s2
	s_subb_u32 s13, s5, s3
	s_lshr_b32 s14, s13, 31
	s_add_u32 s12, s12, s14
	s_addc_u32 s13, s13, 0
	s_ashr_i64 s[12:13], s[12:13], 1
	s_add_u32 s12, s12, s2
	s_addc_u32 s13, s13, s3
	s_lshl_b64 s[14:15], s[12:13], 2
	s_add_u32 s14, s10, s14
	s_addc_u32 s15, s11, s15
	s_load_dword s14, s[14:15], 0x0
	s_add_u32 s15, s12, 1
	s_addc_u32 s16, s13, 0
	s_waitcnt lgkmcnt(0)
	s_cmp_eq_u32 s14, 0
	s_cselect_b32 s5, s5, s13
	s_cselect_b32 s4, s4, s12
	;; [unrolled: 1-line block ×4, first 2 shown]
	v_pk_mov_b32 v[0:1], s[4:5], s[4:5] op_sel:[0,1]
	v_cmp_lt_i64_e32 vcc, s[2:3], v[0:1]
	s_cbranch_vccnz .LBB35_2
.LBB35_3:
	v_cmp_gt_i64_e64 s[4:5], s[8:9], 0
	v_cndmask_b32_e64 v3, 0, 1, s[4:5]
	v_mov_b32_e32 v2, 0
	v_pk_mov_b32 v[0:1], s[2:3], s[2:3] op_sel:[0,1]
	v_cmp_ne_u32_e64 s[2:3], 1, v3
	s_andn2_b64 vcc, exec, s[4:5]
	s_mov_b64 s[4:5], 0
	global_store_dwordx2 v2, v[0:1], s[6:7] offset:8
	s_cbranch_vccnz .LBB35_6
; %bb.4:
	s_mov_b64 s[12:13], s[8:9]
.LBB35_5:                               ; =>This Inner Loop Header: Depth=1
	s_sub_u32 s14, s12, s4
	s_subb_u32 s15, s13, s5
	s_lshr_b32 s16, s15, 31
	s_add_u32 s14, s14, s16
	s_addc_u32 s15, s15, 0
	s_ashr_i64 s[14:15], s[14:15], 1
	s_add_u32 s14, s14, s4
	s_addc_u32 s15, s15, s5
	s_lshl_b64 s[16:17], s[14:15], 2
	s_add_u32 s16, s10, s16
	s_addc_u32 s17, s11, s17
	s_load_dword s16, s[16:17], 0x0
	s_add_u32 s17, s14, 1
	s_addc_u32 s18, s15, 0
	s_waitcnt lgkmcnt(0)
	s_cmp_lt_u32 s16, 2
	s_cselect_b32 s13, s13, s15
	s_cselect_b32 s12, s12, s14
	;; [unrolled: 1-line block ×4, first 2 shown]
	v_pk_mov_b32 v[0:1], s[12:13], s[12:13] op_sel:[0,1]
	v_cmp_lt_i64_e32 vcc, s[4:5], v[0:1]
	s_cbranch_vccnz .LBB35_5
.LBB35_6:
	v_mov_b32_e32 v2, 0
	v_pk_mov_b32 v[0:1], s[4:5], s[4:5] op_sel:[0,1]
	s_and_b64 vcc, exec, s[2:3]
	s_mov_b64 s[4:5], 0
	global_store_dwordx2 v2, v[0:1], s[6:7] offset:16
	s_cbranch_vccnz .LBB35_9
; %bb.7:
	s_mov_b64 s[12:13], s[8:9]
.LBB35_8:                               ; =>This Inner Loop Header: Depth=1
	s_sub_u32 s14, s12, s4
	s_subb_u32 s15, s13, s5
	s_lshr_b32 s16, s15, 31
	s_add_u32 s14, s14, s16
	s_addc_u32 s15, s15, 0
	s_ashr_i64 s[14:15], s[14:15], 1
	s_add_u32 s14, s14, s4
	s_addc_u32 s15, s15, s5
	s_lshl_b64 s[16:17], s[14:15], 2
	s_add_u32 s16, s10, s16
	s_addc_u32 s17, s11, s17
	s_load_dword s16, s[16:17], 0x0
	s_add_u32 s17, s14, 1
	s_addc_u32 s18, s15, 0
	s_waitcnt lgkmcnt(0)
	s_cmp_lt_u32 s16, 3
	s_cselect_b32 s13, s13, s15
	s_cselect_b32 s12, s12, s14
	;; [unrolled: 1-line block ×4, first 2 shown]
	v_pk_mov_b32 v[0:1], s[12:13], s[12:13] op_sel:[0,1]
	v_cmp_lt_i64_e32 vcc, s[4:5], v[0:1]
	s_cbranch_vccnz .LBB35_8
.LBB35_9:
	v_mov_b32_e32 v2, 0
	v_pk_mov_b32 v[0:1], s[4:5], s[4:5] op_sel:[0,1]
	s_and_b64 vcc, exec, s[2:3]
	s_mov_b64 s[4:5], 0
	global_store_dwordx2 v2, v[0:1], s[6:7] offset:24
	s_cbranch_vccnz .LBB35_12
; %bb.10:
	s_mov_b64 s[12:13], s[8:9]
.LBB35_11:                              ; =>This Inner Loop Header: Depth=1
	s_sub_u32 s14, s12, s4
	s_subb_u32 s15, s13, s5
	s_lshr_b32 s16, s15, 31
	s_add_u32 s14, s14, s16
	s_addc_u32 s15, s15, 0
	s_ashr_i64 s[14:15], s[14:15], 1
	s_add_u32 s14, s14, s4
	s_addc_u32 s15, s15, s5
	s_lshl_b64 s[16:17], s[14:15], 2
	s_add_u32 s16, s10, s16
	s_addc_u32 s17, s11, s17
	s_load_dword s16, s[16:17], 0x0
	s_add_u32 s17, s14, 1
	s_addc_u32 s18, s15, 0
	s_waitcnt lgkmcnt(0)
	s_cmp_lt_u32 s16, 4
	s_cselect_b32 s13, s13, s15
	s_cselect_b32 s12, s12, s14
	s_cselect_b32 s5, s18, s5
	s_cselect_b32 s4, s17, s4
	v_pk_mov_b32 v[0:1], s[12:13], s[12:13] op_sel:[0,1]
	v_cmp_lt_i64_e32 vcc, s[4:5], v[0:1]
	s_cbranch_vccnz .LBB35_11
.LBB35_12:
	v_mov_b32_e32 v2, 0
	v_pk_mov_b32 v[0:1], s[4:5], s[4:5] op_sel:[0,1]
	s_and_b64 vcc, exec, s[2:3]
	s_mov_b64 s[4:5], 0
	global_store_dwordx2 v2, v[0:1], s[6:7] offset:32
	s_cbranch_vccnz .LBB35_15
; %bb.13:
	s_mov_b64 s[12:13], s[8:9]
.LBB35_14:                              ; =>This Inner Loop Header: Depth=1
	s_sub_u32 s14, s12, s4
	s_subb_u32 s15, s13, s5
	s_lshr_b32 s16, s15, 31
	s_add_u32 s14, s14, s16
	s_addc_u32 s15, s15, 0
	s_ashr_i64 s[14:15], s[14:15], 1
	s_add_u32 s14, s14, s4
	s_addc_u32 s15, s15, s5
	s_lshl_b64 s[16:17], s[14:15], 2
	s_add_u32 s16, s10, s16
	s_addc_u32 s17, s11, s17
	s_load_dword s16, s[16:17], 0x0
	s_add_u32 s17, s14, 1
	s_addc_u32 s18, s15, 0
	s_waitcnt lgkmcnt(0)
	s_cmp_lt_u32 s16, 5
	s_cselect_b32 s13, s13, s15
	s_cselect_b32 s12, s12, s14
	s_cselect_b32 s5, s18, s5
	s_cselect_b32 s4, s17, s4
	v_pk_mov_b32 v[0:1], s[12:13], s[12:13] op_sel:[0,1]
	v_cmp_lt_i64_e32 vcc, s[4:5], v[0:1]
	s_cbranch_vccnz .LBB35_14
.LBB35_15:
	v_mov_b32_e32 v2, 0
	v_pk_mov_b32 v[0:1], s[4:5], s[4:5] op_sel:[0,1]
	s_and_b64 vcc, exec, s[2:3]
	s_mov_b64 s[4:5], 0
	global_store_dwordx2 v2, v[0:1], s[6:7] offset:40
	s_cbranch_vccnz .LBB35_18
; %bb.16:
	s_mov_b64 s[12:13], s[8:9]
.LBB35_17:                              ; =>This Inner Loop Header: Depth=1
	s_sub_u32 s14, s12, s4
	s_subb_u32 s15, s13, s5
	s_lshr_b32 s16, s15, 31
	s_add_u32 s14, s14, s16
	s_addc_u32 s15, s15, 0
	s_ashr_i64 s[14:15], s[14:15], 1
	s_add_u32 s14, s14, s4
	s_addc_u32 s15, s15, s5
	s_lshl_b64 s[16:17], s[14:15], 2
	s_add_u32 s16, s10, s16
	s_addc_u32 s17, s11, s17
	s_load_dword s16, s[16:17], 0x0
	s_add_u32 s17, s14, 1
	s_addc_u32 s18, s15, 0
	s_waitcnt lgkmcnt(0)
	s_cmp_lt_u32 s16, 6
	s_cselect_b32 s13, s13, s15
	s_cselect_b32 s12, s12, s14
	s_cselect_b32 s5, s18, s5
	s_cselect_b32 s4, s17, s4
	v_pk_mov_b32 v[0:1], s[12:13], s[12:13] op_sel:[0,1]
	v_cmp_lt_i64_e32 vcc, s[4:5], v[0:1]
	s_cbranch_vccnz .LBB35_17
.LBB35_18:
	v_mov_b32_e32 v2, 0
	v_pk_mov_b32 v[0:1], s[4:5], s[4:5] op_sel:[0,1]
	s_and_b64 vcc, exec, s[2:3]
	s_mov_b64 s[2:3], 0
	global_store_dwordx2 v2, v[0:1], s[6:7] offset:48
	s_cbranch_vccnz .LBB35_21
; %bb.19:
	s_mov_b64 s[4:5], s[8:9]
.LBB35_20:                              ; =>This Inner Loop Header: Depth=1
	s_sub_u32 s12, s4, s2
	s_subb_u32 s13, s5, s3
	s_lshr_b32 s14, s13, 31
	s_add_u32 s12, s12, s14
	s_addc_u32 s13, s13, 0
	s_ashr_i64 s[12:13], s[12:13], 1
	s_add_u32 s12, s12, s2
	s_addc_u32 s13, s13, s3
	s_lshl_b64 s[14:15], s[12:13], 2
	s_add_u32 s14, s10, s14
	s_addc_u32 s15, s11, s15
	s_load_dword s14, s[14:15], 0x0
	s_add_u32 s15, s12, 1
	s_addc_u32 s16, s13, 0
	s_waitcnt lgkmcnt(0)
	s_cmp_lt_u32 s14, 7
	s_cselect_b32 s5, s5, s13
	s_cselect_b32 s4, s4, s12
	s_cselect_b32 s3, s16, s3
	s_cselect_b32 s2, s15, s2
	v_pk_mov_b32 v[0:1], s[4:5], s[4:5] op_sel:[0,1]
	v_cmp_lt_i64_e32 vcc, s[2:3], v[0:1]
	s_cbranch_vccnz .LBB35_20
.LBB35_21:
	v_mov_b32_e32 v0, 0
	v_pk_mov_b32 v[2:3], s[2:3], s[2:3] op_sel:[0,1]
	s_mov_b64 vcc, s[0:1]
	global_store_dwordx2 v0, v[2:3], s[6:7] offset:56
	s_cbranch_vccz .LBB35_23
; %bb.22:
	v_mov_b32_e32 v1, v0
	global_store_dwordx2 v0, v[0:1], s[6:7] offset:64
	s_mov_b64 s[0:1], 0
	s_cbranch_execz .LBB35_24
	s_branch .LBB35_28
.LBB35_23:
                                        ; implicit-def: $sgpr0_sgpr1
.LBB35_24:
	s_mov_b64 s[0:1], 0
	s_mov_b64 s[2:3], s[8:9]
.LBB35_25:                              ; =>This Inner Loop Header: Depth=1
	s_sub_u32 s4, s2, s0
	s_subb_u32 s5, s3, s1
	s_lshr_b32 s12, s5, 31
	s_add_u32 s4, s4, s12
	s_addc_u32 s5, s5, 0
	s_ashr_i64 s[4:5], s[4:5], 1
	s_add_u32 s4, s4, s0
	s_addc_u32 s5, s5, s1
	s_lshl_b64 s[12:13], s[4:5], 2
	s_add_u32 s12, s10, s12
	s_addc_u32 s13, s11, s13
	s_load_dword s12, s[12:13], 0x0
	s_add_u32 s13, s4, 1
	s_addc_u32 s14, s5, 0
	s_waitcnt lgkmcnt(0)
	s_cmp_lt_u32 s12, 8
	s_cselect_b32 s3, s3, s5
	s_cselect_b32 s2, s2, s4
	s_cselect_b32 s1, s14, s1
	s_cselect_b32 s0, s13, s0
	v_pk_mov_b32 v[0:1], s[2:3], s[2:3] op_sel:[0,1]
	v_cmp_lt_i64_e32 vcc, s[0:1], v[0:1]
	s_cbranch_vccnz .LBB35_25
; %bb.26:
	v_mov_b32_e32 v2, 0
	v_pk_mov_b32 v[0:1], s[0:1], s[0:1] op_sel:[0,1]
	s_mov_b64 s[0:1], 0
	global_store_dwordx2 v2, v[0:1], s[6:7] offset:64
.LBB35_27:                              ; =>This Inner Loop Header: Depth=1
	s_sub_u32 s2, s8, s0
	s_subb_u32 s3, s9, s1
	s_lshr_b32 s4, s3, 31
	s_add_u32 s2, s2, s4
	s_addc_u32 s3, s3, 0
	s_ashr_i64 s[2:3], s[2:3], 1
	s_add_u32 s2, s2, s0
	s_addc_u32 s3, s3, s1
	s_lshl_b64 s[4:5], s[2:3], 2
	s_add_u32 s4, s10, s4
	s_addc_u32 s5, s11, s5
	s_load_dword s4, s[4:5], 0x0
	s_add_u32 s5, s2, 1
	s_addc_u32 s12, s3, 0
	s_waitcnt lgkmcnt(0)
	s_cmp_lt_u32 s4, 9
	s_cselect_b32 s9, s9, s3
	s_cselect_b32 s8, s8, s2
	;; [unrolled: 1-line block ×4, first 2 shown]
	v_pk_mov_b32 v[0:1], s[8:9], s[8:9] op_sel:[0,1]
	v_cmp_ge_i64_e32 vcc, s[0:1], v[0:1]
	s_cbranch_vccz .LBB35_27
.LBB35_28:
	v_mov_b32_e32 v2, 0
	v_pk_mov_b32 v[0:1], s[0:1], s[0:1] op_sel:[0,1]
	global_store_dwordx2 v2, v[0:1], s[6:7] offset:72
	s_endpgm
	.section	.rodata,"a",@progbits
	.p2align	6, 0x0
	.amdhsa_kernel _Z18lower_bound_kernelIjEvmPT_Pl
		.amdhsa_group_segment_fixed_size 0
		.amdhsa_private_segment_fixed_size 0
		.amdhsa_kernarg_size 24
		.amdhsa_user_sgpr_count 6
		.amdhsa_user_sgpr_private_segment_buffer 1
		.amdhsa_user_sgpr_dispatch_ptr 0
		.amdhsa_user_sgpr_queue_ptr 0
		.amdhsa_user_sgpr_kernarg_segment_ptr 1
		.amdhsa_user_sgpr_dispatch_id 0
		.amdhsa_user_sgpr_flat_scratch_init 0
		.amdhsa_user_sgpr_kernarg_preload_length 0
		.amdhsa_user_sgpr_kernarg_preload_offset 0
		.amdhsa_user_sgpr_private_segment_size 0
		.amdhsa_uses_dynamic_stack 0
		.amdhsa_system_sgpr_private_segment_wavefront_offset 0
		.amdhsa_system_sgpr_workgroup_id_x 1
		.amdhsa_system_sgpr_workgroup_id_y 0
		.amdhsa_system_sgpr_workgroup_id_z 0
		.amdhsa_system_sgpr_workgroup_info 0
		.amdhsa_system_vgpr_workitem_id 0
		.amdhsa_next_free_vgpr 4
		.amdhsa_next_free_sgpr 19
		.amdhsa_accum_offset 4
		.amdhsa_reserve_vcc 1
		.amdhsa_reserve_flat_scratch 0
		.amdhsa_float_round_mode_32 0
		.amdhsa_float_round_mode_16_64 0
		.amdhsa_float_denorm_mode_32 3
		.amdhsa_float_denorm_mode_16_64 3
		.amdhsa_dx10_clamp 1
		.amdhsa_ieee_mode 1
		.amdhsa_fp16_overflow 0
		.amdhsa_tg_split 0
		.amdhsa_exception_fp_ieee_invalid_op 0
		.amdhsa_exception_fp_denorm_src 0
		.amdhsa_exception_fp_ieee_div_zero 0
		.amdhsa_exception_fp_ieee_overflow 0
		.amdhsa_exception_fp_ieee_underflow 0
		.amdhsa_exception_fp_ieee_inexact 0
		.amdhsa_exception_int_div_zero 0
	.end_amdhsa_kernel
	.section	.text._Z18lower_bound_kernelIjEvmPT_Pl,"axG",@progbits,_Z18lower_bound_kernelIjEvmPT_Pl,comdat
.Lfunc_end35:
	.size	_Z18lower_bound_kernelIjEvmPT_Pl, .Lfunc_end35-_Z18lower_bound_kernelIjEvmPT_Pl
                                        ; -- End function
	.section	.AMDGPU.csdata,"",@progbits
; Kernel info:
; codeLenInByte = 1312
; NumSgprs: 23
; NumVgprs: 4
; NumAgprs: 0
; TotalNumVgprs: 4
; ScratchSize: 0
; MemoryBound: 0
; FloatMode: 240
; IeeeMode: 1
; LDSByteSize: 0 bytes/workgroup (compile time only)
; SGPRBlocks: 2
; VGPRBlocks: 0
; NumSGPRsForWavesPerEU: 23
; NumVGPRsForWavesPerEU: 4
; AccumOffset: 4
; Occupancy: 8
; WaveLimiterHint : 0
; COMPUTE_PGM_RSRC2:SCRATCH_EN: 0
; COMPUTE_PGM_RSRC2:USER_SGPR: 6
; COMPUTE_PGM_RSRC2:TRAP_HANDLER: 0
; COMPUTE_PGM_RSRC2:TGID_X_EN: 1
; COMPUTE_PGM_RSRC2:TGID_Y_EN: 0
; COMPUTE_PGM_RSRC2:TGID_Z_EN: 0
; COMPUTE_PGM_RSRC2:TIDIG_COMP_CNT: 0
; COMPUTE_PGM_RSRC3_GFX90A:ACCUM_OFFSET: 0
; COMPUTE_PGM_RSRC3_GFX90A:TG_SPLIT: 0
	.section	.text._ZN7rocprim17ROCPRIM_400000_NS6detail17trampoline_kernelINS0_14default_configENS1_27lower_bound_config_selectorIjlEEZNS1_14transform_implILb0ES3_S5_N6thrust23THRUST_200600_302600_NS17counting_iteratorIjNS8_11use_defaultESA_SA_EEPlZNS1_13binary_searchIS3_S5_PjSB_SC_NS1_21lower_bound_search_opENS8_6detail16wrapped_functionI11custom_lessbEEEE10hipError_tPvRmT1_T2_T3_mmT4_T5_P12ihipStream_tbEUlRKjE_EESK_SO_SP_mSQ_ST_bEUlT_E_NS1_11comp_targetILNS1_3genE0ELNS1_11target_archE4294967295ELNS1_3gpuE0ELNS1_3repE0EEENS1_30default_config_static_selectorELNS0_4arch9wavefront6targetE1EEEvSN_,"axG",@progbits,_ZN7rocprim17ROCPRIM_400000_NS6detail17trampoline_kernelINS0_14default_configENS1_27lower_bound_config_selectorIjlEEZNS1_14transform_implILb0ES3_S5_N6thrust23THRUST_200600_302600_NS17counting_iteratorIjNS8_11use_defaultESA_SA_EEPlZNS1_13binary_searchIS3_S5_PjSB_SC_NS1_21lower_bound_search_opENS8_6detail16wrapped_functionI11custom_lessbEEEE10hipError_tPvRmT1_T2_T3_mmT4_T5_P12ihipStream_tbEUlRKjE_EESK_SO_SP_mSQ_ST_bEUlT_E_NS1_11comp_targetILNS1_3genE0ELNS1_11target_archE4294967295ELNS1_3gpuE0ELNS1_3repE0EEENS1_30default_config_static_selectorELNS0_4arch9wavefront6targetE1EEEvSN_,comdat
	.protected	_ZN7rocprim17ROCPRIM_400000_NS6detail17trampoline_kernelINS0_14default_configENS1_27lower_bound_config_selectorIjlEEZNS1_14transform_implILb0ES3_S5_N6thrust23THRUST_200600_302600_NS17counting_iteratorIjNS8_11use_defaultESA_SA_EEPlZNS1_13binary_searchIS3_S5_PjSB_SC_NS1_21lower_bound_search_opENS8_6detail16wrapped_functionI11custom_lessbEEEE10hipError_tPvRmT1_T2_T3_mmT4_T5_P12ihipStream_tbEUlRKjE_EESK_SO_SP_mSQ_ST_bEUlT_E_NS1_11comp_targetILNS1_3genE0ELNS1_11target_archE4294967295ELNS1_3gpuE0ELNS1_3repE0EEENS1_30default_config_static_selectorELNS0_4arch9wavefront6targetE1EEEvSN_ ; -- Begin function _ZN7rocprim17ROCPRIM_400000_NS6detail17trampoline_kernelINS0_14default_configENS1_27lower_bound_config_selectorIjlEEZNS1_14transform_implILb0ES3_S5_N6thrust23THRUST_200600_302600_NS17counting_iteratorIjNS8_11use_defaultESA_SA_EEPlZNS1_13binary_searchIS3_S5_PjSB_SC_NS1_21lower_bound_search_opENS8_6detail16wrapped_functionI11custom_lessbEEEE10hipError_tPvRmT1_T2_T3_mmT4_T5_P12ihipStream_tbEUlRKjE_EESK_SO_SP_mSQ_ST_bEUlT_E_NS1_11comp_targetILNS1_3genE0ELNS1_11target_archE4294967295ELNS1_3gpuE0ELNS1_3repE0EEENS1_30default_config_static_selectorELNS0_4arch9wavefront6targetE1EEEvSN_
	.globl	_ZN7rocprim17ROCPRIM_400000_NS6detail17trampoline_kernelINS0_14default_configENS1_27lower_bound_config_selectorIjlEEZNS1_14transform_implILb0ES3_S5_N6thrust23THRUST_200600_302600_NS17counting_iteratorIjNS8_11use_defaultESA_SA_EEPlZNS1_13binary_searchIS3_S5_PjSB_SC_NS1_21lower_bound_search_opENS8_6detail16wrapped_functionI11custom_lessbEEEE10hipError_tPvRmT1_T2_T3_mmT4_T5_P12ihipStream_tbEUlRKjE_EESK_SO_SP_mSQ_ST_bEUlT_E_NS1_11comp_targetILNS1_3genE0ELNS1_11target_archE4294967295ELNS1_3gpuE0ELNS1_3repE0EEENS1_30default_config_static_selectorELNS0_4arch9wavefront6targetE1EEEvSN_
	.p2align	8
	.type	_ZN7rocprim17ROCPRIM_400000_NS6detail17trampoline_kernelINS0_14default_configENS1_27lower_bound_config_selectorIjlEEZNS1_14transform_implILb0ES3_S5_N6thrust23THRUST_200600_302600_NS17counting_iteratorIjNS8_11use_defaultESA_SA_EEPlZNS1_13binary_searchIS3_S5_PjSB_SC_NS1_21lower_bound_search_opENS8_6detail16wrapped_functionI11custom_lessbEEEE10hipError_tPvRmT1_T2_T3_mmT4_T5_P12ihipStream_tbEUlRKjE_EESK_SO_SP_mSQ_ST_bEUlT_E_NS1_11comp_targetILNS1_3genE0ELNS1_11target_archE4294967295ELNS1_3gpuE0ELNS1_3repE0EEENS1_30default_config_static_selectorELNS0_4arch9wavefront6targetE1EEEvSN_,@function
_ZN7rocprim17ROCPRIM_400000_NS6detail17trampoline_kernelINS0_14default_configENS1_27lower_bound_config_selectorIjlEEZNS1_14transform_implILb0ES3_S5_N6thrust23THRUST_200600_302600_NS17counting_iteratorIjNS8_11use_defaultESA_SA_EEPlZNS1_13binary_searchIS3_S5_PjSB_SC_NS1_21lower_bound_search_opENS8_6detail16wrapped_functionI11custom_lessbEEEE10hipError_tPvRmT1_T2_T3_mmT4_T5_P12ihipStream_tbEUlRKjE_EESK_SO_SP_mSQ_ST_bEUlT_E_NS1_11comp_targetILNS1_3genE0ELNS1_11target_archE4294967295ELNS1_3gpuE0ELNS1_3repE0EEENS1_30default_config_static_selectorELNS0_4arch9wavefront6targetE1EEEvSN_: ; @_ZN7rocprim17ROCPRIM_400000_NS6detail17trampoline_kernelINS0_14default_configENS1_27lower_bound_config_selectorIjlEEZNS1_14transform_implILb0ES3_S5_N6thrust23THRUST_200600_302600_NS17counting_iteratorIjNS8_11use_defaultESA_SA_EEPlZNS1_13binary_searchIS3_S5_PjSB_SC_NS1_21lower_bound_search_opENS8_6detail16wrapped_functionI11custom_lessbEEEE10hipError_tPvRmT1_T2_T3_mmT4_T5_P12ihipStream_tbEUlRKjE_EESK_SO_SP_mSQ_ST_bEUlT_E_NS1_11comp_targetILNS1_3genE0ELNS1_11target_archE4294967295ELNS1_3gpuE0ELNS1_3repE0EEENS1_30default_config_static_selectorELNS0_4arch9wavefront6targetE1EEEvSN_
; %bb.0:
	.section	.rodata,"a",@progbits
	.p2align	6, 0x0
	.amdhsa_kernel _ZN7rocprim17ROCPRIM_400000_NS6detail17trampoline_kernelINS0_14default_configENS1_27lower_bound_config_selectorIjlEEZNS1_14transform_implILb0ES3_S5_N6thrust23THRUST_200600_302600_NS17counting_iteratorIjNS8_11use_defaultESA_SA_EEPlZNS1_13binary_searchIS3_S5_PjSB_SC_NS1_21lower_bound_search_opENS8_6detail16wrapped_functionI11custom_lessbEEEE10hipError_tPvRmT1_T2_T3_mmT4_T5_P12ihipStream_tbEUlRKjE_EESK_SO_SP_mSQ_ST_bEUlT_E_NS1_11comp_targetILNS1_3genE0ELNS1_11target_archE4294967295ELNS1_3gpuE0ELNS1_3repE0EEENS1_30default_config_static_selectorELNS0_4arch9wavefront6targetE1EEEvSN_
		.amdhsa_group_segment_fixed_size 0
		.amdhsa_private_segment_fixed_size 0
		.amdhsa_kernarg_size 56
		.amdhsa_user_sgpr_count 6
		.amdhsa_user_sgpr_private_segment_buffer 1
		.amdhsa_user_sgpr_dispatch_ptr 0
		.amdhsa_user_sgpr_queue_ptr 0
		.amdhsa_user_sgpr_kernarg_segment_ptr 1
		.amdhsa_user_sgpr_dispatch_id 0
		.amdhsa_user_sgpr_flat_scratch_init 0
		.amdhsa_user_sgpr_kernarg_preload_length 0
		.amdhsa_user_sgpr_kernarg_preload_offset 0
		.amdhsa_user_sgpr_private_segment_size 0
		.amdhsa_uses_dynamic_stack 0
		.amdhsa_system_sgpr_private_segment_wavefront_offset 0
		.amdhsa_system_sgpr_workgroup_id_x 1
		.amdhsa_system_sgpr_workgroup_id_y 0
		.amdhsa_system_sgpr_workgroup_id_z 0
		.amdhsa_system_sgpr_workgroup_info 0
		.amdhsa_system_vgpr_workitem_id 0
		.amdhsa_next_free_vgpr 1
		.amdhsa_next_free_sgpr 0
		.amdhsa_accum_offset 4
		.amdhsa_reserve_vcc 0
		.amdhsa_reserve_flat_scratch 0
		.amdhsa_float_round_mode_32 0
		.amdhsa_float_round_mode_16_64 0
		.amdhsa_float_denorm_mode_32 3
		.amdhsa_float_denorm_mode_16_64 3
		.amdhsa_dx10_clamp 1
		.amdhsa_ieee_mode 1
		.amdhsa_fp16_overflow 0
		.amdhsa_tg_split 0
		.amdhsa_exception_fp_ieee_invalid_op 0
		.amdhsa_exception_fp_denorm_src 0
		.amdhsa_exception_fp_ieee_div_zero 0
		.amdhsa_exception_fp_ieee_overflow 0
		.amdhsa_exception_fp_ieee_underflow 0
		.amdhsa_exception_fp_ieee_inexact 0
		.amdhsa_exception_int_div_zero 0
	.end_amdhsa_kernel
	.section	.text._ZN7rocprim17ROCPRIM_400000_NS6detail17trampoline_kernelINS0_14default_configENS1_27lower_bound_config_selectorIjlEEZNS1_14transform_implILb0ES3_S5_N6thrust23THRUST_200600_302600_NS17counting_iteratorIjNS8_11use_defaultESA_SA_EEPlZNS1_13binary_searchIS3_S5_PjSB_SC_NS1_21lower_bound_search_opENS8_6detail16wrapped_functionI11custom_lessbEEEE10hipError_tPvRmT1_T2_T3_mmT4_T5_P12ihipStream_tbEUlRKjE_EESK_SO_SP_mSQ_ST_bEUlT_E_NS1_11comp_targetILNS1_3genE0ELNS1_11target_archE4294967295ELNS1_3gpuE0ELNS1_3repE0EEENS1_30default_config_static_selectorELNS0_4arch9wavefront6targetE1EEEvSN_,"axG",@progbits,_ZN7rocprim17ROCPRIM_400000_NS6detail17trampoline_kernelINS0_14default_configENS1_27lower_bound_config_selectorIjlEEZNS1_14transform_implILb0ES3_S5_N6thrust23THRUST_200600_302600_NS17counting_iteratorIjNS8_11use_defaultESA_SA_EEPlZNS1_13binary_searchIS3_S5_PjSB_SC_NS1_21lower_bound_search_opENS8_6detail16wrapped_functionI11custom_lessbEEEE10hipError_tPvRmT1_T2_T3_mmT4_T5_P12ihipStream_tbEUlRKjE_EESK_SO_SP_mSQ_ST_bEUlT_E_NS1_11comp_targetILNS1_3genE0ELNS1_11target_archE4294967295ELNS1_3gpuE0ELNS1_3repE0EEENS1_30default_config_static_selectorELNS0_4arch9wavefront6targetE1EEEvSN_,comdat
.Lfunc_end36:
	.size	_ZN7rocprim17ROCPRIM_400000_NS6detail17trampoline_kernelINS0_14default_configENS1_27lower_bound_config_selectorIjlEEZNS1_14transform_implILb0ES3_S5_N6thrust23THRUST_200600_302600_NS17counting_iteratorIjNS8_11use_defaultESA_SA_EEPlZNS1_13binary_searchIS3_S5_PjSB_SC_NS1_21lower_bound_search_opENS8_6detail16wrapped_functionI11custom_lessbEEEE10hipError_tPvRmT1_T2_T3_mmT4_T5_P12ihipStream_tbEUlRKjE_EESK_SO_SP_mSQ_ST_bEUlT_E_NS1_11comp_targetILNS1_3genE0ELNS1_11target_archE4294967295ELNS1_3gpuE0ELNS1_3repE0EEENS1_30default_config_static_selectorELNS0_4arch9wavefront6targetE1EEEvSN_, .Lfunc_end36-_ZN7rocprim17ROCPRIM_400000_NS6detail17trampoline_kernelINS0_14default_configENS1_27lower_bound_config_selectorIjlEEZNS1_14transform_implILb0ES3_S5_N6thrust23THRUST_200600_302600_NS17counting_iteratorIjNS8_11use_defaultESA_SA_EEPlZNS1_13binary_searchIS3_S5_PjSB_SC_NS1_21lower_bound_search_opENS8_6detail16wrapped_functionI11custom_lessbEEEE10hipError_tPvRmT1_T2_T3_mmT4_T5_P12ihipStream_tbEUlRKjE_EESK_SO_SP_mSQ_ST_bEUlT_E_NS1_11comp_targetILNS1_3genE0ELNS1_11target_archE4294967295ELNS1_3gpuE0ELNS1_3repE0EEENS1_30default_config_static_selectorELNS0_4arch9wavefront6targetE1EEEvSN_
                                        ; -- End function
	.section	.AMDGPU.csdata,"",@progbits
; Kernel info:
; codeLenInByte = 0
; NumSgprs: 4
; NumVgprs: 0
; NumAgprs: 0
; TotalNumVgprs: 0
; ScratchSize: 0
; MemoryBound: 0
; FloatMode: 240
; IeeeMode: 1
; LDSByteSize: 0 bytes/workgroup (compile time only)
; SGPRBlocks: 0
; VGPRBlocks: 0
; NumSGPRsForWavesPerEU: 4
; NumVGPRsForWavesPerEU: 1
; AccumOffset: 4
; Occupancy: 8
; WaveLimiterHint : 0
; COMPUTE_PGM_RSRC2:SCRATCH_EN: 0
; COMPUTE_PGM_RSRC2:USER_SGPR: 6
; COMPUTE_PGM_RSRC2:TRAP_HANDLER: 0
; COMPUTE_PGM_RSRC2:TGID_X_EN: 1
; COMPUTE_PGM_RSRC2:TGID_Y_EN: 0
; COMPUTE_PGM_RSRC2:TGID_Z_EN: 0
; COMPUTE_PGM_RSRC2:TIDIG_COMP_CNT: 0
; COMPUTE_PGM_RSRC3_GFX90A:ACCUM_OFFSET: 0
; COMPUTE_PGM_RSRC3_GFX90A:TG_SPLIT: 0
	.section	.text._ZN7rocprim17ROCPRIM_400000_NS6detail17trampoline_kernelINS0_14default_configENS1_27lower_bound_config_selectorIjlEEZNS1_14transform_implILb0ES3_S5_N6thrust23THRUST_200600_302600_NS17counting_iteratorIjNS8_11use_defaultESA_SA_EEPlZNS1_13binary_searchIS3_S5_PjSB_SC_NS1_21lower_bound_search_opENS8_6detail16wrapped_functionI11custom_lessbEEEE10hipError_tPvRmT1_T2_T3_mmT4_T5_P12ihipStream_tbEUlRKjE_EESK_SO_SP_mSQ_ST_bEUlT_E_NS1_11comp_targetILNS1_3genE5ELNS1_11target_archE942ELNS1_3gpuE9ELNS1_3repE0EEENS1_30default_config_static_selectorELNS0_4arch9wavefront6targetE1EEEvSN_,"axG",@progbits,_ZN7rocprim17ROCPRIM_400000_NS6detail17trampoline_kernelINS0_14default_configENS1_27lower_bound_config_selectorIjlEEZNS1_14transform_implILb0ES3_S5_N6thrust23THRUST_200600_302600_NS17counting_iteratorIjNS8_11use_defaultESA_SA_EEPlZNS1_13binary_searchIS3_S5_PjSB_SC_NS1_21lower_bound_search_opENS8_6detail16wrapped_functionI11custom_lessbEEEE10hipError_tPvRmT1_T2_T3_mmT4_T5_P12ihipStream_tbEUlRKjE_EESK_SO_SP_mSQ_ST_bEUlT_E_NS1_11comp_targetILNS1_3genE5ELNS1_11target_archE942ELNS1_3gpuE9ELNS1_3repE0EEENS1_30default_config_static_selectorELNS0_4arch9wavefront6targetE1EEEvSN_,comdat
	.protected	_ZN7rocprim17ROCPRIM_400000_NS6detail17trampoline_kernelINS0_14default_configENS1_27lower_bound_config_selectorIjlEEZNS1_14transform_implILb0ES3_S5_N6thrust23THRUST_200600_302600_NS17counting_iteratorIjNS8_11use_defaultESA_SA_EEPlZNS1_13binary_searchIS3_S5_PjSB_SC_NS1_21lower_bound_search_opENS8_6detail16wrapped_functionI11custom_lessbEEEE10hipError_tPvRmT1_T2_T3_mmT4_T5_P12ihipStream_tbEUlRKjE_EESK_SO_SP_mSQ_ST_bEUlT_E_NS1_11comp_targetILNS1_3genE5ELNS1_11target_archE942ELNS1_3gpuE9ELNS1_3repE0EEENS1_30default_config_static_selectorELNS0_4arch9wavefront6targetE1EEEvSN_ ; -- Begin function _ZN7rocprim17ROCPRIM_400000_NS6detail17trampoline_kernelINS0_14default_configENS1_27lower_bound_config_selectorIjlEEZNS1_14transform_implILb0ES3_S5_N6thrust23THRUST_200600_302600_NS17counting_iteratorIjNS8_11use_defaultESA_SA_EEPlZNS1_13binary_searchIS3_S5_PjSB_SC_NS1_21lower_bound_search_opENS8_6detail16wrapped_functionI11custom_lessbEEEE10hipError_tPvRmT1_T2_T3_mmT4_T5_P12ihipStream_tbEUlRKjE_EESK_SO_SP_mSQ_ST_bEUlT_E_NS1_11comp_targetILNS1_3genE5ELNS1_11target_archE942ELNS1_3gpuE9ELNS1_3repE0EEENS1_30default_config_static_selectorELNS0_4arch9wavefront6targetE1EEEvSN_
	.globl	_ZN7rocprim17ROCPRIM_400000_NS6detail17trampoline_kernelINS0_14default_configENS1_27lower_bound_config_selectorIjlEEZNS1_14transform_implILb0ES3_S5_N6thrust23THRUST_200600_302600_NS17counting_iteratorIjNS8_11use_defaultESA_SA_EEPlZNS1_13binary_searchIS3_S5_PjSB_SC_NS1_21lower_bound_search_opENS8_6detail16wrapped_functionI11custom_lessbEEEE10hipError_tPvRmT1_T2_T3_mmT4_T5_P12ihipStream_tbEUlRKjE_EESK_SO_SP_mSQ_ST_bEUlT_E_NS1_11comp_targetILNS1_3genE5ELNS1_11target_archE942ELNS1_3gpuE9ELNS1_3repE0EEENS1_30default_config_static_selectorELNS0_4arch9wavefront6targetE1EEEvSN_
	.p2align	8
	.type	_ZN7rocprim17ROCPRIM_400000_NS6detail17trampoline_kernelINS0_14default_configENS1_27lower_bound_config_selectorIjlEEZNS1_14transform_implILb0ES3_S5_N6thrust23THRUST_200600_302600_NS17counting_iteratorIjNS8_11use_defaultESA_SA_EEPlZNS1_13binary_searchIS3_S5_PjSB_SC_NS1_21lower_bound_search_opENS8_6detail16wrapped_functionI11custom_lessbEEEE10hipError_tPvRmT1_T2_T3_mmT4_T5_P12ihipStream_tbEUlRKjE_EESK_SO_SP_mSQ_ST_bEUlT_E_NS1_11comp_targetILNS1_3genE5ELNS1_11target_archE942ELNS1_3gpuE9ELNS1_3repE0EEENS1_30default_config_static_selectorELNS0_4arch9wavefront6targetE1EEEvSN_,@function
_ZN7rocprim17ROCPRIM_400000_NS6detail17trampoline_kernelINS0_14default_configENS1_27lower_bound_config_selectorIjlEEZNS1_14transform_implILb0ES3_S5_N6thrust23THRUST_200600_302600_NS17counting_iteratorIjNS8_11use_defaultESA_SA_EEPlZNS1_13binary_searchIS3_S5_PjSB_SC_NS1_21lower_bound_search_opENS8_6detail16wrapped_functionI11custom_lessbEEEE10hipError_tPvRmT1_T2_T3_mmT4_T5_P12ihipStream_tbEUlRKjE_EESK_SO_SP_mSQ_ST_bEUlT_E_NS1_11comp_targetILNS1_3genE5ELNS1_11target_archE942ELNS1_3gpuE9ELNS1_3repE0EEENS1_30default_config_static_selectorELNS0_4arch9wavefront6targetE1EEEvSN_: ; @_ZN7rocprim17ROCPRIM_400000_NS6detail17trampoline_kernelINS0_14default_configENS1_27lower_bound_config_selectorIjlEEZNS1_14transform_implILb0ES3_S5_N6thrust23THRUST_200600_302600_NS17counting_iteratorIjNS8_11use_defaultESA_SA_EEPlZNS1_13binary_searchIS3_S5_PjSB_SC_NS1_21lower_bound_search_opENS8_6detail16wrapped_functionI11custom_lessbEEEE10hipError_tPvRmT1_T2_T3_mmT4_T5_P12ihipStream_tbEUlRKjE_EESK_SO_SP_mSQ_ST_bEUlT_E_NS1_11comp_targetILNS1_3genE5ELNS1_11target_archE942ELNS1_3gpuE9ELNS1_3repE0EEENS1_30default_config_static_selectorELNS0_4arch9wavefront6targetE1EEEvSN_
; %bb.0:
	.section	.rodata,"a",@progbits
	.p2align	6, 0x0
	.amdhsa_kernel _ZN7rocprim17ROCPRIM_400000_NS6detail17trampoline_kernelINS0_14default_configENS1_27lower_bound_config_selectorIjlEEZNS1_14transform_implILb0ES3_S5_N6thrust23THRUST_200600_302600_NS17counting_iteratorIjNS8_11use_defaultESA_SA_EEPlZNS1_13binary_searchIS3_S5_PjSB_SC_NS1_21lower_bound_search_opENS8_6detail16wrapped_functionI11custom_lessbEEEE10hipError_tPvRmT1_T2_T3_mmT4_T5_P12ihipStream_tbEUlRKjE_EESK_SO_SP_mSQ_ST_bEUlT_E_NS1_11comp_targetILNS1_3genE5ELNS1_11target_archE942ELNS1_3gpuE9ELNS1_3repE0EEENS1_30default_config_static_selectorELNS0_4arch9wavefront6targetE1EEEvSN_
		.amdhsa_group_segment_fixed_size 0
		.amdhsa_private_segment_fixed_size 0
		.amdhsa_kernarg_size 56
		.amdhsa_user_sgpr_count 6
		.amdhsa_user_sgpr_private_segment_buffer 1
		.amdhsa_user_sgpr_dispatch_ptr 0
		.amdhsa_user_sgpr_queue_ptr 0
		.amdhsa_user_sgpr_kernarg_segment_ptr 1
		.amdhsa_user_sgpr_dispatch_id 0
		.amdhsa_user_sgpr_flat_scratch_init 0
		.amdhsa_user_sgpr_kernarg_preload_length 0
		.amdhsa_user_sgpr_kernarg_preload_offset 0
		.amdhsa_user_sgpr_private_segment_size 0
		.amdhsa_uses_dynamic_stack 0
		.amdhsa_system_sgpr_private_segment_wavefront_offset 0
		.amdhsa_system_sgpr_workgroup_id_x 1
		.amdhsa_system_sgpr_workgroup_id_y 0
		.amdhsa_system_sgpr_workgroup_id_z 0
		.amdhsa_system_sgpr_workgroup_info 0
		.amdhsa_system_vgpr_workitem_id 0
		.amdhsa_next_free_vgpr 1
		.amdhsa_next_free_sgpr 0
		.amdhsa_accum_offset 4
		.amdhsa_reserve_vcc 0
		.amdhsa_reserve_flat_scratch 0
		.amdhsa_float_round_mode_32 0
		.amdhsa_float_round_mode_16_64 0
		.amdhsa_float_denorm_mode_32 3
		.amdhsa_float_denorm_mode_16_64 3
		.amdhsa_dx10_clamp 1
		.amdhsa_ieee_mode 1
		.amdhsa_fp16_overflow 0
		.amdhsa_tg_split 0
		.amdhsa_exception_fp_ieee_invalid_op 0
		.amdhsa_exception_fp_denorm_src 0
		.amdhsa_exception_fp_ieee_div_zero 0
		.amdhsa_exception_fp_ieee_overflow 0
		.amdhsa_exception_fp_ieee_underflow 0
		.amdhsa_exception_fp_ieee_inexact 0
		.amdhsa_exception_int_div_zero 0
	.end_amdhsa_kernel
	.section	.text._ZN7rocprim17ROCPRIM_400000_NS6detail17trampoline_kernelINS0_14default_configENS1_27lower_bound_config_selectorIjlEEZNS1_14transform_implILb0ES3_S5_N6thrust23THRUST_200600_302600_NS17counting_iteratorIjNS8_11use_defaultESA_SA_EEPlZNS1_13binary_searchIS3_S5_PjSB_SC_NS1_21lower_bound_search_opENS8_6detail16wrapped_functionI11custom_lessbEEEE10hipError_tPvRmT1_T2_T3_mmT4_T5_P12ihipStream_tbEUlRKjE_EESK_SO_SP_mSQ_ST_bEUlT_E_NS1_11comp_targetILNS1_3genE5ELNS1_11target_archE942ELNS1_3gpuE9ELNS1_3repE0EEENS1_30default_config_static_selectorELNS0_4arch9wavefront6targetE1EEEvSN_,"axG",@progbits,_ZN7rocprim17ROCPRIM_400000_NS6detail17trampoline_kernelINS0_14default_configENS1_27lower_bound_config_selectorIjlEEZNS1_14transform_implILb0ES3_S5_N6thrust23THRUST_200600_302600_NS17counting_iteratorIjNS8_11use_defaultESA_SA_EEPlZNS1_13binary_searchIS3_S5_PjSB_SC_NS1_21lower_bound_search_opENS8_6detail16wrapped_functionI11custom_lessbEEEE10hipError_tPvRmT1_T2_T3_mmT4_T5_P12ihipStream_tbEUlRKjE_EESK_SO_SP_mSQ_ST_bEUlT_E_NS1_11comp_targetILNS1_3genE5ELNS1_11target_archE942ELNS1_3gpuE9ELNS1_3repE0EEENS1_30default_config_static_selectorELNS0_4arch9wavefront6targetE1EEEvSN_,comdat
.Lfunc_end37:
	.size	_ZN7rocprim17ROCPRIM_400000_NS6detail17trampoline_kernelINS0_14default_configENS1_27lower_bound_config_selectorIjlEEZNS1_14transform_implILb0ES3_S5_N6thrust23THRUST_200600_302600_NS17counting_iteratorIjNS8_11use_defaultESA_SA_EEPlZNS1_13binary_searchIS3_S5_PjSB_SC_NS1_21lower_bound_search_opENS8_6detail16wrapped_functionI11custom_lessbEEEE10hipError_tPvRmT1_T2_T3_mmT4_T5_P12ihipStream_tbEUlRKjE_EESK_SO_SP_mSQ_ST_bEUlT_E_NS1_11comp_targetILNS1_3genE5ELNS1_11target_archE942ELNS1_3gpuE9ELNS1_3repE0EEENS1_30default_config_static_selectorELNS0_4arch9wavefront6targetE1EEEvSN_, .Lfunc_end37-_ZN7rocprim17ROCPRIM_400000_NS6detail17trampoline_kernelINS0_14default_configENS1_27lower_bound_config_selectorIjlEEZNS1_14transform_implILb0ES3_S5_N6thrust23THRUST_200600_302600_NS17counting_iteratorIjNS8_11use_defaultESA_SA_EEPlZNS1_13binary_searchIS3_S5_PjSB_SC_NS1_21lower_bound_search_opENS8_6detail16wrapped_functionI11custom_lessbEEEE10hipError_tPvRmT1_T2_T3_mmT4_T5_P12ihipStream_tbEUlRKjE_EESK_SO_SP_mSQ_ST_bEUlT_E_NS1_11comp_targetILNS1_3genE5ELNS1_11target_archE942ELNS1_3gpuE9ELNS1_3repE0EEENS1_30default_config_static_selectorELNS0_4arch9wavefront6targetE1EEEvSN_
                                        ; -- End function
	.section	.AMDGPU.csdata,"",@progbits
; Kernel info:
; codeLenInByte = 0
; NumSgprs: 4
; NumVgprs: 0
; NumAgprs: 0
; TotalNumVgprs: 0
; ScratchSize: 0
; MemoryBound: 0
; FloatMode: 240
; IeeeMode: 1
; LDSByteSize: 0 bytes/workgroup (compile time only)
; SGPRBlocks: 0
; VGPRBlocks: 0
; NumSGPRsForWavesPerEU: 4
; NumVGPRsForWavesPerEU: 1
; AccumOffset: 4
; Occupancy: 8
; WaveLimiterHint : 0
; COMPUTE_PGM_RSRC2:SCRATCH_EN: 0
; COMPUTE_PGM_RSRC2:USER_SGPR: 6
; COMPUTE_PGM_RSRC2:TRAP_HANDLER: 0
; COMPUTE_PGM_RSRC2:TGID_X_EN: 1
; COMPUTE_PGM_RSRC2:TGID_Y_EN: 0
; COMPUTE_PGM_RSRC2:TGID_Z_EN: 0
; COMPUTE_PGM_RSRC2:TIDIG_COMP_CNT: 0
; COMPUTE_PGM_RSRC3_GFX90A:ACCUM_OFFSET: 0
; COMPUTE_PGM_RSRC3_GFX90A:TG_SPLIT: 0
	.section	.text._ZN7rocprim17ROCPRIM_400000_NS6detail17trampoline_kernelINS0_14default_configENS1_27lower_bound_config_selectorIjlEEZNS1_14transform_implILb0ES3_S5_N6thrust23THRUST_200600_302600_NS17counting_iteratorIjNS8_11use_defaultESA_SA_EEPlZNS1_13binary_searchIS3_S5_PjSB_SC_NS1_21lower_bound_search_opENS8_6detail16wrapped_functionI11custom_lessbEEEE10hipError_tPvRmT1_T2_T3_mmT4_T5_P12ihipStream_tbEUlRKjE_EESK_SO_SP_mSQ_ST_bEUlT_E_NS1_11comp_targetILNS1_3genE4ELNS1_11target_archE910ELNS1_3gpuE8ELNS1_3repE0EEENS1_30default_config_static_selectorELNS0_4arch9wavefront6targetE1EEEvSN_,"axG",@progbits,_ZN7rocprim17ROCPRIM_400000_NS6detail17trampoline_kernelINS0_14default_configENS1_27lower_bound_config_selectorIjlEEZNS1_14transform_implILb0ES3_S5_N6thrust23THRUST_200600_302600_NS17counting_iteratorIjNS8_11use_defaultESA_SA_EEPlZNS1_13binary_searchIS3_S5_PjSB_SC_NS1_21lower_bound_search_opENS8_6detail16wrapped_functionI11custom_lessbEEEE10hipError_tPvRmT1_T2_T3_mmT4_T5_P12ihipStream_tbEUlRKjE_EESK_SO_SP_mSQ_ST_bEUlT_E_NS1_11comp_targetILNS1_3genE4ELNS1_11target_archE910ELNS1_3gpuE8ELNS1_3repE0EEENS1_30default_config_static_selectorELNS0_4arch9wavefront6targetE1EEEvSN_,comdat
	.protected	_ZN7rocprim17ROCPRIM_400000_NS6detail17trampoline_kernelINS0_14default_configENS1_27lower_bound_config_selectorIjlEEZNS1_14transform_implILb0ES3_S5_N6thrust23THRUST_200600_302600_NS17counting_iteratorIjNS8_11use_defaultESA_SA_EEPlZNS1_13binary_searchIS3_S5_PjSB_SC_NS1_21lower_bound_search_opENS8_6detail16wrapped_functionI11custom_lessbEEEE10hipError_tPvRmT1_T2_T3_mmT4_T5_P12ihipStream_tbEUlRKjE_EESK_SO_SP_mSQ_ST_bEUlT_E_NS1_11comp_targetILNS1_3genE4ELNS1_11target_archE910ELNS1_3gpuE8ELNS1_3repE0EEENS1_30default_config_static_selectorELNS0_4arch9wavefront6targetE1EEEvSN_ ; -- Begin function _ZN7rocprim17ROCPRIM_400000_NS6detail17trampoline_kernelINS0_14default_configENS1_27lower_bound_config_selectorIjlEEZNS1_14transform_implILb0ES3_S5_N6thrust23THRUST_200600_302600_NS17counting_iteratorIjNS8_11use_defaultESA_SA_EEPlZNS1_13binary_searchIS3_S5_PjSB_SC_NS1_21lower_bound_search_opENS8_6detail16wrapped_functionI11custom_lessbEEEE10hipError_tPvRmT1_T2_T3_mmT4_T5_P12ihipStream_tbEUlRKjE_EESK_SO_SP_mSQ_ST_bEUlT_E_NS1_11comp_targetILNS1_3genE4ELNS1_11target_archE910ELNS1_3gpuE8ELNS1_3repE0EEENS1_30default_config_static_selectorELNS0_4arch9wavefront6targetE1EEEvSN_
	.globl	_ZN7rocprim17ROCPRIM_400000_NS6detail17trampoline_kernelINS0_14default_configENS1_27lower_bound_config_selectorIjlEEZNS1_14transform_implILb0ES3_S5_N6thrust23THRUST_200600_302600_NS17counting_iteratorIjNS8_11use_defaultESA_SA_EEPlZNS1_13binary_searchIS3_S5_PjSB_SC_NS1_21lower_bound_search_opENS8_6detail16wrapped_functionI11custom_lessbEEEE10hipError_tPvRmT1_T2_T3_mmT4_T5_P12ihipStream_tbEUlRKjE_EESK_SO_SP_mSQ_ST_bEUlT_E_NS1_11comp_targetILNS1_3genE4ELNS1_11target_archE910ELNS1_3gpuE8ELNS1_3repE0EEENS1_30default_config_static_selectorELNS0_4arch9wavefront6targetE1EEEvSN_
	.p2align	8
	.type	_ZN7rocprim17ROCPRIM_400000_NS6detail17trampoline_kernelINS0_14default_configENS1_27lower_bound_config_selectorIjlEEZNS1_14transform_implILb0ES3_S5_N6thrust23THRUST_200600_302600_NS17counting_iteratorIjNS8_11use_defaultESA_SA_EEPlZNS1_13binary_searchIS3_S5_PjSB_SC_NS1_21lower_bound_search_opENS8_6detail16wrapped_functionI11custom_lessbEEEE10hipError_tPvRmT1_T2_T3_mmT4_T5_P12ihipStream_tbEUlRKjE_EESK_SO_SP_mSQ_ST_bEUlT_E_NS1_11comp_targetILNS1_3genE4ELNS1_11target_archE910ELNS1_3gpuE8ELNS1_3repE0EEENS1_30default_config_static_selectorELNS0_4arch9wavefront6targetE1EEEvSN_,@function
_ZN7rocprim17ROCPRIM_400000_NS6detail17trampoline_kernelINS0_14default_configENS1_27lower_bound_config_selectorIjlEEZNS1_14transform_implILb0ES3_S5_N6thrust23THRUST_200600_302600_NS17counting_iteratorIjNS8_11use_defaultESA_SA_EEPlZNS1_13binary_searchIS3_S5_PjSB_SC_NS1_21lower_bound_search_opENS8_6detail16wrapped_functionI11custom_lessbEEEE10hipError_tPvRmT1_T2_T3_mmT4_T5_P12ihipStream_tbEUlRKjE_EESK_SO_SP_mSQ_ST_bEUlT_E_NS1_11comp_targetILNS1_3genE4ELNS1_11target_archE910ELNS1_3gpuE8ELNS1_3repE0EEENS1_30default_config_static_selectorELNS0_4arch9wavefront6targetE1EEEvSN_: ; @_ZN7rocprim17ROCPRIM_400000_NS6detail17trampoline_kernelINS0_14default_configENS1_27lower_bound_config_selectorIjlEEZNS1_14transform_implILb0ES3_S5_N6thrust23THRUST_200600_302600_NS17counting_iteratorIjNS8_11use_defaultESA_SA_EEPlZNS1_13binary_searchIS3_S5_PjSB_SC_NS1_21lower_bound_search_opENS8_6detail16wrapped_functionI11custom_lessbEEEE10hipError_tPvRmT1_T2_T3_mmT4_T5_P12ihipStream_tbEUlRKjE_EESK_SO_SP_mSQ_ST_bEUlT_E_NS1_11comp_targetILNS1_3genE4ELNS1_11target_archE910ELNS1_3gpuE8ELNS1_3repE0EEENS1_30default_config_static_selectorELNS0_4arch9wavefront6targetE1EEEvSN_
; %bb.0:
	s_load_dword s16, s[4:5], 0x0
	s_load_dwordx2 s[8:9], s[4:5], 0x8
	s_load_dword s7, s[4:5], 0x38
	s_load_dwordx4 s[0:3], s[4:5], 0x18
	s_load_dwordx2 s[12:13], s[4:5], 0x28
	s_lshl_b32 s10, s6, 8
	s_waitcnt lgkmcnt(0)
	s_add_i32 s16, s16, s8
	s_add_i32 s7, s7, -1
	s_cmp_lg_u32 s6, s7
	s_mov_b32 s11, 0
	s_cbranch_scc0 .LBB38_6
; %bb.1:
	s_mov_b64 s[14:15], 0
	s_cmp_eq_u64 s[12:13], 0
	v_pk_mov_b32 v[2:3], 0, 0
	s_cbranch_scc1 .LBB38_5
; %bb.2:
	s_add_i32 s6, s16, s10
	v_add_u32_e32 v1, s6, v0
	s_mov_b64 s[6:7], 0
	v_pk_mov_b32 v[2:3], 0, 0
	v_pk_mov_b32 v[4:5], s[12:13], s[12:13] op_sel:[0,1]
	v_mov_b32_e32 v6, s3
.LBB38_3:                               ; =>This Inner Loop Header: Depth=1
	v_sub_co_u32_e32 v8, vcc, v4, v2
	v_subb_co_u32_e32 v9, vcc, v5, v3, vcc
	v_lshrrev_b64 v[10:11], 1, v[8:9]
	v_add_co_u32_e32 v7, vcc, v10, v2
	v_lshrrev_b64 v[8:9], 6, v[8:9]
	v_addc_co_u32_e32 v10, vcc, v11, v3, vcc
	v_add_co_u32_e32 v8, vcc, v7, v8
	v_addc_co_u32_e32 v9, vcc, v10, v9, vcc
	v_lshlrev_b64 v[10:11], 2, v[8:9]
	v_add_co_u32_e32 v10, vcc, s2, v10
	v_addc_co_u32_e32 v11, vcc, v6, v11, vcc
	global_load_dword v7, v[10:11], off
	v_add_co_u32_e32 v10, vcc, 1, v8
	v_addc_co_u32_e32 v11, vcc, 0, v9, vcc
	s_waitcnt vmcnt(0)
	v_cmp_lt_u32_e32 vcc, v7, v1
	v_cndmask_b32_e32 v5, v9, v5, vcc
	v_cndmask_b32_e32 v4, v8, v4, vcc
	v_cndmask_b32_e32 v3, v3, v11, vcc
	v_cndmask_b32_e32 v2, v2, v10, vcc
	v_cmp_ge_u64_e32 vcc, v[2:3], v[4:5]
	s_or_b64 s[6:7], vcc, s[6:7]
	s_andn2_b64 exec, exec, s[6:7]
	s_cbranch_execnz .LBB38_3
; %bb.4:
	s_or_b64 exec, exec, s[6:7]
.LBB38_5:
	s_mov_b64 s[6:7], -1
	s_andn2_b64 vcc, exec, s[14:15]
	s_cbranch_vccz .LBB38_7
	s_branch .LBB38_13
.LBB38_6:
	s_mov_b64 s[6:7], 0
                                        ; implicit-def: $vgpr2_vgpr3
.LBB38_7:
	s_load_dword s4, s[4:5], 0x10
                                        ; implicit-def: $vgpr2_vgpr3
	s_waitcnt lgkmcnt(0)
	s_sub_i32 s4, s4, s10
	v_cmp_gt_u32_e64 s[6:7], s4, v0
	s_and_saveexec_b64 s[4:5], s[6:7]
	s_cbranch_execz .LBB38_12
; %bb.8:
	s_mov_b64 s[14:15], 0
	s_cmp_eq_u64 s[12:13], 0
	v_pk_mov_b32 v[2:3], 0, 0
	s_cbranch_scc1 .LBB38_12
; %bb.9:
	s_add_i32 s16, s16, s10
	v_add_u32_e32 v1, s16, v0
	v_pk_mov_b32 v[2:3], 0, 0
	v_pk_mov_b32 v[4:5], s[12:13], s[12:13] op_sel:[0,1]
	v_mov_b32_e32 v6, s3
.LBB38_10:                              ; =>This Inner Loop Header: Depth=1
	v_sub_co_u32_e32 v8, vcc, v4, v2
	v_subb_co_u32_e32 v9, vcc, v5, v3, vcc
	v_lshrrev_b64 v[10:11], 1, v[8:9]
	v_add_co_u32_e32 v7, vcc, v10, v2
	v_lshrrev_b64 v[8:9], 6, v[8:9]
	v_addc_co_u32_e32 v10, vcc, v11, v3, vcc
	v_add_co_u32_e32 v8, vcc, v7, v8
	v_addc_co_u32_e32 v9, vcc, v10, v9, vcc
	v_lshlrev_b64 v[10:11], 2, v[8:9]
	v_add_co_u32_e32 v10, vcc, s2, v10
	v_addc_co_u32_e32 v11, vcc, v6, v11, vcc
	global_load_dword v7, v[10:11], off
	v_add_co_u32_e32 v10, vcc, 1, v8
	v_addc_co_u32_e32 v11, vcc, 0, v9, vcc
	s_waitcnt vmcnt(0)
	v_cmp_lt_u32_e32 vcc, v7, v1
	v_cndmask_b32_e32 v5, v9, v5, vcc
	v_cndmask_b32_e32 v4, v8, v4, vcc
	;; [unrolled: 1-line block ×4, first 2 shown]
	v_cmp_ge_u64_e32 vcc, v[2:3], v[4:5]
	s_or_b64 s[14:15], vcc, s[14:15]
	s_andn2_b64 exec, exec, s[14:15]
	s_cbranch_execnz .LBB38_10
; %bb.11:
	s_or_b64 exec, exec, s[14:15]
.LBB38_12:
	s_or_b64 exec, exec, s[4:5]
.LBB38_13:
	s_and_saveexec_b64 s[2:3], s[6:7]
	s_cbranch_execnz .LBB38_15
; %bb.14:
	s_endpgm
.LBB38_15:
	s_lshl_b64 s[2:3], s[8:9], 3
	s_add_u32 s2, s0, s2
	s_addc_u32 s3, s1, s3
	s_lshl_b64 s[0:1], s[10:11], 3
	s_add_u32 s0, s2, s0
	s_addc_u32 s1, s3, s1
	v_lshlrev_b32_e32 v0, 3, v0
	global_store_dwordx2 v0, v[2:3], s[0:1]
	s_endpgm
	.section	.rodata,"a",@progbits
	.p2align	6, 0x0
	.amdhsa_kernel _ZN7rocprim17ROCPRIM_400000_NS6detail17trampoline_kernelINS0_14default_configENS1_27lower_bound_config_selectorIjlEEZNS1_14transform_implILb0ES3_S5_N6thrust23THRUST_200600_302600_NS17counting_iteratorIjNS8_11use_defaultESA_SA_EEPlZNS1_13binary_searchIS3_S5_PjSB_SC_NS1_21lower_bound_search_opENS8_6detail16wrapped_functionI11custom_lessbEEEE10hipError_tPvRmT1_T2_T3_mmT4_T5_P12ihipStream_tbEUlRKjE_EESK_SO_SP_mSQ_ST_bEUlT_E_NS1_11comp_targetILNS1_3genE4ELNS1_11target_archE910ELNS1_3gpuE8ELNS1_3repE0EEENS1_30default_config_static_selectorELNS0_4arch9wavefront6targetE1EEEvSN_
		.amdhsa_group_segment_fixed_size 0
		.amdhsa_private_segment_fixed_size 0
		.amdhsa_kernarg_size 312
		.amdhsa_user_sgpr_count 6
		.amdhsa_user_sgpr_private_segment_buffer 1
		.amdhsa_user_sgpr_dispatch_ptr 0
		.amdhsa_user_sgpr_queue_ptr 0
		.amdhsa_user_sgpr_kernarg_segment_ptr 1
		.amdhsa_user_sgpr_dispatch_id 0
		.amdhsa_user_sgpr_flat_scratch_init 0
		.amdhsa_user_sgpr_kernarg_preload_length 0
		.amdhsa_user_sgpr_kernarg_preload_offset 0
		.amdhsa_user_sgpr_private_segment_size 0
		.amdhsa_uses_dynamic_stack 0
		.amdhsa_system_sgpr_private_segment_wavefront_offset 0
		.amdhsa_system_sgpr_workgroup_id_x 1
		.amdhsa_system_sgpr_workgroup_id_y 0
		.amdhsa_system_sgpr_workgroup_id_z 0
		.amdhsa_system_sgpr_workgroup_info 0
		.amdhsa_system_vgpr_workitem_id 0
		.amdhsa_next_free_vgpr 12
		.amdhsa_next_free_sgpr 17
		.amdhsa_accum_offset 12
		.amdhsa_reserve_vcc 1
		.amdhsa_reserve_flat_scratch 0
		.amdhsa_float_round_mode_32 0
		.amdhsa_float_round_mode_16_64 0
		.amdhsa_float_denorm_mode_32 3
		.amdhsa_float_denorm_mode_16_64 3
		.amdhsa_dx10_clamp 1
		.amdhsa_ieee_mode 1
		.amdhsa_fp16_overflow 0
		.amdhsa_tg_split 0
		.amdhsa_exception_fp_ieee_invalid_op 0
		.amdhsa_exception_fp_denorm_src 0
		.amdhsa_exception_fp_ieee_div_zero 0
		.amdhsa_exception_fp_ieee_overflow 0
		.amdhsa_exception_fp_ieee_underflow 0
		.amdhsa_exception_fp_ieee_inexact 0
		.amdhsa_exception_int_div_zero 0
	.end_amdhsa_kernel
	.section	.text._ZN7rocprim17ROCPRIM_400000_NS6detail17trampoline_kernelINS0_14default_configENS1_27lower_bound_config_selectorIjlEEZNS1_14transform_implILb0ES3_S5_N6thrust23THRUST_200600_302600_NS17counting_iteratorIjNS8_11use_defaultESA_SA_EEPlZNS1_13binary_searchIS3_S5_PjSB_SC_NS1_21lower_bound_search_opENS8_6detail16wrapped_functionI11custom_lessbEEEE10hipError_tPvRmT1_T2_T3_mmT4_T5_P12ihipStream_tbEUlRKjE_EESK_SO_SP_mSQ_ST_bEUlT_E_NS1_11comp_targetILNS1_3genE4ELNS1_11target_archE910ELNS1_3gpuE8ELNS1_3repE0EEENS1_30default_config_static_selectorELNS0_4arch9wavefront6targetE1EEEvSN_,"axG",@progbits,_ZN7rocprim17ROCPRIM_400000_NS6detail17trampoline_kernelINS0_14default_configENS1_27lower_bound_config_selectorIjlEEZNS1_14transform_implILb0ES3_S5_N6thrust23THRUST_200600_302600_NS17counting_iteratorIjNS8_11use_defaultESA_SA_EEPlZNS1_13binary_searchIS3_S5_PjSB_SC_NS1_21lower_bound_search_opENS8_6detail16wrapped_functionI11custom_lessbEEEE10hipError_tPvRmT1_T2_T3_mmT4_T5_P12ihipStream_tbEUlRKjE_EESK_SO_SP_mSQ_ST_bEUlT_E_NS1_11comp_targetILNS1_3genE4ELNS1_11target_archE910ELNS1_3gpuE8ELNS1_3repE0EEENS1_30default_config_static_selectorELNS0_4arch9wavefront6targetE1EEEvSN_,comdat
.Lfunc_end38:
	.size	_ZN7rocprim17ROCPRIM_400000_NS6detail17trampoline_kernelINS0_14default_configENS1_27lower_bound_config_selectorIjlEEZNS1_14transform_implILb0ES3_S5_N6thrust23THRUST_200600_302600_NS17counting_iteratorIjNS8_11use_defaultESA_SA_EEPlZNS1_13binary_searchIS3_S5_PjSB_SC_NS1_21lower_bound_search_opENS8_6detail16wrapped_functionI11custom_lessbEEEE10hipError_tPvRmT1_T2_T3_mmT4_T5_P12ihipStream_tbEUlRKjE_EESK_SO_SP_mSQ_ST_bEUlT_E_NS1_11comp_targetILNS1_3genE4ELNS1_11target_archE910ELNS1_3gpuE8ELNS1_3repE0EEENS1_30default_config_static_selectorELNS0_4arch9wavefront6targetE1EEEvSN_, .Lfunc_end38-_ZN7rocprim17ROCPRIM_400000_NS6detail17trampoline_kernelINS0_14default_configENS1_27lower_bound_config_selectorIjlEEZNS1_14transform_implILb0ES3_S5_N6thrust23THRUST_200600_302600_NS17counting_iteratorIjNS8_11use_defaultESA_SA_EEPlZNS1_13binary_searchIS3_S5_PjSB_SC_NS1_21lower_bound_search_opENS8_6detail16wrapped_functionI11custom_lessbEEEE10hipError_tPvRmT1_T2_T3_mmT4_T5_P12ihipStream_tbEUlRKjE_EESK_SO_SP_mSQ_ST_bEUlT_E_NS1_11comp_targetILNS1_3genE4ELNS1_11target_archE910ELNS1_3gpuE8ELNS1_3repE0EEENS1_30default_config_static_selectorELNS0_4arch9wavefront6targetE1EEEvSN_
                                        ; -- End function
	.section	.AMDGPU.csdata,"",@progbits
; Kernel info:
; codeLenInByte = 508
; NumSgprs: 21
; NumVgprs: 12
; NumAgprs: 0
; TotalNumVgprs: 12
; ScratchSize: 0
; MemoryBound: 0
; FloatMode: 240
; IeeeMode: 1
; LDSByteSize: 0 bytes/workgroup (compile time only)
; SGPRBlocks: 2
; VGPRBlocks: 1
; NumSGPRsForWavesPerEU: 21
; NumVGPRsForWavesPerEU: 12
; AccumOffset: 12
; Occupancy: 8
; WaveLimiterHint : 0
; COMPUTE_PGM_RSRC2:SCRATCH_EN: 0
; COMPUTE_PGM_RSRC2:USER_SGPR: 6
; COMPUTE_PGM_RSRC2:TRAP_HANDLER: 0
; COMPUTE_PGM_RSRC2:TGID_X_EN: 1
; COMPUTE_PGM_RSRC2:TGID_Y_EN: 0
; COMPUTE_PGM_RSRC2:TGID_Z_EN: 0
; COMPUTE_PGM_RSRC2:TIDIG_COMP_CNT: 0
; COMPUTE_PGM_RSRC3_GFX90A:ACCUM_OFFSET: 2
; COMPUTE_PGM_RSRC3_GFX90A:TG_SPLIT: 0
	.section	.text._ZN7rocprim17ROCPRIM_400000_NS6detail17trampoline_kernelINS0_14default_configENS1_27lower_bound_config_selectorIjlEEZNS1_14transform_implILb0ES3_S5_N6thrust23THRUST_200600_302600_NS17counting_iteratorIjNS8_11use_defaultESA_SA_EEPlZNS1_13binary_searchIS3_S5_PjSB_SC_NS1_21lower_bound_search_opENS8_6detail16wrapped_functionI11custom_lessbEEEE10hipError_tPvRmT1_T2_T3_mmT4_T5_P12ihipStream_tbEUlRKjE_EESK_SO_SP_mSQ_ST_bEUlT_E_NS1_11comp_targetILNS1_3genE3ELNS1_11target_archE908ELNS1_3gpuE7ELNS1_3repE0EEENS1_30default_config_static_selectorELNS0_4arch9wavefront6targetE1EEEvSN_,"axG",@progbits,_ZN7rocprim17ROCPRIM_400000_NS6detail17trampoline_kernelINS0_14default_configENS1_27lower_bound_config_selectorIjlEEZNS1_14transform_implILb0ES3_S5_N6thrust23THRUST_200600_302600_NS17counting_iteratorIjNS8_11use_defaultESA_SA_EEPlZNS1_13binary_searchIS3_S5_PjSB_SC_NS1_21lower_bound_search_opENS8_6detail16wrapped_functionI11custom_lessbEEEE10hipError_tPvRmT1_T2_T3_mmT4_T5_P12ihipStream_tbEUlRKjE_EESK_SO_SP_mSQ_ST_bEUlT_E_NS1_11comp_targetILNS1_3genE3ELNS1_11target_archE908ELNS1_3gpuE7ELNS1_3repE0EEENS1_30default_config_static_selectorELNS0_4arch9wavefront6targetE1EEEvSN_,comdat
	.protected	_ZN7rocprim17ROCPRIM_400000_NS6detail17trampoline_kernelINS0_14default_configENS1_27lower_bound_config_selectorIjlEEZNS1_14transform_implILb0ES3_S5_N6thrust23THRUST_200600_302600_NS17counting_iteratorIjNS8_11use_defaultESA_SA_EEPlZNS1_13binary_searchIS3_S5_PjSB_SC_NS1_21lower_bound_search_opENS8_6detail16wrapped_functionI11custom_lessbEEEE10hipError_tPvRmT1_T2_T3_mmT4_T5_P12ihipStream_tbEUlRKjE_EESK_SO_SP_mSQ_ST_bEUlT_E_NS1_11comp_targetILNS1_3genE3ELNS1_11target_archE908ELNS1_3gpuE7ELNS1_3repE0EEENS1_30default_config_static_selectorELNS0_4arch9wavefront6targetE1EEEvSN_ ; -- Begin function _ZN7rocprim17ROCPRIM_400000_NS6detail17trampoline_kernelINS0_14default_configENS1_27lower_bound_config_selectorIjlEEZNS1_14transform_implILb0ES3_S5_N6thrust23THRUST_200600_302600_NS17counting_iteratorIjNS8_11use_defaultESA_SA_EEPlZNS1_13binary_searchIS3_S5_PjSB_SC_NS1_21lower_bound_search_opENS8_6detail16wrapped_functionI11custom_lessbEEEE10hipError_tPvRmT1_T2_T3_mmT4_T5_P12ihipStream_tbEUlRKjE_EESK_SO_SP_mSQ_ST_bEUlT_E_NS1_11comp_targetILNS1_3genE3ELNS1_11target_archE908ELNS1_3gpuE7ELNS1_3repE0EEENS1_30default_config_static_selectorELNS0_4arch9wavefront6targetE1EEEvSN_
	.globl	_ZN7rocprim17ROCPRIM_400000_NS6detail17trampoline_kernelINS0_14default_configENS1_27lower_bound_config_selectorIjlEEZNS1_14transform_implILb0ES3_S5_N6thrust23THRUST_200600_302600_NS17counting_iteratorIjNS8_11use_defaultESA_SA_EEPlZNS1_13binary_searchIS3_S5_PjSB_SC_NS1_21lower_bound_search_opENS8_6detail16wrapped_functionI11custom_lessbEEEE10hipError_tPvRmT1_T2_T3_mmT4_T5_P12ihipStream_tbEUlRKjE_EESK_SO_SP_mSQ_ST_bEUlT_E_NS1_11comp_targetILNS1_3genE3ELNS1_11target_archE908ELNS1_3gpuE7ELNS1_3repE0EEENS1_30default_config_static_selectorELNS0_4arch9wavefront6targetE1EEEvSN_
	.p2align	8
	.type	_ZN7rocprim17ROCPRIM_400000_NS6detail17trampoline_kernelINS0_14default_configENS1_27lower_bound_config_selectorIjlEEZNS1_14transform_implILb0ES3_S5_N6thrust23THRUST_200600_302600_NS17counting_iteratorIjNS8_11use_defaultESA_SA_EEPlZNS1_13binary_searchIS3_S5_PjSB_SC_NS1_21lower_bound_search_opENS8_6detail16wrapped_functionI11custom_lessbEEEE10hipError_tPvRmT1_T2_T3_mmT4_T5_P12ihipStream_tbEUlRKjE_EESK_SO_SP_mSQ_ST_bEUlT_E_NS1_11comp_targetILNS1_3genE3ELNS1_11target_archE908ELNS1_3gpuE7ELNS1_3repE0EEENS1_30default_config_static_selectorELNS0_4arch9wavefront6targetE1EEEvSN_,@function
_ZN7rocprim17ROCPRIM_400000_NS6detail17trampoline_kernelINS0_14default_configENS1_27lower_bound_config_selectorIjlEEZNS1_14transform_implILb0ES3_S5_N6thrust23THRUST_200600_302600_NS17counting_iteratorIjNS8_11use_defaultESA_SA_EEPlZNS1_13binary_searchIS3_S5_PjSB_SC_NS1_21lower_bound_search_opENS8_6detail16wrapped_functionI11custom_lessbEEEE10hipError_tPvRmT1_T2_T3_mmT4_T5_P12ihipStream_tbEUlRKjE_EESK_SO_SP_mSQ_ST_bEUlT_E_NS1_11comp_targetILNS1_3genE3ELNS1_11target_archE908ELNS1_3gpuE7ELNS1_3repE0EEENS1_30default_config_static_selectorELNS0_4arch9wavefront6targetE1EEEvSN_: ; @_ZN7rocprim17ROCPRIM_400000_NS6detail17trampoline_kernelINS0_14default_configENS1_27lower_bound_config_selectorIjlEEZNS1_14transform_implILb0ES3_S5_N6thrust23THRUST_200600_302600_NS17counting_iteratorIjNS8_11use_defaultESA_SA_EEPlZNS1_13binary_searchIS3_S5_PjSB_SC_NS1_21lower_bound_search_opENS8_6detail16wrapped_functionI11custom_lessbEEEE10hipError_tPvRmT1_T2_T3_mmT4_T5_P12ihipStream_tbEUlRKjE_EESK_SO_SP_mSQ_ST_bEUlT_E_NS1_11comp_targetILNS1_3genE3ELNS1_11target_archE908ELNS1_3gpuE7ELNS1_3repE0EEENS1_30default_config_static_selectorELNS0_4arch9wavefront6targetE1EEEvSN_
; %bb.0:
	.section	.rodata,"a",@progbits
	.p2align	6, 0x0
	.amdhsa_kernel _ZN7rocprim17ROCPRIM_400000_NS6detail17trampoline_kernelINS0_14default_configENS1_27lower_bound_config_selectorIjlEEZNS1_14transform_implILb0ES3_S5_N6thrust23THRUST_200600_302600_NS17counting_iteratorIjNS8_11use_defaultESA_SA_EEPlZNS1_13binary_searchIS3_S5_PjSB_SC_NS1_21lower_bound_search_opENS8_6detail16wrapped_functionI11custom_lessbEEEE10hipError_tPvRmT1_T2_T3_mmT4_T5_P12ihipStream_tbEUlRKjE_EESK_SO_SP_mSQ_ST_bEUlT_E_NS1_11comp_targetILNS1_3genE3ELNS1_11target_archE908ELNS1_3gpuE7ELNS1_3repE0EEENS1_30default_config_static_selectorELNS0_4arch9wavefront6targetE1EEEvSN_
		.amdhsa_group_segment_fixed_size 0
		.amdhsa_private_segment_fixed_size 0
		.amdhsa_kernarg_size 56
		.amdhsa_user_sgpr_count 6
		.amdhsa_user_sgpr_private_segment_buffer 1
		.amdhsa_user_sgpr_dispatch_ptr 0
		.amdhsa_user_sgpr_queue_ptr 0
		.amdhsa_user_sgpr_kernarg_segment_ptr 1
		.amdhsa_user_sgpr_dispatch_id 0
		.amdhsa_user_sgpr_flat_scratch_init 0
		.amdhsa_user_sgpr_kernarg_preload_length 0
		.amdhsa_user_sgpr_kernarg_preload_offset 0
		.amdhsa_user_sgpr_private_segment_size 0
		.amdhsa_uses_dynamic_stack 0
		.amdhsa_system_sgpr_private_segment_wavefront_offset 0
		.amdhsa_system_sgpr_workgroup_id_x 1
		.amdhsa_system_sgpr_workgroup_id_y 0
		.amdhsa_system_sgpr_workgroup_id_z 0
		.amdhsa_system_sgpr_workgroup_info 0
		.amdhsa_system_vgpr_workitem_id 0
		.amdhsa_next_free_vgpr 1
		.amdhsa_next_free_sgpr 0
		.amdhsa_accum_offset 4
		.amdhsa_reserve_vcc 0
		.amdhsa_reserve_flat_scratch 0
		.amdhsa_float_round_mode_32 0
		.amdhsa_float_round_mode_16_64 0
		.amdhsa_float_denorm_mode_32 3
		.amdhsa_float_denorm_mode_16_64 3
		.amdhsa_dx10_clamp 1
		.amdhsa_ieee_mode 1
		.amdhsa_fp16_overflow 0
		.amdhsa_tg_split 0
		.amdhsa_exception_fp_ieee_invalid_op 0
		.amdhsa_exception_fp_denorm_src 0
		.amdhsa_exception_fp_ieee_div_zero 0
		.amdhsa_exception_fp_ieee_overflow 0
		.amdhsa_exception_fp_ieee_underflow 0
		.amdhsa_exception_fp_ieee_inexact 0
		.amdhsa_exception_int_div_zero 0
	.end_amdhsa_kernel
	.section	.text._ZN7rocprim17ROCPRIM_400000_NS6detail17trampoline_kernelINS0_14default_configENS1_27lower_bound_config_selectorIjlEEZNS1_14transform_implILb0ES3_S5_N6thrust23THRUST_200600_302600_NS17counting_iteratorIjNS8_11use_defaultESA_SA_EEPlZNS1_13binary_searchIS3_S5_PjSB_SC_NS1_21lower_bound_search_opENS8_6detail16wrapped_functionI11custom_lessbEEEE10hipError_tPvRmT1_T2_T3_mmT4_T5_P12ihipStream_tbEUlRKjE_EESK_SO_SP_mSQ_ST_bEUlT_E_NS1_11comp_targetILNS1_3genE3ELNS1_11target_archE908ELNS1_3gpuE7ELNS1_3repE0EEENS1_30default_config_static_selectorELNS0_4arch9wavefront6targetE1EEEvSN_,"axG",@progbits,_ZN7rocprim17ROCPRIM_400000_NS6detail17trampoline_kernelINS0_14default_configENS1_27lower_bound_config_selectorIjlEEZNS1_14transform_implILb0ES3_S5_N6thrust23THRUST_200600_302600_NS17counting_iteratorIjNS8_11use_defaultESA_SA_EEPlZNS1_13binary_searchIS3_S5_PjSB_SC_NS1_21lower_bound_search_opENS8_6detail16wrapped_functionI11custom_lessbEEEE10hipError_tPvRmT1_T2_T3_mmT4_T5_P12ihipStream_tbEUlRKjE_EESK_SO_SP_mSQ_ST_bEUlT_E_NS1_11comp_targetILNS1_3genE3ELNS1_11target_archE908ELNS1_3gpuE7ELNS1_3repE0EEENS1_30default_config_static_selectorELNS0_4arch9wavefront6targetE1EEEvSN_,comdat
.Lfunc_end39:
	.size	_ZN7rocprim17ROCPRIM_400000_NS6detail17trampoline_kernelINS0_14default_configENS1_27lower_bound_config_selectorIjlEEZNS1_14transform_implILb0ES3_S5_N6thrust23THRUST_200600_302600_NS17counting_iteratorIjNS8_11use_defaultESA_SA_EEPlZNS1_13binary_searchIS3_S5_PjSB_SC_NS1_21lower_bound_search_opENS8_6detail16wrapped_functionI11custom_lessbEEEE10hipError_tPvRmT1_T2_T3_mmT4_T5_P12ihipStream_tbEUlRKjE_EESK_SO_SP_mSQ_ST_bEUlT_E_NS1_11comp_targetILNS1_3genE3ELNS1_11target_archE908ELNS1_3gpuE7ELNS1_3repE0EEENS1_30default_config_static_selectorELNS0_4arch9wavefront6targetE1EEEvSN_, .Lfunc_end39-_ZN7rocprim17ROCPRIM_400000_NS6detail17trampoline_kernelINS0_14default_configENS1_27lower_bound_config_selectorIjlEEZNS1_14transform_implILb0ES3_S5_N6thrust23THRUST_200600_302600_NS17counting_iteratorIjNS8_11use_defaultESA_SA_EEPlZNS1_13binary_searchIS3_S5_PjSB_SC_NS1_21lower_bound_search_opENS8_6detail16wrapped_functionI11custom_lessbEEEE10hipError_tPvRmT1_T2_T3_mmT4_T5_P12ihipStream_tbEUlRKjE_EESK_SO_SP_mSQ_ST_bEUlT_E_NS1_11comp_targetILNS1_3genE3ELNS1_11target_archE908ELNS1_3gpuE7ELNS1_3repE0EEENS1_30default_config_static_selectorELNS0_4arch9wavefront6targetE1EEEvSN_
                                        ; -- End function
	.section	.AMDGPU.csdata,"",@progbits
; Kernel info:
; codeLenInByte = 0
; NumSgprs: 4
; NumVgprs: 0
; NumAgprs: 0
; TotalNumVgprs: 0
; ScratchSize: 0
; MemoryBound: 0
; FloatMode: 240
; IeeeMode: 1
; LDSByteSize: 0 bytes/workgroup (compile time only)
; SGPRBlocks: 0
; VGPRBlocks: 0
; NumSGPRsForWavesPerEU: 4
; NumVGPRsForWavesPerEU: 1
; AccumOffset: 4
; Occupancy: 8
; WaveLimiterHint : 0
; COMPUTE_PGM_RSRC2:SCRATCH_EN: 0
; COMPUTE_PGM_RSRC2:USER_SGPR: 6
; COMPUTE_PGM_RSRC2:TRAP_HANDLER: 0
; COMPUTE_PGM_RSRC2:TGID_X_EN: 1
; COMPUTE_PGM_RSRC2:TGID_Y_EN: 0
; COMPUTE_PGM_RSRC2:TGID_Z_EN: 0
; COMPUTE_PGM_RSRC2:TIDIG_COMP_CNT: 0
; COMPUTE_PGM_RSRC3_GFX90A:ACCUM_OFFSET: 0
; COMPUTE_PGM_RSRC3_GFX90A:TG_SPLIT: 0
	.section	.text._ZN7rocprim17ROCPRIM_400000_NS6detail17trampoline_kernelINS0_14default_configENS1_27lower_bound_config_selectorIjlEEZNS1_14transform_implILb0ES3_S5_N6thrust23THRUST_200600_302600_NS17counting_iteratorIjNS8_11use_defaultESA_SA_EEPlZNS1_13binary_searchIS3_S5_PjSB_SC_NS1_21lower_bound_search_opENS8_6detail16wrapped_functionI11custom_lessbEEEE10hipError_tPvRmT1_T2_T3_mmT4_T5_P12ihipStream_tbEUlRKjE_EESK_SO_SP_mSQ_ST_bEUlT_E_NS1_11comp_targetILNS1_3genE2ELNS1_11target_archE906ELNS1_3gpuE6ELNS1_3repE0EEENS1_30default_config_static_selectorELNS0_4arch9wavefront6targetE1EEEvSN_,"axG",@progbits,_ZN7rocprim17ROCPRIM_400000_NS6detail17trampoline_kernelINS0_14default_configENS1_27lower_bound_config_selectorIjlEEZNS1_14transform_implILb0ES3_S5_N6thrust23THRUST_200600_302600_NS17counting_iteratorIjNS8_11use_defaultESA_SA_EEPlZNS1_13binary_searchIS3_S5_PjSB_SC_NS1_21lower_bound_search_opENS8_6detail16wrapped_functionI11custom_lessbEEEE10hipError_tPvRmT1_T2_T3_mmT4_T5_P12ihipStream_tbEUlRKjE_EESK_SO_SP_mSQ_ST_bEUlT_E_NS1_11comp_targetILNS1_3genE2ELNS1_11target_archE906ELNS1_3gpuE6ELNS1_3repE0EEENS1_30default_config_static_selectorELNS0_4arch9wavefront6targetE1EEEvSN_,comdat
	.protected	_ZN7rocprim17ROCPRIM_400000_NS6detail17trampoline_kernelINS0_14default_configENS1_27lower_bound_config_selectorIjlEEZNS1_14transform_implILb0ES3_S5_N6thrust23THRUST_200600_302600_NS17counting_iteratorIjNS8_11use_defaultESA_SA_EEPlZNS1_13binary_searchIS3_S5_PjSB_SC_NS1_21lower_bound_search_opENS8_6detail16wrapped_functionI11custom_lessbEEEE10hipError_tPvRmT1_T2_T3_mmT4_T5_P12ihipStream_tbEUlRKjE_EESK_SO_SP_mSQ_ST_bEUlT_E_NS1_11comp_targetILNS1_3genE2ELNS1_11target_archE906ELNS1_3gpuE6ELNS1_3repE0EEENS1_30default_config_static_selectorELNS0_4arch9wavefront6targetE1EEEvSN_ ; -- Begin function _ZN7rocprim17ROCPRIM_400000_NS6detail17trampoline_kernelINS0_14default_configENS1_27lower_bound_config_selectorIjlEEZNS1_14transform_implILb0ES3_S5_N6thrust23THRUST_200600_302600_NS17counting_iteratorIjNS8_11use_defaultESA_SA_EEPlZNS1_13binary_searchIS3_S5_PjSB_SC_NS1_21lower_bound_search_opENS8_6detail16wrapped_functionI11custom_lessbEEEE10hipError_tPvRmT1_T2_T3_mmT4_T5_P12ihipStream_tbEUlRKjE_EESK_SO_SP_mSQ_ST_bEUlT_E_NS1_11comp_targetILNS1_3genE2ELNS1_11target_archE906ELNS1_3gpuE6ELNS1_3repE0EEENS1_30default_config_static_selectorELNS0_4arch9wavefront6targetE1EEEvSN_
	.globl	_ZN7rocprim17ROCPRIM_400000_NS6detail17trampoline_kernelINS0_14default_configENS1_27lower_bound_config_selectorIjlEEZNS1_14transform_implILb0ES3_S5_N6thrust23THRUST_200600_302600_NS17counting_iteratorIjNS8_11use_defaultESA_SA_EEPlZNS1_13binary_searchIS3_S5_PjSB_SC_NS1_21lower_bound_search_opENS8_6detail16wrapped_functionI11custom_lessbEEEE10hipError_tPvRmT1_T2_T3_mmT4_T5_P12ihipStream_tbEUlRKjE_EESK_SO_SP_mSQ_ST_bEUlT_E_NS1_11comp_targetILNS1_3genE2ELNS1_11target_archE906ELNS1_3gpuE6ELNS1_3repE0EEENS1_30default_config_static_selectorELNS0_4arch9wavefront6targetE1EEEvSN_
	.p2align	8
	.type	_ZN7rocprim17ROCPRIM_400000_NS6detail17trampoline_kernelINS0_14default_configENS1_27lower_bound_config_selectorIjlEEZNS1_14transform_implILb0ES3_S5_N6thrust23THRUST_200600_302600_NS17counting_iteratorIjNS8_11use_defaultESA_SA_EEPlZNS1_13binary_searchIS3_S5_PjSB_SC_NS1_21lower_bound_search_opENS8_6detail16wrapped_functionI11custom_lessbEEEE10hipError_tPvRmT1_T2_T3_mmT4_T5_P12ihipStream_tbEUlRKjE_EESK_SO_SP_mSQ_ST_bEUlT_E_NS1_11comp_targetILNS1_3genE2ELNS1_11target_archE906ELNS1_3gpuE6ELNS1_3repE0EEENS1_30default_config_static_selectorELNS0_4arch9wavefront6targetE1EEEvSN_,@function
_ZN7rocprim17ROCPRIM_400000_NS6detail17trampoline_kernelINS0_14default_configENS1_27lower_bound_config_selectorIjlEEZNS1_14transform_implILb0ES3_S5_N6thrust23THRUST_200600_302600_NS17counting_iteratorIjNS8_11use_defaultESA_SA_EEPlZNS1_13binary_searchIS3_S5_PjSB_SC_NS1_21lower_bound_search_opENS8_6detail16wrapped_functionI11custom_lessbEEEE10hipError_tPvRmT1_T2_T3_mmT4_T5_P12ihipStream_tbEUlRKjE_EESK_SO_SP_mSQ_ST_bEUlT_E_NS1_11comp_targetILNS1_3genE2ELNS1_11target_archE906ELNS1_3gpuE6ELNS1_3repE0EEENS1_30default_config_static_selectorELNS0_4arch9wavefront6targetE1EEEvSN_: ; @_ZN7rocprim17ROCPRIM_400000_NS6detail17trampoline_kernelINS0_14default_configENS1_27lower_bound_config_selectorIjlEEZNS1_14transform_implILb0ES3_S5_N6thrust23THRUST_200600_302600_NS17counting_iteratorIjNS8_11use_defaultESA_SA_EEPlZNS1_13binary_searchIS3_S5_PjSB_SC_NS1_21lower_bound_search_opENS8_6detail16wrapped_functionI11custom_lessbEEEE10hipError_tPvRmT1_T2_T3_mmT4_T5_P12ihipStream_tbEUlRKjE_EESK_SO_SP_mSQ_ST_bEUlT_E_NS1_11comp_targetILNS1_3genE2ELNS1_11target_archE906ELNS1_3gpuE6ELNS1_3repE0EEENS1_30default_config_static_selectorELNS0_4arch9wavefront6targetE1EEEvSN_
; %bb.0:
	.section	.rodata,"a",@progbits
	.p2align	6, 0x0
	.amdhsa_kernel _ZN7rocprim17ROCPRIM_400000_NS6detail17trampoline_kernelINS0_14default_configENS1_27lower_bound_config_selectorIjlEEZNS1_14transform_implILb0ES3_S5_N6thrust23THRUST_200600_302600_NS17counting_iteratorIjNS8_11use_defaultESA_SA_EEPlZNS1_13binary_searchIS3_S5_PjSB_SC_NS1_21lower_bound_search_opENS8_6detail16wrapped_functionI11custom_lessbEEEE10hipError_tPvRmT1_T2_T3_mmT4_T5_P12ihipStream_tbEUlRKjE_EESK_SO_SP_mSQ_ST_bEUlT_E_NS1_11comp_targetILNS1_3genE2ELNS1_11target_archE906ELNS1_3gpuE6ELNS1_3repE0EEENS1_30default_config_static_selectorELNS0_4arch9wavefront6targetE1EEEvSN_
		.amdhsa_group_segment_fixed_size 0
		.amdhsa_private_segment_fixed_size 0
		.amdhsa_kernarg_size 56
		.amdhsa_user_sgpr_count 6
		.amdhsa_user_sgpr_private_segment_buffer 1
		.amdhsa_user_sgpr_dispatch_ptr 0
		.amdhsa_user_sgpr_queue_ptr 0
		.amdhsa_user_sgpr_kernarg_segment_ptr 1
		.amdhsa_user_sgpr_dispatch_id 0
		.amdhsa_user_sgpr_flat_scratch_init 0
		.amdhsa_user_sgpr_kernarg_preload_length 0
		.amdhsa_user_sgpr_kernarg_preload_offset 0
		.amdhsa_user_sgpr_private_segment_size 0
		.amdhsa_uses_dynamic_stack 0
		.amdhsa_system_sgpr_private_segment_wavefront_offset 0
		.amdhsa_system_sgpr_workgroup_id_x 1
		.amdhsa_system_sgpr_workgroup_id_y 0
		.amdhsa_system_sgpr_workgroup_id_z 0
		.amdhsa_system_sgpr_workgroup_info 0
		.amdhsa_system_vgpr_workitem_id 0
		.amdhsa_next_free_vgpr 1
		.amdhsa_next_free_sgpr 0
		.amdhsa_accum_offset 4
		.amdhsa_reserve_vcc 0
		.amdhsa_reserve_flat_scratch 0
		.amdhsa_float_round_mode_32 0
		.amdhsa_float_round_mode_16_64 0
		.amdhsa_float_denorm_mode_32 3
		.amdhsa_float_denorm_mode_16_64 3
		.amdhsa_dx10_clamp 1
		.amdhsa_ieee_mode 1
		.amdhsa_fp16_overflow 0
		.amdhsa_tg_split 0
		.amdhsa_exception_fp_ieee_invalid_op 0
		.amdhsa_exception_fp_denorm_src 0
		.amdhsa_exception_fp_ieee_div_zero 0
		.amdhsa_exception_fp_ieee_overflow 0
		.amdhsa_exception_fp_ieee_underflow 0
		.amdhsa_exception_fp_ieee_inexact 0
		.amdhsa_exception_int_div_zero 0
	.end_amdhsa_kernel
	.section	.text._ZN7rocprim17ROCPRIM_400000_NS6detail17trampoline_kernelINS0_14default_configENS1_27lower_bound_config_selectorIjlEEZNS1_14transform_implILb0ES3_S5_N6thrust23THRUST_200600_302600_NS17counting_iteratorIjNS8_11use_defaultESA_SA_EEPlZNS1_13binary_searchIS3_S5_PjSB_SC_NS1_21lower_bound_search_opENS8_6detail16wrapped_functionI11custom_lessbEEEE10hipError_tPvRmT1_T2_T3_mmT4_T5_P12ihipStream_tbEUlRKjE_EESK_SO_SP_mSQ_ST_bEUlT_E_NS1_11comp_targetILNS1_3genE2ELNS1_11target_archE906ELNS1_3gpuE6ELNS1_3repE0EEENS1_30default_config_static_selectorELNS0_4arch9wavefront6targetE1EEEvSN_,"axG",@progbits,_ZN7rocprim17ROCPRIM_400000_NS6detail17trampoline_kernelINS0_14default_configENS1_27lower_bound_config_selectorIjlEEZNS1_14transform_implILb0ES3_S5_N6thrust23THRUST_200600_302600_NS17counting_iteratorIjNS8_11use_defaultESA_SA_EEPlZNS1_13binary_searchIS3_S5_PjSB_SC_NS1_21lower_bound_search_opENS8_6detail16wrapped_functionI11custom_lessbEEEE10hipError_tPvRmT1_T2_T3_mmT4_T5_P12ihipStream_tbEUlRKjE_EESK_SO_SP_mSQ_ST_bEUlT_E_NS1_11comp_targetILNS1_3genE2ELNS1_11target_archE906ELNS1_3gpuE6ELNS1_3repE0EEENS1_30default_config_static_selectorELNS0_4arch9wavefront6targetE1EEEvSN_,comdat
.Lfunc_end40:
	.size	_ZN7rocprim17ROCPRIM_400000_NS6detail17trampoline_kernelINS0_14default_configENS1_27lower_bound_config_selectorIjlEEZNS1_14transform_implILb0ES3_S5_N6thrust23THRUST_200600_302600_NS17counting_iteratorIjNS8_11use_defaultESA_SA_EEPlZNS1_13binary_searchIS3_S5_PjSB_SC_NS1_21lower_bound_search_opENS8_6detail16wrapped_functionI11custom_lessbEEEE10hipError_tPvRmT1_T2_T3_mmT4_T5_P12ihipStream_tbEUlRKjE_EESK_SO_SP_mSQ_ST_bEUlT_E_NS1_11comp_targetILNS1_3genE2ELNS1_11target_archE906ELNS1_3gpuE6ELNS1_3repE0EEENS1_30default_config_static_selectorELNS0_4arch9wavefront6targetE1EEEvSN_, .Lfunc_end40-_ZN7rocprim17ROCPRIM_400000_NS6detail17trampoline_kernelINS0_14default_configENS1_27lower_bound_config_selectorIjlEEZNS1_14transform_implILb0ES3_S5_N6thrust23THRUST_200600_302600_NS17counting_iteratorIjNS8_11use_defaultESA_SA_EEPlZNS1_13binary_searchIS3_S5_PjSB_SC_NS1_21lower_bound_search_opENS8_6detail16wrapped_functionI11custom_lessbEEEE10hipError_tPvRmT1_T2_T3_mmT4_T5_P12ihipStream_tbEUlRKjE_EESK_SO_SP_mSQ_ST_bEUlT_E_NS1_11comp_targetILNS1_3genE2ELNS1_11target_archE906ELNS1_3gpuE6ELNS1_3repE0EEENS1_30default_config_static_selectorELNS0_4arch9wavefront6targetE1EEEvSN_
                                        ; -- End function
	.section	.AMDGPU.csdata,"",@progbits
; Kernel info:
; codeLenInByte = 0
; NumSgprs: 4
; NumVgprs: 0
; NumAgprs: 0
; TotalNumVgprs: 0
; ScratchSize: 0
; MemoryBound: 0
; FloatMode: 240
; IeeeMode: 1
; LDSByteSize: 0 bytes/workgroup (compile time only)
; SGPRBlocks: 0
; VGPRBlocks: 0
; NumSGPRsForWavesPerEU: 4
; NumVGPRsForWavesPerEU: 1
; AccumOffset: 4
; Occupancy: 8
; WaveLimiterHint : 0
; COMPUTE_PGM_RSRC2:SCRATCH_EN: 0
; COMPUTE_PGM_RSRC2:USER_SGPR: 6
; COMPUTE_PGM_RSRC2:TRAP_HANDLER: 0
; COMPUTE_PGM_RSRC2:TGID_X_EN: 1
; COMPUTE_PGM_RSRC2:TGID_Y_EN: 0
; COMPUTE_PGM_RSRC2:TGID_Z_EN: 0
; COMPUTE_PGM_RSRC2:TIDIG_COMP_CNT: 0
; COMPUTE_PGM_RSRC3_GFX90A:ACCUM_OFFSET: 0
; COMPUTE_PGM_RSRC3_GFX90A:TG_SPLIT: 0
	.section	.text._ZN7rocprim17ROCPRIM_400000_NS6detail17trampoline_kernelINS0_14default_configENS1_27lower_bound_config_selectorIjlEEZNS1_14transform_implILb0ES3_S5_N6thrust23THRUST_200600_302600_NS17counting_iteratorIjNS8_11use_defaultESA_SA_EEPlZNS1_13binary_searchIS3_S5_PjSB_SC_NS1_21lower_bound_search_opENS8_6detail16wrapped_functionI11custom_lessbEEEE10hipError_tPvRmT1_T2_T3_mmT4_T5_P12ihipStream_tbEUlRKjE_EESK_SO_SP_mSQ_ST_bEUlT_E_NS1_11comp_targetILNS1_3genE10ELNS1_11target_archE1201ELNS1_3gpuE5ELNS1_3repE0EEENS1_30default_config_static_selectorELNS0_4arch9wavefront6targetE1EEEvSN_,"axG",@progbits,_ZN7rocprim17ROCPRIM_400000_NS6detail17trampoline_kernelINS0_14default_configENS1_27lower_bound_config_selectorIjlEEZNS1_14transform_implILb0ES3_S5_N6thrust23THRUST_200600_302600_NS17counting_iteratorIjNS8_11use_defaultESA_SA_EEPlZNS1_13binary_searchIS3_S5_PjSB_SC_NS1_21lower_bound_search_opENS8_6detail16wrapped_functionI11custom_lessbEEEE10hipError_tPvRmT1_T2_T3_mmT4_T5_P12ihipStream_tbEUlRKjE_EESK_SO_SP_mSQ_ST_bEUlT_E_NS1_11comp_targetILNS1_3genE10ELNS1_11target_archE1201ELNS1_3gpuE5ELNS1_3repE0EEENS1_30default_config_static_selectorELNS0_4arch9wavefront6targetE1EEEvSN_,comdat
	.protected	_ZN7rocprim17ROCPRIM_400000_NS6detail17trampoline_kernelINS0_14default_configENS1_27lower_bound_config_selectorIjlEEZNS1_14transform_implILb0ES3_S5_N6thrust23THRUST_200600_302600_NS17counting_iteratorIjNS8_11use_defaultESA_SA_EEPlZNS1_13binary_searchIS3_S5_PjSB_SC_NS1_21lower_bound_search_opENS8_6detail16wrapped_functionI11custom_lessbEEEE10hipError_tPvRmT1_T2_T3_mmT4_T5_P12ihipStream_tbEUlRKjE_EESK_SO_SP_mSQ_ST_bEUlT_E_NS1_11comp_targetILNS1_3genE10ELNS1_11target_archE1201ELNS1_3gpuE5ELNS1_3repE0EEENS1_30default_config_static_selectorELNS0_4arch9wavefront6targetE1EEEvSN_ ; -- Begin function _ZN7rocprim17ROCPRIM_400000_NS6detail17trampoline_kernelINS0_14default_configENS1_27lower_bound_config_selectorIjlEEZNS1_14transform_implILb0ES3_S5_N6thrust23THRUST_200600_302600_NS17counting_iteratorIjNS8_11use_defaultESA_SA_EEPlZNS1_13binary_searchIS3_S5_PjSB_SC_NS1_21lower_bound_search_opENS8_6detail16wrapped_functionI11custom_lessbEEEE10hipError_tPvRmT1_T2_T3_mmT4_T5_P12ihipStream_tbEUlRKjE_EESK_SO_SP_mSQ_ST_bEUlT_E_NS1_11comp_targetILNS1_3genE10ELNS1_11target_archE1201ELNS1_3gpuE5ELNS1_3repE0EEENS1_30default_config_static_selectorELNS0_4arch9wavefront6targetE1EEEvSN_
	.globl	_ZN7rocprim17ROCPRIM_400000_NS6detail17trampoline_kernelINS0_14default_configENS1_27lower_bound_config_selectorIjlEEZNS1_14transform_implILb0ES3_S5_N6thrust23THRUST_200600_302600_NS17counting_iteratorIjNS8_11use_defaultESA_SA_EEPlZNS1_13binary_searchIS3_S5_PjSB_SC_NS1_21lower_bound_search_opENS8_6detail16wrapped_functionI11custom_lessbEEEE10hipError_tPvRmT1_T2_T3_mmT4_T5_P12ihipStream_tbEUlRKjE_EESK_SO_SP_mSQ_ST_bEUlT_E_NS1_11comp_targetILNS1_3genE10ELNS1_11target_archE1201ELNS1_3gpuE5ELNS1_3repE0EEENS1_30default_config_static_selectorELNS0_4arch9wavefront6targetE1EEEvSN_
	.p2align	8
	.type	_ZN7rocprim17ROCPRIM_400000_NS6detail17trampoline_kernelINS0_14default_configENS1_27lower_bound_config_selectorIjlEEZNS1_14transform_implILb0ES3_S5_N6thrust23THRUST_200600_302600_NS17counting_iteratorIjNS8_11use_defaultESA_SA_EEPlZNS1_13binary_searchIS3_S5_PjSB_SC_NS1_21lower_bound_search_opENS8_6detail16wrapped_functionI11custom_lessbEEEE10hipError_tPvRmT1_T2_T3_mmT4_T5_P12ihipStream_tbEUlRKjE_EESK_SO_SP_mSQ_ST_bEUlT_E_NS1_11comp_targetILNS1_3genE10ELNS1_11target_archE1201ELNS1_3gpuE5ELNS1_3repE0EEENS1_30default_config_static_selectorELNS0_4arch9wavefront6targetE1EEEvSN_,@function
_ZN7rocprim17ROCPRIM_400000_NS6detail17trampoline_kernelINS0_14default_configENS1_27lower_bound_config_selectorIjlEEZNS1_14transform_implILb0ES3_S5_N6thrust23THRUST_200600_302600_NS17counting_iteratorIjNS8_11use_defaultESA_SA_EEPlZNS1_13binary_searchIS3_S5_PjSB_SC_NS1_21lower_bound_search_opENS8_6detail16wrapped_functionI11custom_lessbEEEE10hipError_tPvRmT1_T2_T3_mmT4_T5_P12ihipStream_tbEUlRKjE_EESK_SO_SP_mSQ_ST_bEUlT_E_NS1_11comp_targetILNS1_3genE10ELNS1_11target_archE1201ELNS1_3gpuE5ELNS1_3repE0EEENS1_30default_config_static_selectorELNS0_4arch9wavefront6targetE1EEEvSN_: ; @_ZN7rocprim17ROCPRIM_400000_NS6detail17trampoline_kernelINS0_14default_configENS1_27lower_bound_config_selectorIjlEEZNS1_14transform_implILb0ES3_S5_N6thrust23THRUST_200600_302600_NS17counting_iteratorIjNS8_11use_defaultESA_SA_EEPlZNS1_13binary_searchIS3_S5_PjSB_SC_NS1_21lower_bound_search_opENS8_6detail16wrapped_functionI11custom_lessbEEEE10hipError_tPvRmT1_T2_T3_mmT4_T5_P12ihipStream_tbEUlRKjE_EESK_SO_SP_mSQ_ST_bEUlT_E_NS1_11comp_targetILNS1_3genE10ELNS1_11target_archE1201ELNS1_3gpuE5ELNS1_3repE0EEENS1_30default_config_static_selectorELNS0_4arch9wavefront6targetE1EEEvSN_
; %bb.0:
	.section	.rodata,"a",@progbits
	.p2align	6, 0x0
	.amdhsa_kernel _ZN7rocprim17ROCPRIM_400000_NS6detail17trampoline_kernelINS0_14default_configENS1_27lower_bound_config_selectorIjlEEZNS1_14transform_implILb0ES3_S5_N6thrust23THRUST_200600_302600_NS17counting_iteratorIjNS8_11use_defaultESA_SA_EEPlZNS1_13binary_searchIS3_S5_PjSB_SC_NS1_21lower_bound_search_opENS8_6detail16wrapped_functionI11custom_lessbEEEE10hipError_tPvRmT1_T2_T3_mmT4_T5_P12ihipStream_tbEUlRKjE_EESK_SO_SP_mSQ_ST_bEUlT_E_NS1_11comp_targetILNS1_3genE10ELNS1_11target_archE1201ELNS1_3gpuE5ELNS1_3repE0EEENS1_30default_config_static_selectorELNS0_4arch9wavefront6targetE1EEEvSN_
		.amdhsa_group_segment_fixed_size 0
		.amdhsa_private_segment_fixed_size 0
		.amdhsa_kernarg_size 56
		.amdhsa_user_sgpr_count 6
		.amdhsa_user_sgpr_private_segment_buffer 1
		.amdhsa_user_sgpr_dispatch_ptr 0
		.amdhsa_user_sgpr_queue_ptr 0
		.amdhsa_user_sgpr_kernarg_segment_ptr 1
		.amdhsa_user_sgpr_dispatch_id 0
		.amdhsa_user_sgpr_flat_scratch_init 0
		.amdhsa_user_sgpr_kernarg_preload_length 0
		.amdhsa_user_sgpr_kernarg_preload_offset 0
		.amdhsa_user_sgpr_private_segment_size 0
		.amdhsa_uses_dynamic_stack 0
		.amdhsa_system_sgpr_private_segment_wavefront_offset 0
		.amdhsa_system_sgpr_workgroup_id_x 1
		.amdhsa_system_sgpr_workgroup_id_y 0
		.amdhsa_system_sgpr_workgroup_id_z 0
		.amdhsa_system_sgpr_workgroup_info 0
		.amdhsa_system_vgpr_workitem_id 0
		.amdhsa_next_free_vgpr 1
		.amdhsa_next_free_sgpr 0
		.amdhsa_accum_offset 4
		.amdhsa_reserve_vcc 0
		.amdhsa_reserve_flat_scratch 0
		.amdhsa_float_round_mode_32 0
		.amdhsa_float_round_mode_16_64 0
		.amdhsa_float_denorm_mode_32 3
		.amdhsa_float_denorm_mode_16_64 3
		.amdhsa_dx10_clamp 1
		.amdhsa_ieee_mode 1
		.amdhsa_fp16_overflow 0
		.amdhsa_tg_split 0
		.amdhsa_exception_fp_ieee_invalid_op 0
		.amdhsa_exception_fp_denorm_src 0
		.amdhsa_exception_fp_ieee_div_zero 0
		.amdhsa_exception_fp_ieee_overflow 0
		.amdhsa_exception_fp_ieee_underflow 0
		.amdhsa_exception_fp_ieee_inexact 0
		.amdhsa_exception_int_div_zero 0
	.end_amdhsa_kernel
	.section	.text._ZN7rocprim17ROCPRIM_400000_NS6detail17trampoline_kernelINS0_14default_configENS1_27lower_bound_config_selectorIjlEEZNS1_14transform_implILb0ES3_S5_N6thrust23THRUST_200600_302600_NS17counting_iteratorIjNS8_11use_defaultESA_SA_EEPlZNS1_13binary_searchIS3_S5_PjSB_SC_NS1_21lower_bound_search_opENS8_6detail16wrapped_functionI11custom_lessbEEEE10hipError_tPvRmT1_T2_T3_mmT4_T5_P12ihipStream_tbEUlRKjE_EESK_SO_SP_mSQ_ST_bEUlT_E_NS1_11comp_targetILNS1_3genE10ELNS1_11target_archE1201ELNS1_3gpuE5ELNS1_3repE0EEENS1_30default_config_static_selectorELNS0_4arch9wavefront6targetE1EEEvSN_,"axG",@progbits,_ZN7rocprim17ROCPRIM_400000_NS6detail17trampoline_kernelINS0_14default_configENS1_27lower_bound_config_selectorIjlEEZNS1_14transform_implILb0ES3_S5_N6thrust23THRUST_200600_302600_NS17counting_iteratorIjNS8_11use_defaultESA_SA_EEPlZNS1_13binary_searchIS3_S5_PjSB_SC_NS1_21lower_bound_search_opENS8_6detail16wrapped_functionI11custom_lessbEEEE10hipError_tPvRmT1_T2_T3_mmT4_T5_P12ihipStream_tbEUlRKjE_EESK_SO_SP_mSQ_ST_bEUlT_E_NS1_11comp_targetILNS1_3genE10ELNS1_11target_archE1201ELNS1_3gpuE5ELNS1_3repE0EEENS1_30default_config_static_selectorELNS0_4arch9wavefront6targetE1EEEvSN_,comdat
.Lfunc_end41:
	.size	_ZN7rocprim17ROCPRIM_400000_NS6detail17trampoline_kernelINS0_14default_configENS1_27lower_bound_config_selectorIjlEEZNS1_14transform_implILb0ES3_S5_N6thrust23THRUST_200600_302600_NS17counting_iteratorIjNS8_11use_defaultESA_SA_EEPlZNS1_13binary_searchIS3_S5_PjSB_SC_NS1_21lower_bound_search_opENS8_6detail16wrapped_functionI11custom_lessbEEEE10hipError_tPvRmT1_T2_T3_mmT4_T5_P12ihipStream_tbEUlRKjE_EESK_SO_SP_mSQ_ST_bEUlT_E_NS1_11comp_targetILNS1_3genE10ELNS1_11target_archE1201ELNS1_3gpuE5ELNS1_3repE0EEENS1_30default_config_static_selectorELNS0_4arch9wavefront6targetE1EEEvSN_, .Lfunc_end41-_ZN7rocprim17ROCPRIM_400000_NS6detail17trampoline_kernelINS0_14default_configENS1_27lower_bound_config_selectorIjlEEZNS1_14transform_implILb0ES3_S5_N6thrust23THRUST_200600_302600_NS17counting_iteratorIjNS8_11use_defaultESA_SA_EEPlZNS1_13binary_searchIS3_S5_PjSB_SC_NS1_21lower_bound_search_opENS8_6detail16wrapped_functionI11custom_lessbEEEE10hipError_tPvRmT1_T2_T3_mmT4_T5_P12ihipStream_tbEUlRKjE_EESK_SO_SP_mSQ_ST_bEUlT_E_NS1_11comp_targetILNS1_3genE10ELNS1_11target_archE1201ELNS1_3gpuE5ELNS1_3repE0EEENS1_30default_config_static_selectorELNS0_4arch9wavefront6targetE1EEEvSN_
                                        ; -- End function
	.section	.AMDGPU.csdata,"",@progbits
; Kernel info:
; codeLenInByte = 0
; NumSgprs: 4
; NumVgprs: 0
; NumAgprs: 0
; TotalNumVgprs: 0
; ScratchSize: 0
; MemoryBound: 0
; FloatMode: 240
; IeeeMode: 1
; LDSByteSize: 0 bytes/workgroup (compile time only)
; SGPRBlocks: 0
; VGPRBlocks: 0
; NumSGPRsForWavesPerEU: 4
; NumVGPRsForWavesPerEU: 1
; AccumOffset: 4
; Occupancy: 8
; WaveLimiterHint : 0
; COMPUTE_PGM_RSRC2:SCRATCH_EN: 0
; COMPUTE_PGM_RSRC2:USER_SGPR: 6
; COMPUTE_PGM_RSRC2:TRAP_HANDLER: 0
; COMPUTE_PGM_RSRC2:TGID_X_EN: 1
; COMPUTE_PGM_RSRC2:TGID_Y_EN: 0
; COMPUTE_PGM_RSRC2:TGID_Z_EN: 0
; COMPUTE_PGM_RSRC2:TIDIG_COMP_CNT: 0
; COMPUTE_PGM_RSRC3_GFX90A:ACCUM_OFFSET: 0
; COMPUTE_PGM_RSRC3_GFX90A:TG_SPLIT: 0
	.section	.text._ZN7rocprim17ROCPRIM_400000_NS6detail17trampoline_kernelINS0_14default_configENS1_27lower_bound_config_selectorIjlEEZNS1_14transform_implILb0ES3_S5_N6thrust23THRUST_200600_302600_NS17counting_iteratorIjNS8_11use_defaultESA_SA_EEPlZNS1_13binary_searchIS3_S5_PjSB_SC_NS1_21lower_bound_search_opENS8_6detail16wrapped_functionI11custom_lessbEEEE10hipError_tPvRmT1_T2_T3_mmT4_T5_P12ihipStream_tbEUlRKjE_EESK_SO_SP_mSQ_ST_bEUlT_E_NS1_11comp_targetILNS1_3genE10ELNS1_11target_archE1200ELNS1_3gpuE4ELNS1_3repE0EEENS1_30default_config_static_selectorELNS0_4arch9wavefront6targetE1EEEvSN_,"axG",@progbits,_ZN7rocprim17ROCPRIM_400000_NS6detail17trampoline_kernelINS0_14default_configENS1_27lower_bound_config_selectorIjlEEZNS1_14transform_implILb0ES3_S5_N6thrust23THRUST_200600_302600_NS17counting_iteratorIjNS8_11use_defaultESA_SA_EEPlZNS1_13binary_searchIS3_S5_PjSB_SC_NS1_21lower_bound_search_opENS8_6detail16wrapped_functionI11custom_lessbEEEE10hipError_tPvRmT1_T2_T3_mmT4_T5_P12ihipStream_tbEUlRKjE_EESK_SO_SP_mSQ_ST_bEUlT_E_NS1_11comp_targetILNS1_3genE10ELNS1_11target_archE1200ELNS1_3gpuE4ELNS1_3repE0EEENS1_30default_config_static_selectorELNS0_4arch9wavefront6targetE1EEEvSN_,comdat
	.protected	_ZN7rocprim17ROCPRIM_400000_NS6detail17trampoline_kernelINS0_14default_configENS1_27lower_bound_config_selectorIjlEEZNS1_14transform_implILb0ES3_S5_N6thrust23THRUST_200600_302600_NS17counting_iteratorIjNS8_11use_defaultESA_SA_EEPlZNS1_13binary_searchIS3_S5_PjSB_SC_NS1_21lower_bound_search_opENS8_6detail16wrapped_functionI11custom_lessbEEEE10hipError_tPvRmT1_T2_T3_mmT4_T5_P12ihipStream_tbEUlRKjE_EESK_SO_SP_mSQ_ST_bEUlT_E_NS1_11comp_targetILNS1_3genE10ELNS1_11target_archE1200ELNS1_3gpuE4ELNS1_3repE0EEENS1_30default_config_static_selectorELNS0_4arch9wavefront6targetE1EEEvSN_ ; -- Begin function _ZN7rocprim17ROCPRIM_400000_NS6detail17trampoline_kernelINS0_14default_configENS1_27lower_bound_config_selectorIjlEEZNS1_14transform_implILb0ES3_S5_N6thrust23THRUST_200600_302600_NS17counting_iteratorIjNS8_11use_defaultESA_SA_EEPlZNS1_13binary_searchIS3_S5_PjSB_SC_NS1_21lower_bound_search_opENS8_6detail16wrapped_functionI11custom_lessbEEEE10hipError_tPvRmT1_T2_T3_mmT4_T5_P12ihipStream_tbEUlRKjE_EESK_SO_SP_mSQ_ST_bEUlT_E_NS1_11comp_targetILNS1_3genE10ELNS1_11target_archE1200ELNS1_3gpuE4ELNS1_3repE0EEENS1_30default_config_static_selectorELNS0_4arch9wavefront6targetE1EEEvSN_
	.globl	_ZN7rocprim17ROCPRIM_400000_NS6detail17trampoline_kernelINS0_14default_configENS1_27lower_bound_config_selectorIjlEEZNS1_14transform_implILb0ES3_S5_N6thrust23THRUST_200600_302600_NS17counting_iteratorIjNS8_11use_defaultESA_SA_EEPlZNS1_13binary_searchIS3_S5_PjSB_SC_NS1_21lower_bound_search_opENS8_6detail16wrapped_functionI11custom_lessbEEEE10hipError_tPvRmT1_T2_T3_mmT4_T5_P12ihipStream_tbEUlRKjE_EESK_SO_SP_mSQ_ST_bEUlT_E_NS1_11comp_targetILNS1_3genE10ELNS1_11target_archE1200ELNS1_3gpuE4ELNS1_3repE0EEENS1_30default_config_static_selectorELNS0_4arch9wavefront6targetE1EEEvSN_
	.p2align	8
	.type	_ZN7rocprim17ROCPRIM_400000_NS6detail17trampoline_kernelINS0_14default_configENS1_27lower_bound_config_selectorIjlEEZNS1_14transform_implILb0ES3_S5_N6thrust23THRUST_200600_302600_NS17counting_iteratorIjNS8_11use_defaultESA_SA_EEPlZNS1_13binary_searchIS3_S5_PjSB_SC_NS1_21lower_bound_search_opENS8_6detail16wrapped_functionI11custom_lessbEEEE10hipError_tPvRmT1_T2_T3_mmT4_T5_P12ihipStream_tbEUlRKjE_EESK_SO_SP_mSQ_ST_bEUlT_E_NS1_11comp_targetILNS1_3genE10ELNS1_11target_archE1200ELNS1_3gpuE4ELNS1_3repE0EEENS1_30default_config_static_selectorELNS0_4arch9wavefront6targetE1EEEvSN_,@function
_ZN7rocprim17ROCPRIM_400000_NS6detail17trampoline_kernelINS0_14default_configENS1_27lower_bound_config_selectorIjlEEZNS1_14transform_implILb0ES3_S5_N6thrust23THRUST_200600_302600_NS17counting_iteratorIjNS8_11use_defaultESA_SA_EEPlZNS1_13binary_searchIS3_S5_PjSB_SC_NS1_21lower_bound_search_opENS8_6detail16wrapped_functionI11custom_lessbEEEE10hipError_tPvRmT1_T2_T3_mmT4_T5_P12ihipStream_tbEUlRKjE_EESK_SO_SP_mSQ_ST_bEUlT_E_NS1_11comp_targetILNS1_3genE10ELNS1_11target_archE1200ELNS1_3gpuE4ELNS1_3repE0EEENS1_30default_config_static_selectorELNS0_4arch9wavefront6targetE1EEEvSN_: ; @_ZN7rocprim17ROCPRIM_400000_NS6detail17trampoline_kernelINS0_14default_configENS1_27lower_bound_config_selectorIjlEEZNS1_14transform_implILb0ES3_S5_N6thrust23THRUST_200600_302600_NS17counting_iteratorIjNS8_11use_defaultESA_SA_EEPlZNS1_13binary_searchIS3_S5_PjSB_SC_NS1_21lower_bound_search_opENS8_6detail16wrapped_functionI11custom_lessbEEEE10hipError_tPvRmT1_T2_T3_mmT4_T5_P12ihipStream_tbEUlRKjE_EESK_SO_SP_mSQ_ST_bEUlT_E_NS1_11comp_targetILNS1_3genE10ELNS1_11target_archE1200ELNS1_3gpuE4ELNS1_3repE0EEENS1_30default_config_static_selectorELNS0_4arch9wavefront6targetE1EEEvSN_
; %bb.0:
	.section	.rodata,"a",@progbits
	.p2align	6, 0x0
	.amdhsa_kernel _ZN7rocprim17ROCPRIM_400000_NS6detail17trampoline_kernelINS0_14default_configENS1_27lower_bound_config_selectorIjlEEZNS1_14transform_implILb0ES3_S5_N6thrust23THRUST_200600_302600_NS17counting_iteratorIjNS8_11use_defaultESA_SA_EEPlZNS1_13binary_searchIS3_S5_PjSB_SC_NS1_21lower_bound_search_opENS8_6detail16wrapped_functionI11custom_lessbEEEE10hipError_tPvRmT1_T2_T3_mmT4_T5_P12ihipStream_tbEUlRKjE_EESK_SO_SP_mSQ_ST_bEUlT_E_NS1_11comp_targetILNS1_3genE10ELNS1_11target_archE1200ELNS1_3gpuE4ELNS1_3repE0EEENS1_30default_config_static_selectorELNS0_4arch9wavefront6targetE1EEEvSN_
		.amdhsa_group_segment_fixed_size 0
		.amdhsa_private_segment_fixed_size 0
		.amdhsa_kernarg_size 56
		.amdhsa_user_sgpr_count 6
		.amdhsa_user_sgpr_private_segment_buffer 1
		.amdhsa_user_sgpr_dispatch_ptr 0
		.amdhsa_user_sgpr_queue_ptr 0
		.amdhsa_user_sgpr_kernarg_segment_ptr 1
		.amdhsa_user_sgpr_dispatch_id 0
		.amdhsa_user_sgpr_flat_scratch_init 0
		.amdhsa_user_sgpr_kernarg_preload_length 0
		.amdhsa_user_sgpr_kernarg_preload_offset 0
		.amdhsa_user_sgpr_private_segment_size 0
		.amdhsa_uses_dynamic_stack 0
		.amdhsa_system_sgpr_private_segment_wavefront_offset 0
		.amdhsa_system_sgpr_workgroup_id_x 1
		.amdhsa_system_sgpr_workgroup_id_y 0
		.amdhsa_system_sgpr_workgroup_id_z 0
		.amdhsa_system_sgpr_workgroup_info 0
		.amdhsa_system_vgpr_workitem_id 0
		.amdhsa_next_free_vgpr 1
		.amdhsa_next_free_sgpr 0
		.amdhsa_accum_offset 4
		.amdhsa_reserve_vcc 0
		.amdhsa_reserve_flat_scratch 0
		.amdhsa_float_round_mode_32 0
		.amdhsa_float_round_mode_16_64 0
		.amdhsa_float_denorm_mode_32 3
		.amdhsa_float_denorm_mode_16_64 3
		.amdhsa_dx10_clamp 1
		.amdhsa_ieee_mode 1
		.amdhsa_fp16_overflow 0
		.amdhsa_tg_split 0
		.amdhsa_exception_fp_ieee_invalid_op 0
		.amdhsa_exception_fp_denorm_src 0
		.amdhsa_exception_fp_ieee_div_zero 0
		.amdhsa_exception_fp_ieee_overflow 0
		.amdhsa_exception_fp_ieee_underflow 0
		.amdhsa_exception_fp_ieee_inexact 0
		.amdhsa_exception_int_div_zero 0
	.end_amdhsa_kernel
	.section	.text._ZN7rocprim17ROCPRIM_400000_NS6detail17trampoline_kernelINS0_14default_configENS1_27lower_bound_config_selectorIjlEEZNS1_14transform_implILb0ES3_S5_N6thrust23THRUST_200600_302600_NS17counting_iteratorIjNS8_11use_defaultESA_SA_EEPlZNS1_13binary_searchIS3_S5_PjSB_SC_NS1_21lower_bound_search_opENS8_6detail16wrapped_functionI11custom_lessbEEEE10hipError_tPvRmT1_T2_T3_mmT4_T5_P12ihipStream_tbEUlRKjE_EESK_SO_SP_mSQ_ST_bEUlT_E_NS1_11comp_targetILNS1_3genE10ELNS1_11target_archE1200ELNS1_3gpuE4ELNS1_3repE0EEENS1_30default_config_static_selectorELNS0_4arch9wavefront6targetE1EEEvSN_,"axG",@progbits,_ZN7rocprim17ROCPRIM_400000_NS6detail17trampoline_kernelINS0_14default_configENS1_27lower_bound_config_selectorIjlEEZNS1_14transform_implILb0ES3_S5_N6thrust23THRUST_200600_302600_NS17counting_iteratorIjNS8_11use_defaultESA_SA_EEPlZNS1_13binary_searchIS3_S5_PjSB_SC_NS1_21lower_bound_search_opENS8_6detail16wrapped_functionI11custom_lessbEEEE10hipError_tPvRmT1_T2_T3_mmT4_T5_P12ihipStream_tbEUlRKjE_EESK_SO_SP_mSQ_ST_bEUlT_E_NS1_11comp_targetILNS1_3genE10ELNS1_11target_archE1200ELNS1_3gpuE4ELNS1_3repE0EEENS1_30default_config_static_selectorELNS0_4arch9wavefront6targetE1EEEvSN_,comdat
.Lfunc_end42:
	.size	_ZN7rocprim17ROCPRIM_400000_NS6detail17trampoline_kernelINS0_14default_configENS1_27lower_bound_config_selectorIjlEEZNS1_14transform_implILb0ES3_S5_N6thrust23THRUST_200600_302600_NS17counting_iteratorIjNS8_11use_defaultESA_SA_EEPlZNS1_13binary_searchIS3_S5_PjSB_SC_NS1_21lower_bound_search_opENS8_6detail16wrapped_functionI11custom_lessbEEEE10hipError_tPvRmT1_T2_T3_mmT4_T5_P12ihipStream_tbEUlRKjE_EESK_SO_SP_mSQ_ST_bEUlT_E_NS1_11comp_targetILNS1_3genE10ELNS1_11target_archE1200ELNS1_3gpuE4ELNS1_3repE0EEENS1_30default_config_static_selectorELNS0_4arch9wavefront6targetE1EEEvSN_, .Lfunc_end42-_ZN7rocprim17ROCPRIM_400000_NS6detail17trampoline_kernelINS0_14default_configENS1_27lower_bound_config_selectorIjlEEZNS1_14transform_implILb0ES3_S5_N6thrust23THRUST_200600_302600_NS17counting_iteratorIjNS8_11use_defaultESA_SA_EEPlZNS1_13binary_searchIS3_S5_PjSB_SC_NS1_21lower_bound_search_opENS8_6detail16wrapped_functionI11custom_lessbEEEE10hipError_tPvRmT1_T2_T3_mmT4_T5_P12ihipStream_tbEUlRKjE_EESK_SO_SP_mSQ_ST_bEUlT_E_NS1_11comp_targetILNS1_3genE10ELNS1_11target_archE1200ELNS1_3gpuE4ELNS1_3repE0EEENS1_30default_config_static_selectorELNS0_4arch9wavefront6targetE1EEEvSN_
                                        ; -- End function
	.section	.AMDGPU.csdata,"",@progbits
; Kernel info:
; codeLenInByte = 0
; NumSgprs: 4
; NumVgprs: 0
; NumAgprs: 0
; TotalNumVgprs: 0
; ScratchSize: 0
; MemoryBound: 0
; FloatMode: 240
; IeeeMode: 1
; LDSByteSize: 0 bytes/workgroup (compile time only)
; SGPRBlocks: 0
; VGPRBlocks: 0
; NumSGPRsForWavesPerEU: 4
; NumVGPRsForWavesPerEU: 1
; AccumOffset: 4
; Occupancy: 8
; WaveLimiterHint : 0
; COMPUTE_PGM_RSRC2:SCRATCH_EN: 0
; COMPUTE_PGM_RSRC2:USER_SGPR: 6
; COMPUTE_PGM_RSRC2:TRAP_HANDLER: 0
; COMPUTE_PGM_RSRC2:TGID_X_EN: 1
; COMPUTE_PGM_RSRC2:TGID_Y_EN: 0
; COMPUTE_PGM_RSRC2:TGID_Z_EN: 0
; COMPUTE_PGM_RSRC2:TIDIG_COMP_CNT: 0
; COMPUTE_PGM_RSRC3_GFX90A:ACCUM_OFFSET: 0
; COMPUTE_PGM_RSRC3_GFX90A:TG_SPLIT: 0
	.section	.text._ZN7rocprim17ROCPRIM_400000_NS6detail17trampoline_kernelINS0_14default_configENS1_27lower_bound_config_selectorIjlEEZNS1_14transform_implILb0ES3_S5_N6thrust23THRUST_200600_302600_NS17counting_iteratorIjNS8_11use_defaultESA_SA_EEPlZNS1_13binary_searchIS3_S5_PjSB_SC_NS1_21lower_bound_search_opENS8_6detail16wrapped_functionI11custom_lessbEEEE10hipError_tPvRmT1_T2_T3_mmT4_T5_P12ihipStream_tbEUlRKjE_EESK_SO_SP_mSQ_ST_bEUlT_E_NS1_11comp_targetILNS1_3genE9ELNS1_11target_archE1100ELNS1_3gpuE3ELNS1_3repE0EEENS1_30default_config_static_selectorELNS0_4arch9wavefront6targetE1EEEvSN_,"axG",@progbits,_ZN7rocprim17ROCPRIM_400000_NS6detail17trampoline_kernelINS0_14default_configENS1_27lower_bound_config_selectorIjlEEZNS1_14transform_implILb0ES3_S5_N6thrust23THRUST_200600_302600_NS17counting_iteratorIjNS8_11use_defaultESA_SA_EEPlZNS1_13binary_searchIS3_S5_PjSB_SC_NS1_21lower_bound_search_opENS8_6detail16wrapped_functionI11custom_lessbEEEE10hipError_tPvRmT1_T2_T3_mmT4_T5_P12ihipStream_tbEUlRKjE_EESK_SO_SP_mSQ_ST_bEUlT_E_NS1_11comp_targetILNS1_3genE9ELNS1_11target_archE1100ELNS1_3gpuE3ELNS1_3repE0EEENS1_30default_config_static_selectorELNS0_4arch9wavefront6targetE1EEEvSN_,comdat
	.protected	_ZN7rocprim17ROCPRIM_400000_NS6detail17trampoline_kernelINS0_14default_configENS1_27lower_bound_config_selectorIjlEEZNS1_14transform_implILb0ES3_S5_N6thrust23THRUST_200600_302600_NS17counting_iteratorIjNS8_11use_defaultESA_SA_EEPlZNS1_13binary_searchIS3_S5_PjSB_SC_NS1_21lower_bound_search_opENS8_6detail16wrapped_functionI11custom_lessbEEEE10hipError_tPvRmT1_T2_T3_mmT4_T5_P12ihipStream_tbEUlRKjE_EESK_SO_SP_mSQ_ST_bEUlT_E_NS1_11comp_targetILNS1_3genE9ELNS1_11target_archE1100ELNS1_3gpuE3ELNS1_3repE0EEENS1_30default_config_static_selectorELNS0_4arch9wavefront6targetE1EEEvSN_ ; -- Begin function _ZN7rocprim17ROCPRIM_400000_NS6detail17trampoline_kernelINS0_14default_configENS1_27lower_bound_config_selectorIjlEEZNS1_14transform_implILb0ES3_S5_N6thrust23THRUST_200600_302600_NS17counting_iteratorIjNS8_11use_defaultESA_SA_EEPlZNS1_13binary_searchIS3_S5_PjSB_SC_NS1_21lower_bound_search_opENS8_6detail16wrapped_functionI11custom_lessbEEEE10hipError_tPvRmT1_T2_T3_mmT4_T5_P12ihipStream_tbEUlRKjE_EESK_SO_SP_mSQ_ST_bEUlT_E_NS1_11comp_targetILNS1_3genE9ELNS1_11target_archE1100ELNS1_3gpuE3ELNS1_3repE0EEENS1_30default_config_static_selectorELNS0_4arch9wavefront6targetE1EEEvSN_
	.globl	_ZN7rocprim17ROCPRIM_400000_NS6detail17trampoline_kernelINS0_14default_configENS1_27lower_bound_config_selectorIjlEEZNS1_14transform_implILb0ES3_S5_N6thrust23THRUST_200600_302600_NS17counting_iteratorIjNS8_11use_defaultESA_SA_EEPlZNS1_13binary_searchIS3_S5_PjSB_SC_NS1_21lower_bound_search_opENS8_6detail16wrapped_functionI11custom_lessbEEEE10hipError_tPvRmT1_T2_T3_mmT4_T5_P12ihipStream_tbEUlRKjE_EESK_SO_SP_mSQ_ST_bEUlT_E_NS1_11comp_targetILNS1_3genE9ELNS1_11target_archE1100ELNS1_3gpuE3ELNS1_3repE0EEENS1_30default_config_static_selectorELNS0_4arch9wavefront6targetE1EEEvSN_
	.p2align	8
	.type	_ZN7rocprim17ROCPRIM_400000_NS6detail17trampoline_kernelINS0_14default_configENS1_27lower_bound_config_selectorIjlEEZNS1_14transform_implILb0ES3_S5_N6thrust23THRUST_200600_302600_NS17counting_iteratorIjNS8_11use_defaultESA_SA_EEPlZNS1_13binary_searchIS3_S5_PjSB_SC_NS1_21lower_bound_search_opENS8_6detail16wrapped_functionI11custom_lessbEEEE10hipError_tPvRmT1_T2_T3_mmT4_T5_P12ihipStream_tbEUlRKjE_EESK_SO_SP_mSQ_ST_bEUlT_E_NS1_11comp_targetILNS1_3genE9ELNS1_11target_archE1100ELNS1_3gpuE3ELNS1_3repE0EEENS1_30default_config_static_selectorELNS0_4arch9wavefront6targetE1EEEvSN_,@function
_ZN7rocprim17ROCPRIM_400000_NS6detail17trampoline_kernelINS0_14default_configENS1_27lower_bound_config_selectorIjlEEZNS1_14transform_implILb0ES3_S5_N6thrust23THRUST_200600_302600_NS17counting_iteratorIjNS8_11use_defaultESA_SA_EEPlZNS1_13binary_searchIS3_S5_PjSB_SC_NS1_21lower_bound_search_opENS8_6detail16wrapped_functionI11custom_lessbEEEE10hipError_tPvRmT1_T2_T3_mmT4_T5_P12ihipStream_tbEUlRKjE_EESK_SO_SP_mSQ_ST_bEUlT_E_NS1_11comp_targetILNS1_3genE9ELNS1_11target_archE1100ELNS1_3gpuE3ELNS1_3repE0EEENS1_30default_config_static_selectorELNS0_4arch9wavefront6targetE1EEEvSN_: ; @_ZN7rocprim17ROCPRIM_400000_NS6detail17trampoline_kernelINS0_14default_configENS1_27lower_bound_config_selectorIjlEEZNS1_14transform_implILb0ES3_S5_N6thrust23THRUST_200600_302600_NS17counting_iteratorIjNS8_11use_defaultESA_SA_EEPlZNS1_13binary_searchIS3_S5_PjSB_SC_NS1_21lower_bound_search_opENS8_6detail16wrapped_functionI11custom_lessbEEEE10hipError_tPvRmT1_T2_T3_mmT4_T5_P12ihipStream_tbEUlRKjE_EESK_SO_SP_mSQ_ST_bEUlT_E_NS1_11comp_targetILNS1_3genE9ELNS1_11target_archE1100ELNS1_3gpuE3ELNS1_3repE0EEENS1_30default_config_static_selectorELNS0_4arch9wavefront6targetE1EEEvSN_
; %bb.0:
	.section	.rodata,"a",@progbits
	.p2align	6, 0x0
	.amdhsa_kernel _ZN7rocprim17ROCPRIM_400000_NS6detail17trampoline_kernelINS0_14default_configENS1_27lower_bound_config_selectorIjlEEZNS1_14transform_implILb0ES3_S5_N6thrust23THRUST_200600_302600_NS17counting_iteratorIjNS8_11use_defaultESA_SA_EEPlZNS1_13binary_searchIS3_S5_PjSB_SC_NS1_21lower_bound_search_opENS8_6detail16wrapped_functionI11custom_lessbEEEE10hipError_tPvRmT1_T2_T3_mmT4_T5_P12ihipStream_tbEUlRKjE_EESK_SO_SP_mSQ_ST_bEUlT_E_NS1_11comp_targetILNS1_3genE9ELNS1_11target_archE1100ELNS1_3gpuE3ELNS1_3repE0EEENS1_30default_config_static_selectorELNS0_4arch9wavefront6targetE1EEEvSN_
		.amdhsa_group_segment_fixed_size 0
		.amdhsa_private_segment_fixed_size 0
		.amdhsa_kernarg_size 56
		.amdhsa_user_sgpr_count 6
		.amdhsa_user_sgpr_private_segment_buffer 1
		.amdhsa_user_sgpr_dispatch_ptr 0
		.amdhsa_user_sgpr_queue_ptr 0
		.amdhsa_user_sgpr_kernarg_segment_ptr 1
		.amdhsa_user_sgpr_dispatch_id 0
		.amdhsa_user_sgpr_flat_scratch_init 0
		.amdhsa_user_sgpr_kernarg_preload_length 0
		.amdhsa_user_sgpr_kernarg_preload_offset 0
		.amdhsa_user_sgpr_private_segment_size 0
		.amdhsa_uses_dynamic_stack 0
		.amdhsa_system_sgpr_private_segment_wavefront_offset 0
		.amdhsa_system_sgpr_workgroup_id_x 1
		.amdhsa_system_sgpr_workgroup_id_y 0
		.amdhsa_system_sgpr_workgroup_id_z 0
		.amdhsa_system_sgpr_workgroup_info 0
		.amdhsa_system_vgpr_workitem_id 0
		.amdhsa_next_free_vgpr 1
		.amdhsa_next_free_sgpr 0
		.amdhsa_accum_offset 4
		.amdhsa_reserve_vcc 0
		.amdhsa_reserve_flat_scratch 0
		.amdhsa_float_round_mode_32 0
		.amdhsa_float_round_mode_16_64 0
		.amdhsa_float_denorm_mode_32 3
		.amdhsa_float_denorm_mode_16_64 3
		.amdhsa_dx10_clamp 1
		.amdhsa_ieee_mode 1
		.amdhsa_fp16_overflow 0
		.amdhsa_tg_split 0
		.amdhsa_exception_fp_ieee_invalid_op 0
		.amdhsa_exception_fp_denorm_src 0
		.amdhsa_exception_fp_ieee_div_zero 0
		.amdhsa_exception_fp_ieee_overflow 0
		.amdhsa_exception_fp_ieee_underflow 0
		.amdhsa_exception_fp_ieee_inexact 0
		.amdhsa_exception_int_div_zero 0
	.end_amdhsa_kernel
	.section	.text._ZN7rocprim17ROCPRIM_400000_NS6detail17trampoline_kernelINS0_14default_configENS1_27lower_bound_config_selectorIjlEEZNS1_14transform_implILb0ES3_S5_N6thrust23THRUST_200600_302600_NS17counting_iteratorIjNS8_11use_defaultESA_SA_EEPlZNS1_13binary_searchIS3_S5_PjSB_SC_NS1_21lower_bound_search_opENS8_6detail16wrapped_functionI11custom_lessbEEEE10hipError_tPvRmT1_T2_T3_mmT4_T5_P12ihipStream_tbEUlRKjE_EESK_SO_SP_mSQ_ST_bEUlT_E_NS1_11comp_targetILNS1_3genE9ELNS1_11target_archE1100ELNS1_3gpuE3ELNS1_3repE0EEENS1_30default_config_static_selectorELNS0_4arch9wavefront6targetE1EEEvSN_,"axG",@progbits,_ZN7rocprim17ROCPRIM_400000_NS6detail17trampoline_kernelINS0_14default_configENS1_27lower_bound_config_selectorIjlEEZNS1_14transform_implILb0ES3_S5_N6thrust23THRUST_200600_302600_NS17counting_iteratorIjNS8_11use_defaultESA_SA_EEPlZNS1_13binary_searchIS3_S5_PjSB_SC_NS1_21lower_bound_search_opENS8_6detail16wrapped_functionI11custom_lessbEEEE10hipError_tPvRmT1_T2_T3_mmT4_T5_P12ihipStream_tbEUlRKjE_EESK_SO_SP_mSQ_ST_bEUlT_E_NS1_11comp_targetILNS1_3genE9ELNS1_11target_archE1100ELNS1_3gpuE3ELNS1_3repE0EEENS1_30default_config_static_selectorELNS0_4arch9wavefront6targetE1EEEvSN_,comdat
.Lfunc_end43:
	.size	_ZN7rocprim17ROCPRIM_400000_NS6detail17trampoline_kernelINS0_14default_configENS1_27lower_bound_config_selectorIjlEEZNS1_14transform_implILb0ES3_S5_N6thrust23THRUST_200600_302600_NS17counting_iteratorIjNS8_11use_defaultESA_SA_EEPlZNS1_13binary_searchIS3_S5_PjSB_SC_NS1_21lower_bound_search_opENS8_6detail16wrapped_functionI11custom_lessbEEEE10hipError_tPvRmT1_T2_T3_mmT4_T5_P12ihipStream_tbEUlRKjE_EESK_SO_SP_mSQ_ST_bEUlT_E_NS1_11comp_targetILNS1_3genE9ELNS1_11target_archE1100ELNS1_3gpuE3ELNS1_3repE0EEENS1_30default_config_static_selectorELNS0_4arch9wavefront6targetE1EEEvSN_, .Lfunc_end43-_ZN7rocprim17ROCPRIM_400000_NS6detail17trampoline_kernelINS0_14default_configENS1_27lower_bound_config_selectorIjlEEZNS1_14transform_implILb0ES3_S5_N6thrust23THRUST_200600_302600_NS17counting_iteratorIjNS8_11use_defaultESA_SA_EEPlZNS1_13binary_searchIS3_S5_PjSB_SC_NS1_21lower_bound_search_opENS8_6detail16wrapped_functionI11custom_lessbEEEE10hipError_tPvRmT1_T2_T3_mmT4_T5_P12ihipStream_tbEUlRKjE_EESK_SO_SP_mSQ_ST_bEUlT_E_NS1_11comp_targetILNS1_3genE9ELNS1_11target_archE1100ELNS1_3gpuE3ELNS1_3repE0EEENS1_30default_config_static_selectorELNS0_4arch9wavefront6targetE1EEEvSN_
                                        ; -- End function
	.section	.AMDGPU.csdata,"",@progbits
; Kernel info:
; codeLenInByte = 0
; NumSgprs: 4
; NumVgprs: 0
; NumAgprs: 0
; TotalNumVgprs: 0
; ScratchSize: 0
; MemoryBound: 0
; FloatMode: 240
; IeeeMode: 1
; LDSByteSize: 0 bytes/workgroup (compile time only)
; SGPRBlocks: 0
; VGPRBlocks: 0
; NumSGPRsForWavesPerEU: 4
; NumVGPRsForWavesPerEU: 1
; AccumOffset: 4
; Occupancy: 8
; WaveLimiterHint : 0
; COMPUTE_PGM_RSRC2:SCRATCH_EN: 0
; COMPUTE_PGM_RSRC2:USER_SGPR: 6
; COMPUTE_PGM_RSRC2:TRAP_HANDLER: 0
; COMPUTE_PGM_RSRC2:TGID_X_EN: 1
; COMPUTE_PGM_RSRC2:TGID_Y_EN: 0
; COMPUTE_PGM_RSRC2:TGID_Z_EN: 0
; COMPUTE_PGM_RSRC2:TIDIG_COMP_CNT: 0
; COMPUTE_PGM_RSRC3_GFX90A:ACCUM_OFFSET: 0
; COMPUTE_PGM_RSRC3_GFX90A:TG_SPLIT: 0
	.section	.text._ZN7rocprim17ROCPRIM_400000_NS6detail17trampoline_kernelINS0_14default_configENS1_27lower_bound_config_selectorIjlEEZNS1_14transform_implILb0ES3_S5_N6thrust23THRUST_200600_302600_NS17counting_iteratorIjNS8_11use_defaultESA_SA_EEPlZNS1_13binary_searchIS3_S5_PjSB_SC_NS1_21lower_bound_search_opENS8_6detail16wrapped_functionI11custom_lessbEEEE10hipError_tPvRmT1_T2_T3_mmT4_T5_P12ihipStream_tbEUlRKjE_EESK_SO_SP_mSQ_ST_bEUlT_E_NS1_11comp_targetILNS1_3genE8ELNS1_11target_archE1030ELNS1_3gpuE2ELNS1_3repE0EEENS1_30default_config_static_selectorELNS0_4arch9wavefront6targetE1EEEvSN_,"axG",@progbits,_ZN7rocprim17ROCPRIM_400000_NS6detail17trampoline_kernelINS0_14default_configENS1_27lower_bound_config_selectorIjlEEZNS1_14transform_implILb0ES3_S5_N6thrust23THRUST_200600_302600_NS17counting_iteratorIjNS8_11use_defaultESA_SA_EEPlZNS1_13binary_searchIS3_S5_PjSB_SC_NS1_21lower_bound_search_opENS8_6detail16wrapped_functionI11custom_lessbEEEE10hipError_tPvRmT1_T2_T3_mmT4_T5_P12ihipStream_tbEUlRKjE_EESK_SO_SP_mSQ_ST_bEUlT_E_NS1_11comp_targetILNS1_3genE8ELNS1_11target_archE1030ELNS1_3gpuE2ELNS1_3repE0EEENS1_30default_config_static_selectorELNS0_4arch9wavefront6targetE1EEEvSN_,comdat
	.protected	_ZN7rocprim17ROCPRIM_400000_NS6detail17trampoline_kernelINS0_14default_configENS1_27lower_bound_config_selectorIjlEEZNS1_14transform_implILb0ES3_S5_N6thrust23THRUST_200600_302600_NS17counting_iteratorIjNS8_11use_defaultESA_SA_EEPlZNS1_13binary_searchIS3_S5_PjSB_SC_NS1_21lower_bound_search_opENS8_6detail16wrapped_functionI11custom_lessbEEEE10hipError_tPvRmT1_T2_T3_mmT4_T5_P12ihipStream_tbEUlRKjE_EESK_SO_SP_mSQ_ST_bEUlT_E_NS1_11comp_targetILNS1_3genE8ELNS1_11target_archE1030ELNS1_3gpuE2ELNS1_3repE0EEENS1_30default_config_static_selectorELNS0_4arch9wavefront6targetE1EEEvSN_ ; -- Begin function _ZN7rocprim17ROCPRIM_400000_NS6detail17trampoline_kernelINS0_14default_configENS1_27lower_bound_config_selectorIjlEEZNS1_14transform_implILb0ES3_S5_N6thrust23THRUST_200600_302600_NS17counting_iteratorIjNS8_11use_defaultESA_SA_EEPlZNS1_13binary_searchIS3_S5_PjSB_SC_NS1_21lower_bound_search_opENS8_6detail16wrapped_functionI11custom_lessbEEEE10hipError_tPvRmT1_T2_T3_mmT4_T5_P12ihipStream_tbEUlRKjE_EESK_SO_SP_mSQ_ST_bEUlT_E_NS1_11comp_targetILNS1_3genE8ELNS1_11target_archE1030ELNS1_3gpuE2ELNS1_3repE0EEENS1_30default_config_static_selectorELNS0_4arch9wavefront6targetE1EEEvSN_
	.globl	_ZN7rocprim17ROCPRIM_400000_NS6detail17trampoline_kernelINS0_14default_configENS1_27lower_bound_config_selectorIjlEEZNS1_14transform_implILb0ES3_S5_N6thrust23THRUST_200600_302600_NS17counting_iteratorIjNS8_11use_defaultESA_SA_EEPlZNS1_13binary_searchIS3_S5_PjSB_SC_NS1_21lower_bound_search_opENS8_6detail16wrapped_functionI11custom_lessbEEEE10hipError_tPvRmT1_T2_T3_mmT4_T5_P12ihipStream_tbEUlRKjE_EESK_SO_SP_mSQ_ST_bEUlT_E_NS1_11comp_targetILNS1_3genE8ELNS1_11target_archE1030ELNS1_3gpuE2ELNS1_3repE0EEENS1_30default_config_static_selectorELNS0_4arch9wavefront6targetE1EEEvSN_
	.p2align	8
	.type	_ZN7rocprim17ROCPRIM_400000_NS6detail17trampoline_kernelINS0_14default_configENS1_27lower_bound_config_selectorIjlEEZNS1_14transform_implILb0ES3_S5_N6thrust23THRUST_200600_302600_NS17counting_iteratorIjNS8_11use_defaultESA_SA_EEPlZNS1_13binary_searchIS3_S5_PjSB_SC_NS1_21lower_bound_search_opENS8_6detail16wrapped_functionI11custom_lessbEEEE10hipError_tPvRmT1_T2_T3_mmT4_T5_P12ihipStream_tbEUlRKjE_EESK_SO_SP_mSQ_ST_bEUlT_E_NS1_11comp_targetILNS1_3genE8ELNS1_11target_archE1030ELNS1_3gpuE2ELNS1_3repE0EEENS1_30default_config_static_selectorELNS0_4arch9wavefront6targetE1EEEvSN_,@function
_ZN7rocprim17ROCPRIM_400000_NS6detail17trampoline_kernelINS0_14default_configENS1_27lower_bound_config_selectorIjlEEZNS1_14transform_implILb0ES3_S5_N6thrust23THRUST_200600_302600_NS17counting_iteratorIjNS8_11use_defaultESA_SA_EEPlZNS1_13binary_searchIS3_S5_PjSB_SC_NS1_21lower_bound_search_opENS8_6detail16wrapped_functionI11custom_lessbEEEE10hipError_tPvRmT1_T2_T3_mmT4_T5_P12ihipStream_tbEUlRKjE_EESK_SO_SP_mSQ_ST_bEUlT_E_NS1_11comp_targetILNS1_3genE8ELNS1_11target_archE1030ELNS1_3gpuE2ELNS1_3repE0EEENS1_30default_config_static_selectorELNS0_4arch9wavefront6targetE1EEEvSN_: ; @_ZN7rocprim17ROCPRIM_400000_NS6detail17trampoline_kernelINS0_14default_configENS1_27lower_bound_config_selectorIjlEEZNS1_14transform_implILb0ES3_S5_N6thrust23THRUST_200600_302600_NS17counting_iteratorIjNS8_11use_defaultESA_SA_EEPlZNS1_13binary_searchIS3_S5_PjSB_SC_NS1_21lower_bound_search_opENS8_6detail16wrapped_functionI11custom_lessbEEEE10hipError_tPvRmT1_T2_T3_mmT4_T5_P12ihipStream_tbEUlRKjE_EESK_SO_SP_mSQ_ST_bEUlT_E_NS1_11comp_targetILNS1_3genE8ELNS1_11target_archE1030ELNS1_3gpuE2ELNS1_3repE0EEENS1_30default_config_static_selectorELNS0_4arch9wavefront6targetE1EEEvSN_
; %bb.0:
	.section	.rodata,"a",@progbits
	.p2align	6, 0x0
	.amdhsa_kernel _ZN7rocprim17ROCPRIM_400000_NS6detail17trampoline_kernelINS0_14default_configENS1_27lower_bound_config_selectorIjlEEZNS1_14transform_implILb0ES3_S5_N6thrust23THRUST_200600_302600_NS17counting_iteratorIjNS8_11use_defaultESA_SA_EEPlZNS1_13binary_searchIS3_S5_PjSB_SC_NS1_21lower_bound_search_opENS8_6detail16wrapped_functionI11custom_lessbEEEE10hipError_tPvRmT1_T2_T3_mmT4_T5_P12ihipStream_tbEUlRKjE_EESK_SO_SP_mSQ_ST_bEUlT_E_NS1_11comp_targetILNS1_3genE8ELNS1_11target_archE1030ELNS1_3gpuE2ELNS1_3repE0EEENS1_30default_config_static_selectorELNS0_4arch9wavefront6targetE1EEEvSN_
		.amdhsa_group_segment_fixed_size 0
		.amdhsa_private_segment_fixed_size 0
		.amdhsa_kernarg_size 56
		.amdhsa_user_sgpr_count 6
		.amdhsa_user_sgpr_private_segment_buffer 1
		.amdhsa_user_sgpr_dispatch_ptr 0
		.amdhsa_user_sgpr_queue_ptr 0
		.amdhsa_user_sgpr_kernarg_segment_ptr 1
		.amdhsa_user_sgpr_dispatch_id 0
		.amdhsa_user_sgpr_flat_scratch_init 0
		.amdhsa_user_sgpr_kernarg_preload_length 0
		.amdhsa_user_sgpr_kernarg_preload_offset 0
		.amdhsa_user_sgpr_private_segment_size 0
		.amdhsa_uses_dynamic_stack 0
		.amdhsa_system_sgpr_private_segment_wavefront_offset 0
		.amdhsa_system_sgpr_workgroup_id_x 1
		.amdhsa_system_sgpr_workgroup_id_y 0
		.amdhsa_system_sgpr_workgroup_id_z 0
		.amdhsa_system_sgpr_workgroup_info 0
		.amdhsa_system_vgpr_workitem_id 0
		.amdhsa_next_free_vgpr 1
		.amdhsa_next_free_sgpr 0
		.amdhsa_accum_offset 4
		.amdhsa_reserve_vcc 0
		.amdhsa_reserve_flat_scratch 0
		.amdhsa_float_round_mode_32 0
		.amdhsa_float_round_mode_16_64 0
		.amdhsa_float_denorm_mode_32 3
		.amdhsa_float_denorm_mode_16_64 3
		.amdhsa_dx10_clamp 1
		.amdhsa_ieee_mode 1
		.amdhsa_fp16_overflow 0
		.amdhsa_tg_split 0
		.amdhsa_exception_fp_ieee_invalid_op 0
		.amdhsa_exception_fp_denorm_src 0
		.amdhsa_exception_fp_ieee_div_zero 0
		.amdhsa_exception_fp_ieee_overflow 0
		.amdhsa_exception_fp_ieee_underflow 0
		.amdhsa_exception_fp_ieee_inexact 0
		.amdhsa_exception_int_div_zero 0
	.end_amdhsa_kernel
	.section	.text._ZN7rocprim17ROCPRIM_400000_NS6detail17trampoline_kernelINS0_14default_configENS1_27lower_bound_config_selectorIjlEEZNS1_14transform_implILb0ES3_S5_N6thrust23THRUST_200600_302600_NS17counting_iteratorIjNS8_11use_defaultESA_SA_EEPlZNS1_13binary_searchIS3_S5_PjSB_SC_NS1_21lower_bound_search_opENS8_6detail16wrapped_functionI11custom_lessbEEEE10hipError_tPvRmT1_T2_T3_mmT4_T5_P12ihipStream_tbEUlRKjE_EESK_SO_SP_mSQ_ST_bEUlT_E_NS1_11comp_targetILNS1_3genE8ELNS1_11target_archE1030ELNS1_3gpuE2ELNS1_3repE0EEENS1_30default_config_static_selectorELNS0_4arch9wavefront6targetE1EEEvSN_,"axG",@progbits,_ZN7rocprim17ROCPRIM_400000_NS6detail17trampoline_kernelINS0_14default_configENS1_27lower_bound_config_selectorIjlEEZNS1_14transform_implILb0ES3_S5_N6thrust23THRUST_200600_302600_NS17counting_iteratorIjNS8_11use_defaultESA_SA_EEPlZNS1_13binary_searchIS3_S5_PjSB_SC_NS1_21lower_bound_search_opENS8_6detail16wrapped_functionI11custom_lessbEEEE10hipError_tPvRmT1_T2_T3_mmT4_T5_P12ihipStream_tbEUlRKjE_EESK_SO_SP_mSQ_ST_bEUlT_E_NS1_11comp_targetILNS1_3genE8ELNS1_11target_archE1030ELNS1_3gpuE2ELNS1_3repE0EEENS1_30default_config_static_selectorELNS0_4arch9wavefront6targetE1EEEvSN_,comdat
.Lfunc_end44:
	.size	_ZN7rocprim17ROCPRIM_400000_NS6detail17trampoline_kernelINS0_14default_configENS1_27lower_bound_config_selectorIjlEEZNS1_14transform_implILb0ES3_S5_N6thrust23THRUST_200600_302600_NS17counting_iteratorIjNS8_11use_defaultESA_SA_EEPlZNS1_13binary_searchIS3_S5_PjSB_SC_NS1_21lower_bound_search_opENS8_6detail16wrapped_functionI11custom_lessbEEEE10hipError_tPvRmT1_T2_T3_mmT4_T5_P12ihipStream_tbEUlRKjE_EESK_SO_SP_mSQ_ST_bEUlT_E_NS1_11comp_targetILNS1_3genE8ELNS1_11target_archE1030ELNS1_3gpuE2ELNS1_3repE0EEENS1_30default_config_static_selectorELNS0_4arch9wavefront6targetE1EEEvSN_, .Lfunc_end44-_ZN7rocprim17ROCPRIM_400000_NS6detail17trampoline_kernelINS0_14default_configENS1_27lower_bound_config_selectorIjlEEZNS1_14transform_implILb0ES3_S5_N6thrust23THRUST_200600_302600_NS17counting_iteratorIjNS8_11use_defaultESA_SA_EEPlZNS1_13binary_searchIS3_S5_PjSB_SC_NS1_21lower_bound_search_opENS8_6detail16wrapped_functionI11custom_lessbEEEE10hipError_tPvRmT1_T2_T3_mmT4_T5_P12ihipStream_tbEUlRKjE_EESK_SO_SP_mSQ_ST_bEUlT_E_NS1_11comp_targetILNS1_3genE8ELNS1_11target_archE1030ELNS1_3gpuE2ELNS1_3repE0EEENS1_30default_config_static_selectorELNS0_4arch9wavefront6targetE1EEEvSN_
                                        ; -- End function
	.section	.AMDGPU.csdata,"",@progbits
; Kernel info:
; codeLenInByte = 0
; NumSgprs: 4
; NumVgprs: 0
; NumAgprs: 0
; TotalNumVgprs: 0
; ScratchSize: 0
; MemoryBound: 0
; FloatMode: 240
; IeeeMode: 1
; LDSByteSize: 0 bytes/workgroup (compile time only)
; SGPRBlocks: 0
; VGPRBlocks: 0
; NumSGPRsForWavesPerEU: 4
; NumVGPRsForWavesPerEU: 1
; AccumOffset: 4
; Occupancy: 8
; WaveLimiterHint : 0
; COMPUTE_PGM_RSRC2:SCRATCH_EN: 0
; COMPUTE_PGM_RSRC2:USER_SGPR: 6
; COMPUTE_PGM_RSRC2:TRAP_HANDLER: 0
; COMPUTE_PGM_RSRC2:TGID_X_EN: 1
; COMPUTE_PGM_RSRC2:TGID_Y_EN: 0
; COMPUTE_PGM_RSRC2:TGID_Z_EN: 0
; COMPUTE_PGM_RSRC2:TIDIG_COMP_CNT: 0
; COMPUTE_PGM_RSRC3_GFX90A:ACCUM_OFFSET: 0
; COMPUTE_PGM_RSRC3_GFX90A:TG_SPLIT: 0
	.section	.text._ZN6thrust23THRUST_200600_302600_NS11hip_rocprim14__parallel_for6kernelILj256ENS1_20__uninitialized_fill7functorINS0_10device_ptrItEEtEEmLj1EEEvT0_T1_SA_,"axG",@progbits,_ZN6thrust23THRUST_200600_302600_NS11hip_rocprim14__parallel_for6kernelILj256ENS1_20__uninitialized_fill7functorINS0_10device_ptrItEEtEEmLj1EEEvT0_T1_SA_,comdat
	.protected	_ZN6thrust23THRUST_200600_302600_NS11hip_rocprim14__parallel_for6kernelILj256ENS1_20__uninitialized_fill7functorINS0_10device_ptrItEEtEEmLj1EEEvT0_T1_SA_ ; -- Begin function _ZN6thrust23THRUST_200600_302600_NS11hip_rocprim14__parallel_for6kernelILj256ENS1_20__uninitialized_fill7functorINS0_10device_ptrItEEtEEmLj1EEEvT0_T1_SA_
	.globl	_ZN6thrust23THRUST_200600_302600_NS11hip_rocprim14__parallel_for6kernelILj256ENS1_20__uninitialized_fill7functorINS0_10device_ptrItEEtEEmLj1EEEvT0_T1_SA_
	.p2align	8
	.type	_ZN6thrust23THRUST_200600_302600_NS11hip_rocprim14__parallel_for6kernelILj256ENS1_20__uninitialized_fill7functorINS0_10device_ptrItEEtEEmLj1EEEvT0_T1_SA_,@function
_ZN6thrust23THRUST_200600_302600_NS11hip_rocprim14__parallel_for6kernelILj256ENS1_20__uninitialized_fill7functorINS0_10device_ptrItEEtEEmLj1EEEvT0_T1_SA_: ; @_ZN6thrust23THRUST_200600_302600_NS11hip_rocprim14__parallel_for6kernelILj256ENS1_20__uninitialized_fill7functorINS0_10device_ptrItEEtEEmLj1EEEvT0_T1_SA_
; %bb.0:
	s_load_dwordx4 s[8:11], s[4:5], 0x10
	s_lshl_b32 s0, s6, 8
	v_mov_b32_e32 v2, 0x100
	v_mov_b32_e32 v3, 0
	s_waitcnt lgkmcnt(0)
	s_add_u32 s0, s0, s10
	s_addc_u32 s1, 0, s11
	s_sub_u32 s2, s8, s0
	s_subb_u32 s3, s9, s1
	v_cmp_lt_u64_e32 vcc, s[2:3], v[2:3]
	s_cbranch_vccz .LBB45_2
; %bb.1:
	v_cmp_gt_u32_e32 vcc, s2, v0
	s_and_b64 s[2:3], vcc, exec
	s_cbranch_execz .LBB45_3
	s_branch .LBB45_4
.LBB45_2:
	s_mov_b64 s[2:3], 0
.LBB45_3:
	s_or_b64 s[2:3], s[2:3], exec
.LBB45_4:
	s_and_saveexec_b64 s[6:7], s[2:3]
	s_cbranch_execnz .LBB45_6
; %bb.5:
	s_endpgm
.LBB45_6:
	s_load_dwordx2 s[2:3], s[4:5], 0x0
	s_load_dword s6, s[4:5], 0x8
	s_lshl_b64 s[0:1], s[0:1], 1
	v_mov_b32_e32 v1, 0
	v_lshlrev_b64 v[0:1], 1, v[0:1]
	s_waitcnt lgkmcnt(0)
	s_add_u32 s0, s2, s0
	s_addc_u32 s1, s3, s1
	v_mov_b32_e32 v2, s1
	v_add_co_u32_e32 v0, vcc, s0, v0
	v_addc_co_u32_e32 v1, vcc, v2, v1, vcc
	v_mov_b32_e32 v2, s6
	flat_store_short v[0:1], v2
	s_endpgm
	.section	.rodata,"a",@progbits
	.p2align	6, 0x0
	.amdhsa_kernel _ZN6thrust23THRUST_200600_302600_NS11hip_rocprim14__parallel_for6kernelILj256ENS1_20__uninitialized_fill7functorINS0_10device_ptrItEEtEEmLj1EEEvT0_T1_SA_
		.amdhsa_group_segment_fixed_size 0
		.amdhsa_private_segment_fixed_size 0
		.amdhsa_kernarg_size 32
		.amdhsa_user_sgpr_count 6
		.amdhsa_user_sgpr_private_segment_buffer 1
		.amdhsa_user_sgpr_dispatch_ptr 0
		.amdhsa_user_sgpr_queue_ptr 0
		.amdhsa_user_sgpr_kernarg_segment_ptr 1
		.amdhsa_user_sgpr_dispatch_id 0
		.amdhsa_user_sgpr_flat_scratch_init 0
		.amdhsa_user_sgpr_kernarg_preload_length 0
		.amdhsa_user_sgpr_kernarg_preload_offset 0
		.amdhsa_user_sgpr_private_segment_size 0
		.amdhsa_uses_dynamic_stack 0
		.amdhsa_system_sgpr_private_segment_wavefront_offset 0
		.amdhsa_system_sgpr_workgroup_id_x 1
		.amdhsa_system_sgpr_workgroup_id_y 0
		.amdhsa_system_sgpr_workgroup_id_z 0
		.amdhsa_system_sgpr_workgroup_info 0
		.amdhsa_system_vgpr_workitem_id 0
		.amdhsa_next_free_vgpr 4
		.amdhsa_next_free_sgpr 12
		.amdhsa_accum_offset 4
		.amdhsa_reserve_vcc 1
		.amdhsa_reserve_flat_scratch 0
		.amdhsa_float_round_mode_32 0
		.amdhsa_float_round_mode_16_64 0
		.amdhsa_float_denorm_mode_32 3
		.amdhsa_float_denorm_mode_16_64 3
		.amdhsa_dx10_clamp 1
		.amdhsa_ieee_mode 1
		.amdhsa_fp16_overflow 0
		.amdhsa_tg_split 0
		.amdhsa_exception_fp_ieee_invalid_op 0
		.amdhsa_exception_fp_denorm_src 0
		.amdhsa_exception_fp_ieee_div_zero 0
		.amdhsa_exception_fp_ieee_overflow 0
		.amdhsa_exception_fp_ieee_underflow 0
		.amdhsa_exception_fp_ieee_inexact 0
		.amdhsa_exception_int_div_zero 0
	.end_amdhsa_kernel
	.section	.text._ZN6thrust23THRUST_200600_302600_NS11hip_rocprim14__parallel_for6kernelILj256ENS1_20__uninitialized_fill7functorINS0_10device_ptrItEEtEEmLj1EEEvT0_T1_SA_,"axG",@progbits,_ZN6thrust23THRUST_200600_302600_NS11hip_rocprim14__parallel_for6kernelILj256ENS1_20__uninitialized_fill7functorINS0_10device_ptrItEEtEEmLj1EEEvT0_T1_SA_,comdat
.Lfunc_end45:
	.size	_ZN6thrust23THRUST_200600_302600_NS11hip_rocprim14__parallel_for6kernelILj256ENS1_20__uninitialized_fill7functorINS0_10device_ptrItEEtEEmLj1EEEvT0_T1_SA_, .Lfunc_end45-_ZN6thrust23THRUST_200600_302600_NS11hip_rocprim14__parallel_for6kernelILj256ENS1_20__uninitialized_fill7functorINS0_10device_ptrItEEtEEmLj1EEEvT0_T1_SA_
                                        ; -- End function
	.section	.AMDGPU.csdata,"",@progbits
; Kernel info:
; codeLenInByte = 160
; NumSgprs: 16
; NumVgprs: 4
; NumAgprs: 0
; TotalNumVgprs: 4
; ScratchSize: 0
; MemoryBound: 0
; FloatMode: 240
; IeeeMode: 1
; LDSByteSize: 0 bytes/workgroup (compile time only)
; SGPRBlocks: 1
; VGPRBlocks: 0
; NumSGPRsForWavesPerEU: 16
; NumVGPRsForWavesPerEU: 4
; AccumOffset: 4
; Occupancy: 8
; WaveLimiterHint : 0
; COMPUTE_PGM_RSRC2:SCRATCH_EN: 0
; COMPUTE_PGM_RSRC2:USER_SGPR: 6
; COMPUTE_PGM_RSRC2:TRAP_HANDLER: 0
; COMPUTE_PGM_RSRC2:TGID_X_EN: 1
; COMPUTE_PGM_RSRC2:TGID_Y_EN: 0
; COMPUTE_PGM_RSRC2:TGID_Z_EN: 0
; COMPUTE_PGM_RSRC2:TIDIG_COMP_CNT: 0
; COMPUTE_PGM_RSRC3_GFX90A:ACCUM_OFFSET: 0
; COMPUTE_PGM_RSRC3_GFX90A:TG_SPLIT: 0
	.section	.text._Z18lower_bound_kernelItEvmPT_Pl,"axG",@progbits,_Z18lower_bound_kernelItEvmPT_Pl,comdat
	.protected	_Z18lower_bound_kernelItEvmPT_Pl ; -- Begin function _Z18lower_bound_kernelItEvmPT_Pl
	.globl	_Z18lower_bound_kernelItEvmPT_Pl
	.p2align	8
	.type	_Z18lower_bound_kernelItEvmPT_Pl,@function
_Z18lower_bound_kernelItEvmPT_Pl:       ; @_Z18lower_bound_kernelItEvmPT_Pl
; %bb.0:
	s_load_dwordx4 s[8:11], s[4:5], 0x0
	s_load_dwordx2 s[6:7], s[4:5], 0x10
	v_mov_b32_e32 v0, 0
	s_mov_b64 s[2:3], 0
	v_mov_b32_e32 v1, v0
	s_waitcnt lgkmcnt(0)
	v_cmp_lt_i64_e64 s[0:1], s[8:9], 1
	s_and_b64 s[0:1], exec, s[0:1]
	s_mov_b64 vcc, s[0:1]
	global_store_dwordx2 v0, v[0:1], s[6:7]
	s_cbranch_vccnz .LBB46_3
; %bb.1:
	s_mov_b64 s[4:5], s[8:9]
.LBB46_2:                               ; =>This Inner Loop Header: Depth=1
	s_sub_u32 s12, s4, s2
	s_subb_u32 s13, s5, s3
	s_lshr_b32 s14, s13, 31
	s_add_u32 s12, s12, s14
	s_addc_u32 s13, s13, 0
	s_ashr_i64 s[12:13], s[12:13], 1
	s_add_u32 s12, s12, s2
	s_addc_u32 s13, s13, s3
	s_lshl_b64 s[14:15], s[12:13], 1
	s_add_u32 s14, s10, s14
	s_addc_u32 s15, s11, s15
	global_load_ushort v1, v0, s[14:15]
	s_add_u32 s16, s12, 1
	s_addc_u32 s17, s13, 0
	s_waitcnt vmcnt(0)
	v_cmp_eq_u16_e32 vcc, 0, v1
	s_and_b64 s[14:15], vcc, exec
	s_cselect_b32 s5, s5, s13
	s_cselect_b32 s4, s4, s12
	s_cselect_b32 s3, s17, s3
	s_cselect_b32 s2, s16, s2
	v_pk_mov_b32 v[2:3], s[4:5], s[4:5] op_sel:[0,1]
	v_cmp_lt_i64_e32 vcc, s[2:3], v[2:3]
	s_cbranch_vccnz .LBB46_2
.LBB46_3:
	v_cmp_gt_i64_e64 s[4:5], s[8:9], 0
	v_cndmask_b32_e64 v1, 0, 1, s[4:5]
	v_mov_b32_e32 v0, 0
	v_pk_mov_b32 v[2:3], s[2:3], s[2:3] op_sel:[0,1]
	v_cmp_ne_u32_e64 s[2:3], 1, v1
	s_andn2_b64 vcc, exec, s[4:5]
	s_mov_b64 s[4:5], 0
	global_store_dwordx2 v0, v[2:3], s[6:7] offset:8
	s_cbranch_vccnz .LBB46_6
; %bb.4:
	s_mov_b64 s[12:13], s[8:9]
.LBB46_5:                               ; =>This Inner Loop Header: Depth=1
	s_sub_u32 s14, s12, s4
	s_subb_u32 s15, s13, s5
	s_lshr_b32 s16, s15, 31
	s_add_u32 s14, s14, s16
	s_addc_u32 s15, s15, 0
	s_ashr_i64 s[14:15], s[14:15], 1
	s_add_u32 s14, s14, s4
	s_addc_u32 s15, s15, s5
	s_lshl_b64 s[16:17], s[14:15], 1
	s_add_u32 s16, s10, s16
	s_addc_u32 s17, s11, s17
	global_load_ushort v1, v0, s[16:17]
	s_add_u32 s18, s14, 1
	s_addc_u32 s19, s15, 0
	s_waitcnt vmcnt(0)
	v_cmp_gt_u16_e32 vcc, 2, v1
	s_and_b64 s[16:17], vcc, exec
	s_cselect_b32 s13, s13, s15
	s_cselect_b32 s12, s12, s14
	;; [unrolled: 1-line block ×4, first 2 shown]
	v_pk_mov_b32 v[2:3], s[12:13], s[12:13] op_sel:[0,1]
	v_cmp_lt_i64_e32 vcc, s[4:5], v[2:3]
	s_cbranch_vccnz .LBB46_5
.LBB46_6:
	v_mov_b32_e32 v0, 0
	v_pk_mov_b32 v[2:3], s[4:5], s[4:5] op_sel:[0,1]
	s_and_b64 vcc, exec, s[2:3]
	s_mov_b64 s[4:5], 0
	global_store_dwordx2 v0, v[2:3], s[6:7] offset:16
	s_cbranch_vccnz .LBB46_9
; %bb.7:
	s_mov_b64 s[12:13], s[8:9]
.LBB46_8:                               ; =>This Inner Loop Header: Depth=1
	s_sub_u32 s14, s12, s4
	s_subb_u32 s15, s13, s5
	s_lshr_b32 s16, s15, 31
	s_add_u32 s14, s14, s16
	s_addc_u32 s15, s15, 0
	s_ashr_i64 s[14:15], s[14:15], 1
	s_add_u32 s14, s14, s4
	s_addc_u32 s15, s15, s5
	s_lshl_b64 s[16:17], s[14:15], 1
	s_add_u32 s16, s10, s16
	s_addc_u32 s17, s11, s17
	global_load_ushort v1, v0, s[16:17]
	s_add_u32 s18, s14, 1
	s_addc_u32 s19, s15, 0
	s_waitcnt vmcnt(0)
	v_cmp_gt_u16_e32 vcc, 3, v1
	s_and_b64 s[16:17], vcc, exec
	s_cselect_b32 s13, s13, s15
	s_cselect_b32 s12, s12, s14
	;; [unrolled: 1-line block ×4, first 2 shown]
	v_pk_mov_b32 v[2:3], s[12:13], s[12:13] op_sel:[0,1]
	v_cmp_lt_i64_e32 vcc, s[4:5], v[2:3]
	s_cbranch_vccnz .LBB46_8
.LBB46_9:
	v_mov_b32_e32 v0, 0
	v_pk_mov_b32 v[2:3], s[4:5], s[4:5] op_sel:[0,1]
	s_and_b64 vcc, exec, s[2:3]
	s_mov_b64 s[4:5], 0
	global_store_dwordx2 v0, v[2:3], s[6:7] offset:24
	s_cbranch_vccnz .LBB46_12
; %bb.10:
	s_mov_b64 s[12:13], s[8:9]
.LBB46_11:                              ; =>This Inner Loop Header: Depth=1
	s_sub_u32 s14, s12, s4
	s_subb_u32 s15, s13, s5
	s_lshr_b32 s16, s15, 31
	s_add_u32 s14, s14, s16
	s_addc_u32 s15, s15, 0
	s_ashr_i64 s[14:15], s[14:15], 1
	s_add_u32 s14, s14, s4
	s_addc_u32 s15, s15, s5
	s_lshl_b64 s[16:17], s[14:15], 1
	s_add_u32 s16, s10, s16
	s_addc_u32 s17, s11, s17
	global_load_ushort v1, v0, s[16:17]
	s_add_u32 s18, s14, 1
	s_addc_u32 s19, s15, 0
	s_waitcnt vmcnt(0)
	v_cmp_gt_u16_e32 vcc, 4, v1
	s_and_b64 s[16:17], vcc, exec
	s_cselect_b32 s13, s13, s15
	s_cselect_b32 s12, s12, s14
	s_cselect_b32 s5, s19, s5
	s_cselect_b32 s4, s18, s4
	v_pk_mov_b32 v[2:3], s[12:13], s[12:13] op_sel:[0,1]
	v_cmp_lt_i64_e32 vcc, s[4:5], v[2:3]
	s_cbranch_vccnz .LBB46_11
.LBB46_12:
	v_mov_b32_e32 v0, 0
	v_pk_mov_b32 v[2:3], s[4:5], s[4:5] op_sel:[0,1]
	s_and_b64 vcc, exec, s[2:3]
	s_mov_b64 s[4:5], 0
	global_store_dwordx2 v0, v[2:3], s[6:7] offset:32
	s_cbranch_vccnz .LBB46_15
; %bb.13:
	s_mov_b64 s[12:13], s[8:9]
.LBB46_14:                              ; =>This Inner Loop Header: Depth=1
	s_sub_u32 s14, s12, s4
	s_subb_u32 s15, s13, s5
	s_lshr_b32 s16, s15, 31
	s_add_u32 s14, s14, s16
	s_addc_u32 s15, s15, 0
	s_ashr_i64 s[14:15], s[14:15], 1
	s_add_u32 s14, s14, s4
	s_addc_u32 s15, s15, s5
	s_lshl_b64 s[16:17], s[14:15], 1
	s_add_u32 s16, s10, s16
	s_addc_u32 s17, s11, s17
	global_load_ushort v1, v0, s[16:17]
	s_add_u32 s18, s14, 1
	s_addc_u32 s19, s15, 0
	s_waitcnt vmcnt(0)
	v_cmp_gt_u16_e32 vcc, 5, v1
	s_and_b64 s[16:17], vcc, exec
	s_cselect_b32 s13, s13, s15
	s_cselect_b32 s12, s12, s14
	s_cselect_b32 s5, s19, s5
	s_cselect_b32 s4, s18, s4
	v_pk_mov_b32 v[2:3], s[12:13], s[12:13] op_sel:[0,1]
	v_cmp_lt_i64_e32 vcc, s[4:5], v[2:3]
	s_cbranch_vccnz .LBB46_14
.LBB46_15:
	;; [unrolled: 34-line block ×4, first 2 shown]
	v_mov_b32_e32 v0, 0
	v_pk_mov_b32 v[2:3], s[2:3], s[2:3] op_sel:[0,1]
	s_mov_b64 vcc, s[0:1]
	global_store_dwordx2 v0, v[2:3], s[6:7] offset:56
	s_cbranch_vccz .LBB46_23
; %bb.22:
	v_mov_b32_e32 v1, v0
	global_store_dwordx2 v0, v[0:1], s[6:7] offset:64
	s_mov_b64 s[0:1], 0
	s_cbranch_execz .LBB46_24
	s_branch .LBB46_28
.LBB46_23:
                                        ; implicit-def: $sgpr0_sgpr1
.LBB46_24:
	s_mov_b64 s[0:1], 0
	v_mov_b32_e32 v0, 0
	s_mov_b64 s[2:3], s[8:9]
.LBB46_25:                              ; =>This Inner Loop Header: Depth=1
	s_sub_u32 s4, s2, s0
	s_subb_u32 s5, s3, s1
	s_lshr_b32 s12, s5, 31
	s_add_u32 s4, s4, s12
	s_addc_u32 s5, s5, 0
	s_ashr_i64 s[4:5], s[4:5], 1
	s_add_u32 s4, s4, s0
	s_addc_u32 s5, s5, s1
	s_lshl_b64 s[12:13], s[4:5], 1
	s_add_u32 s12, s10, s12
	s_addc_u32 s13, s11, s13
	global_load_ushort v1, v0, s[12:13]
	s_add_u32 s14, s4, 1
	s_addc_u32 s15, s5, 0
	s_waitcnt vmcnt(0)
	v_cmp_gt_u16_e32 vcc, 8, v1
	s_and_b64 s[12:13], vcc, exec
	s_cselect_b32 s3, s3, s5
	s_cselect_b32 s2, s2, s4
	;; [unrolled: 1-line block ×4, first 2 shown]
	v_pk_mov_b32 v[2:3], s[2:3], s[2:3] op_sel:[0,1]
	v_cmp_lt_i64_e32 vcc, s[0:1], v[2:3]
	s_cbranch_vccnz .LBB46_25
; %bb.26:
	v_mov_b32_e32 v0, 0
	v_pk_mov_b32 v[2:3], s[0:1], s[0:1] op_sel:[0,1]
	s_mov_b64 s[0:1], 0
	global_store_dwordx2 v0, v[2:3], s[6:7] offset:64
.LBB46_27:                              ; =>This Inner Loop Header: Depth=1
	s_sub_u32 s2, s8, s0
	s_subb_u32 s3, s9, s1
	s_lshr_b32 s4, s3, 31
	s_add_u32 s2, s2, s4
	s_addc_u32 s3, s3, 0
	s_ashr_i64 s[2:3], s[2:3], 1
	s_add_u32 s2, s2, s0
	s_addc_u32 s3, s3, s1
	s_lshl_b64 s[4:5], s[2:3], 1
	s_add_u32 s4, s10, s4
	s_addc_u32 s5, s11, s5
	global_load_ushort v1, v0, s[4:5]
	s_add_u32 s12, s2, 1
	s_addc_u32 s13, s3, 0
	s_waitcnt vmcnt(0)
	v_cmp_gt_u16_e32 vcc, 9, v1
	s_and_b64 s[4:5], vcc, exec
	s_cselect_b32 s9, s9, s3
	s_cselect_b32 s8, s8, s2
	;; [unrolled: 1-line block ×4, first 2 shown]
	v_pk_mov_b32 v[2:3], s[8:9], s[8:9] op_sel:[0,1]
	v_cmp_ge_i64_e32 vcc, s[0:1], v[2:3]
	s_cbranch_vccz .LBB46_27
.LBB46_28:
	v_mov_b32_e32 v2, 0
	v_pk_mov_b32 v[0:1], s[0:1], s[0:1] op_sel:[0,1]
	global_store_dwordx2 v2, v[0:1], s[6:7] offset:72
	s_endpgm
	.section	.rodata,"a",@progbits
	.p2align	6, 0x0
	.amdhsa_kernel _Z18lower_bound_kernelItEvmPT_Pl
		.amdhsa_group_segment_fixed_size 0
		.amdhsa_private_segment_fixed_size 0
		.amdhsa_kernarg_size 24
		.amdhsa_user_sgpr_count 6
		.amdhsa_user_sgpr_private_segment_buffer 1
		.amdhsa_user_sgpr_dispatch_ptr 0
		.amdhsa_user_sgpr_queue_ptr 0
		.amdhsa_user_sgpr_kernarg_segment_ptr 1
		.amdhsa_user_sgpr_dispatch_id 0
		.amdhsa_user_sgpr_flat_scratch_init 0
		.amdhsa_user_sgpr_kernarg_preload_length 0
		.amdhsa_user_sgpr_kernarg_preload_offset 0
		.amdhsa_user_sgpr_private_segment_size 0
		.amdhsa_uses_dynamic_stack 0
		.amdhsa_system_sgpr_private_segment_wavefront_offset 0
		.amdhsa_system_sgpr_workgroup_id_x 1
		.amdhsa_system_sgpr_workgroup_id_y 0
		.amdhsa_system_sgpr_workgroup_id_z 0
		.amdhsa_system_sgpr_workgroup_info 0
		.amdhsa_system_vgpr_workitem_id 0
		.amdhsa_next_free_vgpr 4
		.amdhsa_next_free_sgpr 20
		.amdhsa_accum_offset 4
		.amdhsa_reserve_vcc 1
		.amdhsa_reserve_flat_scratch 0
		.amdhsa_float_round_mode_32 0
		.amdhsa_float_round_mode_16_64 0
		.amdhsa_float_denorm_mode_32 3
		.amdhsa_float_denorm_mode_16_64 3
		.amdhsa_dx10_clamp 1
		.amdhsa_ieee_mode 1
		.amdhsa_fp16_overflow 0
		.amdhsa_tg_split 0
		.amdhsa_exception_fp_ieee_invalid_op 0
		.amdhsa_exception_fp_denorm_src 0
		.amdhsa_exception_fp_ieee_div_zero 0
		.amdhsa_exception_fp_ieee_overflow 0
		.amdhsa_exception_fp_ieee_underflow 0
		.amdhsa_exception_fp_ieee_inexact 0
		.amdhsa_exception_int_div_zero 0
	.end_amdhsa_kernel
	.section	.text._Z18lower_bound_kernelItEvmPT_Pl,"axG",@progbits,_Z18lower_bound_kernelItEvmPT_Pl,comdat
.Lfunc_end46:
	.size	_Z18lower_bound_kernelItEvmPT_Pl, .Lfunc_end46-_Z18lower_bound_kernelItEvmPT_Pl
                                        ; -- End function
	.section	.AMDGPU.csdata,"",@progbits
; Kernel info:
; codeLenInByte = 1352
; NumSgprs: 24
; NumVgprs: 4
; NumAgprs: 0
; TotalNumVgprs: 4
; ScratchSize: 0
; MemoryBound: 0
; FloatMode: 240
; IeeeMode: 1
; LDSByteSize: 0 bytes/workgroup (compile time only)
; SGPRBlocks: 2
; VGPRBlocks: 0
; NumSGPRsForWavesPerEU: 24
; NumVGPRsForWavesPerEU: 4
; AccumOffset: 4
; Occupancy: 8
; WaveLimiterHint : 0
; COMPUTE_PGM_RSRC2:SCRATCH_EN: 0
; COMPUTE_PGM_RSRC2:USER_SGPR: 6
; COMPUTE_PGM_RSRC2:TRAP_HANDLER: 0
; COMPUTE_PGM_RSRC2:TGID_X_EN: 1
; COMPUTE_PGM_RSRC2:TGID_Y_EN: 0
; COMPUTE_PGM_RSRC2:TGID_Z_EN: 0
; COMPUTE_PGM_RSRC2:TIDIG_COMP_CNT: 0
; COMPUTE_PGM_RSRC3_GFX90A:ACCUM_OFFSET: 0
; COMPUTE_PGM_RSRC3_GFX90A:TG_SPLIT: 0
	.section	.text._ZN7rocprim17ROCPRIM_400000_NS6detail17trampoline_kernelINS0_14default_configENS1_27lower_bound_config_selectorItlEEZNS1_14transform_implILb0ES3_S5_N6thrust23THRUST_200600_302600_NS17counting_iteratorItNS8_11use_defaultESA_SA_EEPlZNS1_13binary_searchIS3_S5_PtSB_SC_NS1_21lower_bound_search_opENS8_6detail16wrapped_functionI11custom_lessbEEEE10hipError_tPvRmT1_T2_T3_mmT4_T5_P12ihipStream_tbEUlRKtE_EESK_SO_SP_mSQ_ST_bEUlT_E_NS1_11comp_targetILNS1_3genE0ELNS1_11target_archE4294967295ELNS1_3gpuE0ELNS1_3repE0EEENS1_30default_config_static_selectorELNS0_4arch9wavefront6targetE1EEEvSN_,"axG",@progbits,_ZN7rocprim17ROCPRIM_400000_NS6detail17trampoline_kernelINS0_14default_configENS1_27lower_bound_config_selectorItlEEZNS1_14transform_implILb0ES3_S5_N6thrust23THRUST_200600_302600_NS17counting_iteratorItNS8_11use_defaultESA_SA_EEPlZNS1_13binary_searchIS3_S5_PtSB_SC_NS1_21lower_bound_search_opENS8_6detail16wrapped_functionI11custom_lessbEEEE10hipError_tPvRmT1_T2_T3_mmT4_T5_P12ihipStream_tbEUlRKtE_EESK_SO_SP_mSQ_ST_bEUlT_E_NS1_11comp_targetILNS1_3genE0ELNS1_11target_archE4294967295ELNS1_3gpuE0ELNS1_3repE0EEENS1_30default_config_static_selectorELNS0_4arch9wavefront6targetE1EEEvSN_,comdat
	.protected	_ZN7rocprim17ROCPRIM_400000_NS6detail17trampoline_kernelINS0_14default_configENS1_27lower_bound_config_selectorItlEEZNS1_14transform_implILb0ES3_S5_N6thrust23THRUST_200600_302600_NS17counting_iteratorItNS8_11use_defaultESA_SA_EEPlZNS1_13binary_searchIS3_S5_PtSB_SC_NS1_21lower_bound_search_opENS8_6detail16wrapped_functionI11custom_lessbEEEE10hipError_tPvRmT1_T2_T3_mmT4_T5_P12ihipStream_tbEUlRKtE_EESK_SO_SP_mSQ_ST_bEUlT_E_NS1_11comp_targetILNS1_3genE0ELNS1_11target_archE4294967295ELNS1_3gpuE0ELNS1_3repE0EEENS1_30default_config_static_selectorELNS0_4arch9wavefront6targetE1EEEvSN_ ; -- Begin function _ZN7rocprim17ROCPRIM_400000_NS6detail17trampoline_kernelINS0_14default_configENS1_27lower_bound_config_selectorItlEEZNS1_14transform_implILb0ES3_S5_N6thrust23THRUST_200600_302600_NS17counting_iteratorItNS8_11use_defaultESA_SA_EEPlZNS1_13binary_searchIS3_S5_PtSB_SC_NS1_21lower_bound_search_opENS8_6detail16wrapped_functionI11custom_lessbEEEE10hipError_tPvRmT1_T2_T3_mmT4_T5_P12ihipStream_tbEUlRKtE_EESK_SO_SP_mSQ_ST_bEUlT_E_NS1_11comp_targetILNS1_3genE0ELNS1_11target_archE4294967295ELNS1_3gpuE0ELNS1_3repE0EEENS1_30default_config_static_selectorELNS0_4arch9wavefront6targetE1EEEvSN_
	.globl	_ZN7rocprim17ROCPRIM_400000_NS6detail17trampoline_kernelINS0_14default_configENS1_27lower_bound_config_selectorItlEEZNS1_14transform_implILb0ES3_S5_N6thrust23THRUST_200600_302600_NS17counting_iteratorItNS8_11use_defaultESA_SA_EEPlZNS1_13binary_searchIS3_S5_PtSB_SC_NS1_21lower_bound_search_opENS8_6detail16wrapped_functionI11custom_lessbEEEE10hipError_tPvRmT1_T2_T3_mmT4_T5_P12ihipStream_tbEUlRKtE_EESK_SO_SP_mSQ_ST_bEUlT_E_NS1_11comp_targetILNS1_3genE0ELNS1_11target_archE4294967295ELNS1_3gpuE0ELNS1_3repE0EEENS1_30default_config_static_selectorELNS0_4arch9wavefront6targetE1EEEvSN_
	.p2align	8
	.type	_ZN7rocprim17ROCPRIM_400000_NS6detail17trampoline_kernelINS0_14default_configENS1_27lower_bound_config_selectorItlEEZNS1_14transform_implILb0ES3_S5_N6thrust23THRUST_200600_302600_NS17counting_iteratorItNS8_11use_defaultESA_SA_EEPlZNS1_13binary_searchIS3_S5_PtSB_SC_NS1_21lower_bound_search_opENS8_6detail16wrapped_functionI11custom_lessbEEEE10hipError_tPvRmT1_T2_T3_mmT4_T5_P12ihipStream_tbEUlRKtE_EESK_SO_SP_mSQ_ST_bEUlT_E_NS1_11comp_targetILNS1_3genE0ELNS1_11target_archE4294967295ELNS1_3gpuE0ELNS1_3repE0EEENS1_30default_config_static_selectorELNS0_4arch9wavefront6targetE1EEEvSN_,@function
_ZN7rocprim17ROCPRIM_400000_NS6detail17trampoline_kernelINS0_14default_configENS1_27lower_bound_config_selectorItlEEZNS1_14transform_implILb0ES3_S5_N6thrust23THRUST_200600_302600_NS17counting_iteratorItNS8_11use_defaultESA_SA_EEPlZNS1_13binary_searchIS3_S5_PtSB_SC_NS1_21lower_bound_search_opENS8_6detail16wrapped_functionI11custom_lessbEEEE10hipError_tPvRmT1_T2_T3_mmT4_T5_P12ihipStream_tbEUlRKtE_EESK_SO_SP_mSQ_ST_bEUlT_E_NS1_11comp_targetILNS1_3genE0ELNS1_11target_archE4294967295ELNS1_3gpuE0ELNS1_3repE0EEENS1_30default_config_static_selectorELNS0_4arch9wavefront6targetE1EEEvSN_: ; @_ZN7rocprim17ROCPRIM_400000_NS6detail17trampoline_kernelINS0_14default_configENS1_27lower_bound_config_selectorItlEEZNS1_14transform_implILb0ES3_S5_N6thrust23THRUST_200600_302600_NS17counting_iteratorItNS8_11use_defaultESA_SA_EEPlZNS1_13binary_searchIS3_S5_PtSB_SC_NS1_21lower_bound_search_opENS8_6detail16wrapped_functionI11custom_lessbEEEE10hipError_tPvRmT1_T2_T3_mmT4_T5_P12ihipStream_tbEUlRKtE_EESK_SO_SP_mSQ_ST_bEUlT_E_NS1_11comp_targetILNS1_3genE0ELNS1_11target_archE4294967295ELNS1_3gpuE0ELNS1_3repE0EEENS1_30default_config_static_selectorELNS0_4arch9wavefront6targetE1EEEvSN_
; %bb.0:
	.section	.rodata,"a",@progbits
	.p2align	6, 0x0
	.amdhsa_kernel _ZN7rocprim17ROCPRIM_400000_NS6detail17trampoline_kernelINS0_14default_configENS1_27lower_bound_config_selectorItlEEZNS1_14transform_implILb0ES3_S5_N6thrust23THRUST_200600_302600_NS17counting_iteratorItNS8_11use_defaultESA_SA_EEPlZNS1_13binary_searchIS3_S5_PtSB_SC_NS1_21lower_bound_search_opENS8_6detail16wrapped_functionI11custom_lessbEEEE10hipError_tPvRmT1_T2_T3_mmT4_T5_P12ihipStream_tbEUlRKtE_EESK_SO_SP_mSQ_ST_bEUlT_E_NS1_11comp_targetILNS1_3genE0ELNS1_11target_archE4294967295ELNS1_3gpuE0ELNS1_3repE0EEENS1_30default_config_static_selectorELNS0_4arch9wavefront6targetE1EEEvSN_
		.amdhsa_group_segment_fixed_size 0
		.amdhsa_private_segment_fixed_size 0
		.amdhsa_kernarg_size 56
		.amdhsa_user_sgpr_count 6
		.amdhsa_user_sgpr_private_segment_buffer 1
		.amdhsa_user_sgpr_dispatch_ptr 0
		.amdhsa_user_sgpr_queue_ptr 0
		.amdhsa_user_sgpr_kernarg_segment_ptr 1
		.amdhsa_user_sgpr_dispatch_id 0
		.amdhsa_user_sgpr_flat_scratch_init 0
		.amdhsa_user_sgpr_kernarg_preload_length 0
		.amdhsa_user_sgpr_kernarg_preload_offset 0
		.amdhsa_user_sgpr_private_segment_size 0
		.amdhsa_uses_dynamic_stack 0
		.amdhsa_system_sgpr_private_segment_wavefront_offset 0
		.amdhsa_system_sgpr_workgroup_id_x 1
		.amdhsa_system_sgpr_workgroup_id_y 0
		.amdhsa_system_sgpr_workgroup_id_z 0
		.amdhsa_system_sgpr_workgroup_info 0
		.amdhsa_system_vgpr_workitem_id 0
		.amdhsa_next_free_vgpr 1
		.amdhsa_next_free_sgpr 0
		.amdhsa_accum_offset 4
		.amdhsa_reserve_vcc 0
		.amdhsa_reserve_flat_scratch 0
		.amdhsa_float_round_mode_32 0
		.amdhsa_float_round_mode_16_64 0
		.amdhsa_float_denorm_mode_32 3
		.amdhsa_float_denorm_mode_16_64 3
		.amdhsa_dx10_clamp 1
		.amdhsa_ieee_mode 1
		.amdhsa_fp16_overflow 0
		.amdhsa_tg_split 0
		.amdhsa_exception_fp_ieee_invalid_op 0
		.amdhsa_exception_fp_denorm_src 0
		.amdhsa_exception_fp_ieee_div_zero 0
		.amdhsa_exception_fp_ieee_overflow 0
		.amdhsa_exception_fp_ieee_underflow 0
		.amdhsa_exception_fp_ieee_inexact 0
		.amdhsa_exception_int_div_zero 0
	.end_amdhsa_kernel
	.section	.text._ZN7rocprim17ROCPRIM_400000_NS6detail17trampoline_kernelINS0_14default_configENS1_27lower_bound_config_selectorItlEEZNS1_14transform_implILb0ES3_S5_N6thrust23THRUST_200600_302600_NS17counting_iteratorItNS8_11use_defaultESA_SA_EEPlZNS1_13binary_searchIS3_S5_PtSB_SC_NS1_21lower_bound_search_opENS8_6detail16wrapped_functionI11custom_lessbEEEE10hipError_tPvRmT1_T2_T3_mmT4_T5_P12ihipStream_tbEUlRKtE_EESK_SO_SP_mSQ_ST_bEUlT_E_NS1_11comp_targetILNS1_3genE0ELNS1_11target_archE4294967295ELNS1_3gpuE0ELNS1_3repE0EEENS1_30default_config_static_selectorELNS0_4arch9wavefront6targetE1EEEvSN_,"axG",@progbits,_ZN7rocprim17ROCPRIM_400000_NS6detail17trampoline_kernelINS0_14default_configENS1_27lower_bound_config_selectorItlEEZNS1_14transform_implILb0ES3_S5_N6thrust23THRUST_200600_302600_NS17counting_iteratorItNS8_11use_defaultESA_SA_EEPlZNS1_13binary_searchIS3_S5_PtSB_SC_NS1_21lower_bound_search_opENS8_6detail16wrapped_functionI11custom_lessbEEEE10hipError_tPvRmT1_T2_T3_mmT4_T5_P12ihipStream_tbEUlRKtE_EESK_SO_SP_mSQ_ST_bEUlT_E_NS1_11comp_targetILNS1_3genE0ELNS1_11target_archE4294967295ELNS1_3gpuE0ELNS1_3repE0EEENS1_30default_config_static_selectorELNS0_4arch9wavefront6targetE1EEEvSN_,comdat
.Lfunc_end47:
	.size	_ZN7rocprim17ROCPRIM_400000_NS6detail17trampoline_kernelINS0_14default_configENS1_27lower_bound_config_selectorItlEEZNS1_14transform_implILb0ES3_S5_N6thrust23THRUST_200600_302600_NS17counting_iteratorItNS8_11use_defaultESA_SA_EEPlZNS1_13binary_searchIS3_S5_PtSB_SC_NS1_21lower_bound_search_opENS8_6detail16wrapped_functionI11custom_lessbEEEE10hipError_tPvRmT1_T2_T3_mmT4_T5_P12ihipStream_tbEUlRKtE_EESK_SO_SP_mSQ_ST_bEUlT_E_NS1_11comp_targetILNS1_3genE0ELNS1_11target_archE4294967295ELNS1_3gpuE0ELNS1_3repE0EEENS1_30default_config_static_selectorELNS0_4arch9wavefront6targetE1EEEvSN_, .Lfunc_end47-_ZN7rocprim17ROCPRIM_400000_NS6detail17trampoline_kernelINS0_14default_configENS1_27lower_bound_config_selectorItlEEZNS1_14transform_implILb0ES3_S5_N6thrust23THRUST_200600_302600_NS17counting_iteratorItNS8_11use_defaultESA_SA_EEPlZNS1_13binary_searchIS3_S5_PtSB_SC_NS1_21lower_bound_search_opENS8_6detail16wrapped_functionI11custom_lessbEEEE10hipError_tPvRmT1_T2_T3_mmT4_T5_P12ihipStream_tbEUlRKtE_EESK_SO_SP_mSQ_ST_bEUlT_E_NS1_11comp_targetILNS1_3genE0ELNS1_11target_archE4294967295ELNS1_3gpuE0ELNS1_3repE0EEENS1_30default_config_static_selectorELNS0_4arch9wavefront6targetE1EEEvSN_
                                        ; -- End function
	.section	.AMDGPU.csdata,"",@progbits
; Kernel info:
; codeLenInByte = 0
; NumSgprs: 4
; NumVgprs: 0
; NumAgprs: 0
; TotalNumVgprs: 0
; ScratchSize: 0
; MemoryBound: 0
; FloatMode: 240
; IeeeMode: 1
; LDSByteSize: 0 bytes/workgroup (compile time only)
; SGPRBlocks: 0
; VGPRBlocks: 0
; NumSGPRsForWavesPerEU: 4
; NumVGPRsForWavesPerEU: 1
; AccumOffset: 4
; Occupancy: 8
; WaveLimiterHint : 0
; COMPUTE_PGM_RSRC2:SCRATCH_EN: 0
; COMPUTE_PGM_RSRC2:USER_SGPR: 6
; COMPUTE_PGM_RSRC2:TRAP_HANDLER: 0
; COMPUTE_PGM_RSRC2:TGID_X_EN: 1
; COMPUTE_PGM_RSRC2:TGID_Y_EN: 0
; COMPUTE_PGM_RSRC2:TGID_Z_EN: 0
; COMPUTE_PGM_RSRC2:TIDIG_COMP_CNT: 0
; COMPUTE_PGM_RSRC3_GFX90A:ACCUM_OFFSET: 0
; COMPUTE_PGM_RSRC3_GFX90A:TG_SPLIT: 0
	.section	.text._ZN7rocprim17ROCPRIM_400000_NS6detail17trampoline_kernelINS0_14default_configENS1_27lower_bound_config_selectorItlEEZNS1_14transform_implILb0ES3_S5_N6thrust23THRUST_200600_302600_NS17counting_iteratorItNS8_11use_defaultESA_SA_EEPlZNS1_13binary_searchIS3_S5_PtSB_SC_NS1_21lower_bound_search_opENS8_6detail16wrapped_functionI11custom_lessbEEEE10hipError_tPvRmT1_T2_T3_mmT4_T5_P12ihipStream_tbEUlRKtE_EESK_SO_SP_mSQ_ST_bEUlT_E_NS1_11comp_targetILNS1_3genE5ELNS1_11target_archE942ELNS1_3gpuE9ELNS1_3repE0EEENS1_30default_config_static_selectorELNS0_4arch9wavefront6targetE1EEEvSN_,"axG",@progbits,_ZN7rocprim17ROCPRIM_400000_NS6detail17trampoline_kernelINS0_14default_configENS1_27lower_bound_config_selectorItlEEZNS1_14transform_implILb0ES3_S5_N6thrust23THRUST_200600_302600_NS17counting_iteratorItNS8_11use_defaultESA_SA_EEPlZNS1_13binary_searchIS3_S5_PtSB_SC_NS1_21lower_bound_search_opENS8_6detail16wrapped_functionI11custom_lessbEEEE10hipError_tPvRmT1_T2_T3_mmT4_T5_P12ihipStream_tbEUlRKtE_EESK_SO_SP_mSQ_ST_bEUlT_E_NS1_11comp_targetILNS1_3genE5ELNS1_11target_archE942ELNS1_3gpuE9ELNS1_3repE0EEENS1_30default_config_static_selectorELNS0_4arch9wavefront6targetE1EEEvSN_,comdat
	.protected	_ZN7rocprim17ROCPRIM_400000_NS6detail17trampoline_kernelINS0_14default_configENS1_27lower_bound_config_selectorItlEEZNS1_14transform_implILb0ES3_S5_N6thrust23THRUST_200600_302600_NS17counting_iteratorItNS8_11use_defaultESA_SA_EEPlZNS1_13binary_searchIS3_S5_PtSB_SC_NS1_21lower_bound_search_opENS8_6detail16wrapped_functionI11custom_lessbEEEE10hipError_tPvRmT1_T2_T3_mmT4_T5_P12ihipStream_tbEUlRKtE_EESK_SO_SP_mSQ_ST_bEUlT_E_NS1_11comp_targetILNS1_3genE5ELNS1_11target_archE942ELNS1_3gpuE9ELNS1_3repE0EEENS1_30default_config_static_selectorELNS0_4arch9wavefront6targetE1EEEvSN_ ; -- Begin function _ZN7rocprim17ROCPRIM_400000_NS6detail17trampoline_kernelINS0_14default_configENS1_27lower_bound_config_selectorItlEEZNS1_14transform_implILb0ES3_S5_N6thrust23THRUST_200600_302600_NS17counting_iteratorItNS8_11use_defaultESA_SA_EEPlZNS1_13binary_searchIS3_S5_PtSB_SC_NS1_21lower_bound_search_opENS8_6detail16wrapped_functionI11custom_lessbEEEE10hipError_tPvRmT1_T2_T3_mmT4_T5_P12ihipStream_tbEUlRKtE_EESK_SO_SP_mSQ_ST_bEUlT_E_NS1_11comp_targetILNS1_3genE5ELNS1_11target_archE942ELNS1_3gpuE9ELNS1_3repE0EEENS1_30default_config_static_selectorELNS0_4arch9wavefront6targetE1EEEvSN_
	.globl	_ZN7rocprim17ROCPRIM_400000_NS6detail17trampoline_kernelINS0_14default_configENS1_27lower_bound_config_selectorItlEEZNS1_14transform_implILb0ES3_S5_N6thrust23THRUST_200600_302600_NS17counting_iteratorItNS8_11use_defaultESA_SA_EEPlZNS1_13binary_searchIS3_S5_PtSB_SC_NS1_21lower_bound_search_opENS8_6detail16wrapped_functionI11custom_lessbEEEE10hipError_tPvRmT1_T2_T3_mmT4_T5_P12ihipStream_tbEUlRKtE_EESK_SO_SP_mSQ_ST_bEUlT_E_NS1_11comp_targetILNS1_3genE5ELNS1_11target_archE942ELNS1_3gpuE9ELNS1_3repE0EEENS1_30default_config_static_selectorELNS0_4arch9wavefront6targetE1EEEvSN_
	.p2align	8
	.type	_ZN7rocprim17ROCPRIM_400000_NS6detail17trampoline_kernelINS0_14default_configENS1_27lower_bound_config_selectorItlEEZNS1_14transform_implILb0ES3_S5_N6thrust23THRUST_200600_302600_NS17counting_iteratorItNS8_11use_defaultESA_SA_EEPlZNS1_13binary_searchIS3_S5_PtSB_SC_NS1_21lower_bound_search_opENS8_6detail16wrapped_functionI11custom_lessbEEEE10hipError_tPvRmT1_T2_T3_mmT4_T5_P12ihipStream_tbEUlRKtE_EESK_SO_SP_mSQ_ST_bEUlT_E_NS1_11comp_targetILNS1_3genE5ELNS1_11target_archE942ELNS1_3gpuE9ELNS1_3repE0EEENS1_30default_config_static_selectorELNS0_4arch9wavefront6targetE1EEEvSN_,@function
_ZN7rocprim17ROCPRIM_400000_NS6detail17trampoline_kernelINS0_14default_configENS1_27lower_bound_config_selectorItlEEZNS1_14transform_implILb0ES3_S5_N6thrust23THRUST_200600_302600_NS17counting_iteratorItNS8_11use_defaultESA_SA_EEPlZNS1_13binary_searchIS3_S5_PtSB_SC_NS1_21lower_bound_search_opENS8_6detail16wrapped_functionI11custom_lessbEEEE10hipError_tPvRmT1_T2_T3_mmT4_T5_P12ihipStream_tbEUlRKtE_EESK_SO_SP_mSQ_ST_bEUlT_E_NS1_11comp_targetILNS1_3genE5ELNS1_11target_archE942ELNS1_3gpuE9ELNS1_3repE0EEENS1_30default_config_static_selectorELNS0_4arch9wavefront6targetE1EEEvSN_: ; @_ZN7rocprim17ROCPRIM_400000_NS6detail17trampoline_kernelINS0_14default_configENS1_27lower_bound_config_selectorItlEEZNS1_14transform_implILb0ES3_S5_N6thrust23THRUST_200600_302600_NS17counting_iteratorItNS8_11use_defaultESA_SA_EEPlZNS1_13binary_searchIS3_S5_PtSB_SC_NS1_21lower_bound_search_opENS8_6detail16wrapped_functionI11custom_lessbEEEE10hipError_tPvRmT1_T2_T3_mmT4_T5_P12ihipStream_tbEUlRKtE_EESK_SO_SP_mSQ_ST_bEUlT_E_NS1_11comp_targetILNS1_3genE5ELNS1_11target_archE942ELNS1_3gpuE9ELNS1_3repE0EEENS1_30default_config_static_selectorELNS0_4arch9wavefront6targetE1EEEvSN_
; %bb.0:
	.section	.rodata,"a",@progbits
	.p2align	6, 0x0
	.amdhsa_kernel _ZN7rocprim17ROCPRIM_400000_NS6detail17trampoline_kernelINS0_14default_configENS1_27lower_bound_config_selectorItlEEZNS1_14transform_implILb0ES3_S5_N6thrust23THRUST_200600_302600_NS17counting_iteratorItNS8_11use_defaultESA_SA_EEPlZNS1_13binary_searchIS3_S5_PtSB_SC_NS1_21lower_bound_search_opENS8_6detail16wrapped_functionI11custom_lessbEEEE10hipError_tPvRmT1_T2_T3_mmT4_T5_P12ihipStream_tbEUlRKtE_EESK_SO_SP_mSQ_ST_bEUlT_E_NS1_11comp_targetILNS1_3genE5ELNS1_11target_archE942ELNS1_3gpuE9ELNS1_3repE0EEENS1_30default_config_static_selectorELNS0_4arch9wavefront6targetE1EEEvSN_
		.amdhsa_group_segment_fixed_size 0
		.amdhsa_private_segment_fixed_size 0
		.amdhsa_kernarg_size 56
		.amdhsa_user_sgpr_count 6
		.amdhsa_user_sgpr_private_segment_buffer 1
		.amdhsa_user_sgpr_dispatch_ptr 0
		.amdhsa_user_sgpr_queue_ptr 0
		.amdhsa_user_sgpr_kernarg_segment_ptr 1
		.amdhsa_user_sgpr_dispatch_id 0
		.amdhsa_user_sgpr_flat_scratch_init 0
		.amdhsa_user_sgpr_kernarg_preload_length 0
		.amdhsa_user_sgpr_kernarg_preload_offset 0
		.amdhsa_user_sgpr_private_segment_size 0
		.amdhsa_uses_dynamic_stack 0
		.amdhsa_system_sgpr_private_segment_wavefront_offset 0
		.amdhsa_system_sgpr_workgroup_id_x 1
		.amdhsa_system_sgpr_workgroup_id_y 0
		.amdhsa_system_sgpr_workgroup_id_z 0
		.amdhsa_system_sgpr_workgroup_info 0
		.amdhsa_system_vgpr_workitem_id 0
		.amdhsa_next_free_vgpr 1
		.amdhsa_next_free_sgpr 0
		.amdhsa_accum_offset 4
		.amdhsa_reserve_vcc 0
		.amdhsa_reserve_flat_scratch 0
		.amdhsa_float_round_mode_32 0
		.amdhsa_float_round_mode_16_64 0
		.amdhsa_float_denorm_mode_32 3
		.amdhsa_float_denorm_mode_16_64 3
		.amdhsa_dx10_clamp 1
		.amdhsa_ieee_mode 1
		.amdhsa_fp16_overflow 0
		.amdhsa_tg_split 0
		.amdhsa_exception_fp_ieee_invalid_op 0
		.amdhsa_exception_fp_denorm_src 0
		.amdhsa_exception_fp_ieee_div_zero 0
		.amdhsa_exception_fp_ieee_overflow 0
		.amdhsa_exception_fp_ieee_underflow 0
		.amdhsa_exception_fp_ieee_inexact 0
		.amdhsa_exception_int_div_zero 0
	.end_amdhsa_kernel
	.section	.text._ZN7rocprim17ROCPRIM_400000_NS6detail17trampoline_kernelINS0_14default_configENS1_27lower_bound_config_selectorItlEEZNS1_14transform_implILb0ES3_S5_N6thrust23THRUST_200600_302600_NS17counting_iteratorItNS8_11use_defaultESA_SA_EEPlZNS1_13binary_searchIS3_S5_PtSB_SC_NS1_21lower_bound_search_opENS8_6detail16wrapped_functionI11custom_lessbEEEE10hipError_tPvRmT1_T2_T3_mmT4_T5_P12ihipStream_tbEUlRKtE_EESK_SO_SP_mSQ_ST_bEUlT_E_NS1_11comp_targetILNS1_3genE5ELNS1_11target_archE942ELNS1_3gpuE9ELNS1_3repE0EEENS1_30default_config_static_selectorELNS0_4arch9wavefront6targetE1EEEvSN_,"axG",@progbits,_ZN7rocprim17ROCPRIM_400000_NS6detail17trampoline_kernelINS0_14default_configENS1_27lower_bound_config_selectorItlEEZNS1_14transform_implILb0ES3_S5_N6thrust23THRUST_200600_302600_NS17counting_iteratorItNS8_11use_defaultESA_SA_EEPlZNS1_13binary_searchIS3_S5_PtSB_SC_NS1_21lower_bound_search_opENS8_6detail16wrapped_functionI11custom_lessbEEEE10hipError_tPvRmT1_T2_T3_mmT4_T5_P12ihipStream_tbEUlRKtE_EESK_SO_SP_mSQ_ST_bEUlT_E_NS1_11comp_targetILNS1_3genE5ELNS1_11target_archE942ELNS1_3gpuE9ELNS1_3repE0EEENS1_30default_config_static_selectorELNS0_4arch9wavefront6targetE1EEEvSN_,comdat
.Lfunc_end48:
	.size	_ZN7rocprim17ROCPRIM_400000_NS6detail17trampoline_kernelINS0_14default_configENS1_27lower_bound_config_selectorItlEEZNS1_14transform_implILb0ES3_S5_N6thrust23THRUST_200600_302600_NS17counting_iteratorItNS8_11use_defaultESA_SA_EEPlZNS1_13binary_searchIS3_S5_PtSB_SC_NS1_21lower_bound_search_opENS8_6detail16wrapped_functionI11custom_lessbEEEE10hipError_tPvRmT1_T2_T3_mmT4_T5_P12ihipStream_tbEUlRKtE_EESK_SO_SP_mSQ_ST_bEUlT_E_NS1_11comp_targetILNS1_3genE5ELNS1_11target_archE942ELNS1_3gpuE9ELNS1_3repE0EEENS1_30default_config_static_selectorELNS0_4arch9wavefront6targetE1EEEvSN_, .Lfunc_end48-_ZN7rocprim17ROCPRIM_400000_NS6detail17trampoline_kernelINS0_14default_configENS1_27lower_bound_config_selectorItlEEZNS1_14transform_implILb0ES3_S5_N6thrust23THRUST_200600_302600_NS17counting_iteratorItNS8_11use_defaultESA_SA_EEPlZNS1_13binary_searchIS3_S5_PtSB_SC_NS1_21lower_bound_search_opENS8_6detail16wrapped_functionI11custom_lessbEEEE10hipError_tPvRmT1_T2_T3_mmT4_T5_P12ihipStream_tbEUlRKtE_EESK_SO_SP_mSQ_ST_bEUlT_E_NS1_11comp_targetILNS1_3genE5ELNS1_11target_archE942ELNS1_3gpuE9ELNS1_3repE0EEENS1_30default_config_static_selectorELNS0_4arch9wavefront6targetE1EEEvSN_
                                        ; -- End function
	.section	.AMDGPU.csdata,"",@progbits
; Kernel info:
; codeLenInByte = 0
; NumSgprs: 4
; NumVgprs: 0
; NumAgprs: 0
; TotalNumVgprs: 0
; ScratchSize: 0
; MemoryBound: 0
; FloatMode: 240
; IeeeMode: 1
; LDSByteSize: 0 bytes/workgroup (compile time only)
; SGPRBlocks: 0
; VGPRBlocks: 0
; NumSGPRsForWavesPerEU: 4
; NumVGPRsForWavesPerEU: 1
; AccumOffset: 4
; Occupancy: 8
; WaveLimiterHint : 0
; COMPUTE_PGM_RSRC2:SCRATCH_EN: 0
; COMPUTE_PGM_RSRC2:USER_SGPR: 6
; COMPUTE_PGM_RSRC2:TRAP_HANDLER: 0
; COMPUTE_PGM_RSRC2:TGID_X_EN: 1
; COMPUTE_PGM_RSRC2:TGID_Y_EN: 0
; COMPUTE_PGM_RSRC2:TGID_Z_EN: 0
; COMPUTE_PGM_RSRC2:TIDIG_COMP_CNT: 0
; COMPUTE_PGM_RSRC3_GFX90A:ACCUM_OFFSET: 0
; COMPUTE_PGM_RSRC3_GFX90A:TG_SPLIT: 0
	.section	.text._ZN7rocprim17ROCPRIM_400000_NS6detail17trampoline_kernelINS0_14default_configENS1_27lower_bound_config_selectorItlEEZNS1_14transform_implILb0ES3_S5_N6thrust23THRUST_200600_302600_NS17counting_iteratorItNS8_11use_defaultESA_SA_EEPlZNS1_13binary_searchIS3_S5_PtSB_SC_NS1_21lower_bound_search_opENS8_6detail16wrapped_functionI11custom_lessbEEEE10hipError_tPvRmT1_T2_T3_mmT4_T5_P12ihipStream_tbEUlRKtE_EESK_SO_SP_mSQ_ST_bEUlT_E_NS1_11comp_targetILNS1_3genE4ELNS1_11target_archE910ELNS1_3gpuE8ELNS1_3repE0EEENS1_30default_config_static_selectorELNS0_4arch9wavefront6targetE1EEEvSN_,"axG",@progbits,_ZN7rocprim17ROCPRIM_400000_NS6detail17trampoline_kernelINS0_14default_configENS1_27lower_bound_config_selectorItlEEZNS1_14transform_implILb0ES3_S5_N6thrust23THRUST_200600_302600_NS17counting_iteratorItNS8_11use_defaultESA_SA_EEPlZNS1_13binary_searchIS3_S5_PtSB_SC_NS1_21lower_bound_search_opENS8_6detail16wrapped_functionI11custom_lessbEEEE10hipError_tPvRmT1_T2_T3_mmT4_T5_P12ihipStream_tbEUlRKtE_EESK_SO_SP_mSQ_ST_bEUlT_E_NS1_11comp_targetILNS1_3genE4ELNS1_11target_archE910ELNS1_3gpuE8ELNS1_3repE0EEENS1_30default_config_static_selectorELNS0_4arch9wavefront6targetE1EEEvSN_,comdat
	.protected	_ZN7rocprim17ROCPRIM_400000_NS6detail17trampoline_kernelINS0_14default_configENS1_27lower_bound_config_selectorItlEEZNS1_14transform_implILb0ES3_S5_N6thrust23THRUST_200600_302600_NS17counting_iteratorItNS8_11use_defaultESA_SA_EEPlZNS1_13binary_searchIS3_S5_PtSB_SC_NS1_21lower_bound_search_opENS8_6detail16wrapped_functionI11custom_lessbEEEE10hipError_tPvRmT1_T2_T3_mmT4_T5_P12ihipStream_tbEUlRKtE_EESK_SO_SP_mSQ_ST_bEUlT_E_NS1_11comp_targetILNS1_3genE4ELNS1_11target_archE910ELNS1_3gpuE8ELNS1_3repE0EEENS1_30default_config_static_selectorELNS0_4arch9wavefront6targetE1EEEvSN_ ; -- Begin function _ZN7rocprim17ROCPRIM_400000_NS6detail17trampoline_kernelINS0_14default_configENS1_27lower_bound_config_selectorItlEEZNS1_14transform_implILb0ES3_S5_N6thrust23THRUST_200600_302600_NS17counting_iteratorItNS8_11use_defaultESA_SA_EEPlZNS1_13binary_searchIS3_S5_PtSB_SC_NS1_21lower_bound_search_opENS8_6detail16wrapped_functionI11custom_lessbEEEE10hipError_tPvRmT1_T2_T3_mmT4_T5_P12ihipStream_tbEUlRKtE_EESK_SO_SP_mSQ_ST_bEUlT_E_NS1_11comp_targetILNS1_3genE4ELNS1_11target_archE910ELNS1_3gpuE8ELNS1_3repE0EEENS1_30default_config_static_selectorELNS0_4arch9wavefront6targetE1EEEvSN_
	.globl	_ZN7rocprim17ROCPRIM_400000_NS6detail17trampoline_kernelINS0_14default_configENS1_27lower_bound_config_selectorItlEEZNS1_14transform_implILb0ES3_S5_N6thrust23THRUST_200600_302600_NS17counting_iteratorItNS8_11use_defaultESA_SA_EEPlZNS1_13binary_searchIS3_S5_PtSB_SC_NS1_21lower_bound_search_opENS8_6detail16wrapped_functionI11custom_lessbEEEE10hipError_tPvRmT1_T2_T3_mmT4_T5_P12ihipStream_tbEUlRKtE_EESK_SO_SP_mSQ_ST_bEUlT_E_NS1_11comp_targetILNS1_3genE4ELNS1_11target_archE910ELNS1_3gpuE8ELNS1_3repE0EEENS1_30default_config_static_selectorELNS0_4arch9wavefront6targetE1EEEvSN_
	.p2align	8
	.type	_ZN7rocprim17ROCPRIM_400000_NS6detail17trampoline_kernelINS0_14default_configENS1_27lower_bound_config_selectorItlEEZNS1_14transform_implILb0ES3_S5_N6thrust23THRUST_200600_302600_NS17counting_iteratorItNS8_11use_defaultESA_SA_EEPlZNS1_13binary_searchIS3_S5_PtSB_SC_NS1_21lower_bound_search_opENS8_6detail16wrapped_functionI11custom_lessbEEEE10hipError_tPvRmT1_T2_T3_mmT4_T5_P12ihipStream_tbEUlRKtE_EESK_SO_SP_mSQ_ST_bEUlT_E_NS1_11comp_targetILNS1_3genE4ELNS1_11target_archE910ELNS1_3gpuE8ELNS1_3repE0EEENS1_30default_config_static_selectorELNS0_4arch9wavefront6targetE1EEEvSN_,@function
_ZN7rocprim17ROCPRIM_400000_NS6detail17trampoline_kernelINS0_14default_configENS1_27lower_bound_config_selectorItlEEZNS1_14transform_implILb0ES3_S5_N6thrust23THRUST_200600_302600_NS17counting_iteratorItNS8_11use_defaultESA_SA_EEPlZNS1_13binary_searchIS3_S5_PtSB_SC_NS1_21lower_bound_search_opENS8_6detail16wrapped_functionI11custom_lessbEEEE10hipError_tPvRmT1_T2_T3_mmT4_T5_P12ihipStream_tbEUlRKtE_EESK_SO_SP_mSQ_ST_bEUlT_E_NS1_11comp_targetILNS1_3genE4ELNS1_11target_archE910ELNS1_3gpuE8ELNS1_3repE0EEENS1_30default_config_static_selectorELNS0_4arch9wavefront6targetE1EEEvSN_: ; @_ZN7rocprim17ROCPRIM_400000_NS6detail17trampoline_kernelINS0_14default_configENS1_27lower_bound_config_selectorItlEEZNS1_14transform_implILb0ES3_S5_N6thrust23THRUST_200600_302600_NS17counting_iteratorItNS8_11use_defaultESA_SA_EEPlZNS1_13binary_searchIS3_S5_PtSB_SC_NS1_21lower_bound_search_opENS8_6detail16wrapped_functionI11custom_lessbEEEE10hipError_tPvRmT1_T2_T3_mmT4_T5_P12ihipStream_tbEUlRKtE_EESK_SO_SP_mSQ_ST_bEUlT_E_NS1_11comp_targetILNS1_3genE4ELNS1_11target_archE910ELNS1_3gpuE8ELNS1_3repE0EEENS1_30default_config_static_selectorELNS0_4arch9wavefront6targetE1EEEvSN_
; %bb.0:
	s_load_dword s16, s[4:5], 0x0
	s_load_dwordx2 s[8:9], s[4:5], 0x8
	s_load_dword s7, s[4:5], 0x38
	s_load_dwordx4 s[0:3], s[4:5], 0x18
	s_load_dwordx2 s[12:13], s[4:5], 0x28
	s_lshl_b32 s10, s6, 8
	s_waitcnt lgkmcnt(0)
	s_add_i32 s16, s16, s8
	s_add_i32 s7, s7, -1
	s_cmp_lg_u32 s6, s7
	s_mov_b32 s11, 0
	s_cbranch_scc0 .LBB49_6
; %bb.1:
	s_mov_b64 s[14:15], 0
	s_cmp_eq_u64 s[12:13], 0
	v_pk_mov_b32 v[2:3], 0, 0
	s_cbranch_scc1 .LBB49_5
; %bb.2:
	v_add_u16_e32 v1, s10, v0
	v_add_u16_e32 v1, s16, v1
	s_mov_b64 s[6:7], 0
	v_pk_mov_b32 v[2:3], 0, 0
	v_pk_mov_b32 v[4:5], s[12:13], s[12:13] op_sel:[0,1]
	v_mov_b32_e32 v6, s3
.LBB49_3:                               ; =>This Inner Loop Header: Depth=1
	v_sub_co_u32_e32 v8, vcc, v4, v2
	v_subb_co_u32_e32 v9, vcc, v5, v3, vcc
	v_lshrrev_b64 v[10:11], 1, v[8:9]
	v_add_co_u32_e32 v7, vcc, v10, v2
	v_lshrrev_b64 v[8:9], 6, v[8:9]
	v_addc_co_u32_e32 v10, vcc, v11, v3, vcc
	v_add_co_u32_e32 v8, vcc, v7, v8
	v_addc_co_u32_e32 v9, vcc, v10, v9, vcc
	v_lshlrev_b64 v[10:11], 1, v[8:9]
	v_add_co_u32_e32 v10, vcc, s2, v10
	v_addc_co_u32_e32 v11, vcc, v6, v11, vcc
	global_load_ushort v7, v[10:11], off
	v_add_co_u32_e32 v10, vcc, 1, v8
	v_addc_co_u32_e32 v11, vcc, 0, v9, vcc
	s_waitcnt vmcnt(0)
	v_cmp_lt_u16_e32 vcc, v7, v1
	v_cndmask_b32_e32 v5, v9, v5, vcc
	v_cndmask_b32_e32 v4, v8, v4, vcc
	;; [unrolled: 1-line block ×4, first 2 shown]
	v_cmp_ge_u64_e32 vcc, v[2:3], v[4:5]
	s_or_b64 s[6:7], vcc, s[6:7]
	s_andn2_b64 exec, exec, s[6:7]
	s_cbranch_execnz .LBB49_3
; %bb.4:
	s_or_b64 exec, exec, s[6:7]
.LBB49_5:
	s_mov_b64 s[6:7], -1
	s_andn2_b64 vcc, exec, s[14:15]
	s_cbranch_vccz .LBB49_7
	s_branch .LBB49_13
.LBB49_6:
	s_mov_b64 s[6:7], 0
                                        ; implicit-def: $vgpr2_vgpr3
.LBB49_7:
	s_load_dword s4, s[4:5], 0x10
                                        ; implicit-def: $vgpr2_vgpr3
	s_waitcnt lgkmcnt(0)
	s_sub_i32 s4, s4, s10
	v_cmp_gt_u32_e64 s[6:7], s4, v0
	s_and_saveexec_b64 s[4:5], s[6:7]
	s_cbranch_execz .LBB49_12
; %bb.8:
	s_mov_b64 s[14:15], 0
	s_cmp_eq_u64 s[12:13], 0
	v_pk_mov_b32 v[2:3], 0, 0
	s_cbranch_scc1 .LBB49_12
; %bb.9:
	v_add_u16_e32 v1, s10, v0
	v_add_u16_e32 v1, s16, v1
	v_pk_mov_b32 v[2:3], 0, 0
	v_pk_mov_b32 v[4:5], s[12:13], s[12:13] op_sel:[0,1]
	v_mov_b32_e32 v6, s3
.LBB49_10:                              ; =>This Inner Loop Header: Depth=1
	v_sub_co_u32_e32 v8, vcc, v4, v2
	v_subb_co_u32_e32 v9, vcc, v5, v3, vcc
	v_lshrrev_b64 v[10:11], 1, v[8:9]
	v_add_co_u32_e32 v7, vcc, v10, v2
	v_lshrrev_b64 v[8:9], 6, v[8:9]
	v_addc_co_u32_e32 v10, vcc, v11, v3, vcc
	v_add_co_u32_e32 v8, vcc, v7, v8
	v_addc_co_u32_e32 v9, vcc, v10, v9, vcc
	v_lshlrev_b64 v[10:11], 1, v[8:9]
	v_add_co_u32_e32 v10, vcc, s2, v10
	v_addc_co_u32_e32 v11, vcc, v6, v11, vcc
	global_load_ushort v7, v[10:11], off
	v_add_co_u32_e32 v10, vcc, 1, v8
	v_addc_co_u32_e32 v11, vcc, 0, v9, vcc
	s_waitcnt vmcnt(0)
	v_cmp_lt_u16_e32 vcc, v7, v1
	v_cndmask_b32_e32 v5, v9, v5, vcc
	v_cndmask_b32_e32 v4, v8, v4, vcc
	v_cndmask_b32_e32 v3, v3, v11, vcc
	v_cndmask_b32_e32 v2, v2, v10, vcc
	v_cmp_ge_u64_e32 vcc, v[2:3], v[4:5]
	s_or_b64 s[14:15], vcc, s[14:15]
	s_andn2_b64 exec, exec, s[14:15]
	s_cbranch_execnz .LBB49_10
; %bb.11:
	s_or_b64 exec, exec, s[14:15]
.LBB49_12:
	s_or_b64 exec, exec, s[4:5]
.LBB49_13:
	s_and_saveexec_b64 s[2:3], s[6:7]
	s_cbranch_execnz .LBB49_15
; %bb.14:
	s_endpgm
.LBB49_15:
	s_lshl_b64 s[2:3], s[8:9], 3
	s_add_u32 s2, s0, s2
	s_addc_u32 s3, s1, s3
	s_lshl_b64 s[0:1], s[10:11], 3
	s_add_u32 s0, s2, s0
	s_addc_u32 s1, s3, s1
	v_lshlrev_b32_e32 v0, 3, v0
	global_store_dwordx2 v0, v[2:3], s[0:1]
	s_endpgm
	.section	.rodata,"a",@progbits
	.p2align	6, 0x0
	.amdhsa_kernel _ZN7rocprim17ROCPRIM_400000_NS6detail17trampoline_kernelINS0_14default_configENS1_27lower_bound_config_selectorItlEEZNS1_14transform_implILb0ES3_S5_N6thrust23THRUST_200600_302600_NS17counting_iteratorItNS8_11use_defaultESA_SA_EEPlZNS1_13binary_searchIS3_S5_PtSB_SC_NS1_21lower_bound_search_opENS8_6detail16wrapped_functionI11custom_lessbEEEE10hipError_tPvRmT1_T2_T3_mmT4_T5_P12ihipStream_tbEUlRKtE_EESK_SO_SP_mSQ_ST_bEUlT_E_NS1_11comp_targetILNS1_3genE4ELNS1_11target_archE910ELNS1_3gpuE8ELNS1_3repE0EEENS1_30default_config_static_selectorELNS0_4arch9wavefront6targetE1EEEvSN_
		.amdhsa_group_segment_fixed_size 0
		.amdhsa_private_segment_fixed_size 0
		.amdhsa_kernarg_size 312
		.amdhsa_user_sgpr_count 6
		.amdhsa_user_sgpr_private_segment_buffer 1
		.amdhsa_user_sgpr_dispatch_ptr 0
		.amdhsa_user_sgpr_queue_ptr 0
		.amdhsa_user_sgpr_kernarg_segment_ptr 1
		.amdhsa_user_sgpr_dispatch_id 0
		.amdhsa_user_sgpr_flat_scratch_init 0
		.amdhsa_user_sgpr_kernarg_preload_length 0
		.amdhsa_user_sgpr_kernarg_preload_offset 0
		.amdhsa_user_sgpr_private_segment_size 0
		.amdhsa_uses_dynamic_stack 0
		.amdhsa_system_sgpr_private_segment_wavefront_offset 0
		.amdhsa_system_sgpr_workgroup_id_x 1
		.amdhsa_system_sgpr_workgroup_id_y 0
		.amdhsa_system_sgpr_workgroup_id_z 0
		.amdhsa_system_sgpr_workgroup_info 0
		.amdhsa_system_vgpr_workitem_id 0
		.amdhsa_next_free_vgpr 12
		.amdhsa_next_free_sgpr 17
		.amdhsa_accum_offset 12
		.amdhsa_reserve_vcc 1
		.amdhsa_reserve_flat_scratch 0
		.amdhsa_float_round_mode_32 0
		.amdhsa_float_round_mode_16_64 0
		.amdhsa_float_denorm_mode_32 3
		.amdhsa_float_denorm_mode_16_64 3
		.amdhsa_dx10_clamp 1
		.amdhsa_ieee_mode 1
		.amdhsa_fp16_overflow 0
		.amdhsa_tg_split 0
		.amdhsa_exception_fp_ieee_invalid_op 0
		.amdhsa_exception_fp_denorm_src 0
		.amdhsa_exception_fp_ieee_div_zero 0
		.amdhsa_exception_fp_ieee_overflow 0
		.amdhsa_exception_fp_ieee_underflow 0
		.amdhsa_exception_fp_ieee_inexact 0
		.amdhsa_exception_int_div_zero 0
	.end_amdhsa_kernel
	.section	.text._ZN7rocprim17ROCPRIM_400000_NS6detail17trampoline_kernelINS0_14default_configENS1_27lower_bound_config_selectorItlEEZNS1_14transform_implILb0ES3_S5_N6thrust23THRUST_200600_302600_NS17counting_iteratorItNS8_11use_defaultESA_SA_EEPlZNS1_13binary_searchIS3_S5_PtSB_SC_NS1_21lower_bound_search_opENS8_6detail16wrapped_functionI11custom_lessbEEEE10hipError_tPvRmT1_T2_T3_mmT4_T5_P12ihipStream_tbEUlRKtE_EESK_SO_SP_mSQ_ST_bEUlT_E_NS1_11comp_targetILNS1_3genE4ELNS1_11target_archE910ELNS1_3gpuE8ELNS1_3repE0EEENS1_30default_config_static_selectorELNS0_4arch9wavefront6targetE1EEEvSN_,"axG",@progbits,_ZN7rocprim17ROCPRIM_400000_NS6detail17trampoline_kernelINS0_14default_configENS1_27lower_bound_config_selectorItlEEZNS1_14transform_implILb0ES3_S5_N6thrust23THRUST_200600_302600_NS17counting_iteratorItNS8_11use_defaultESA_SA_EEPlZNS1_13binary_searchIS3_S5_PtSB_SC_NS1_21lower_bound_search_opENS8_6detail16wrapped_functionI11custom_lessbEEEE10hipError_tPvRmT1_T2_T3_mmT4_T5_P12ihipStream_tbEUlRKtE_EESK_SO_SP_mSQ_ST_bEUlT_E_NS1_11comp_targetILNS1_3genE4ELNS1_11target_archE910ELNS1_3gpuE8ELNS1_3repE0EEENS1_30default_config_static_selectorELNS0_4arch9wavefront6targetE1EEEvSN_,comdat
.Lfunc_end49:
	.size	_ZN7rocprim17ROCPRIM_400000_NS6detail17trampoline_kernelINS0_14default_configENS1_27lower_bound_config_selectorItlEEZNS1_14transform_implILb0ES3_S5_N6thrust23THRUST_200600_302600_NS17counting_iteratorItNS8_11use_defaultESA_SA_EEPlZNS1_13binary_searchIS3_S5_PtSB_SC_NS1_21lower_bound_search_opENS8_6detail16wrapped_functionI11custom_lessbEEEE10hipError_tPvRmT1_T2_T3_mmT4_T5_P12ihipStream_tbEUlRKtE_EESK_SO_SP_mSQ_ST_bEUlT_E_NS1_11comp_targetILNS1_3genE4ELNS1_11target_archE910ELNS1_3gpuE8ELNS1_3repE0EEENS1_30default_config_static_selectorELNS0_4arch9wavefront6targetE1EEEvSN_, .Lfunc_end49-_ZN7rocprim17ROCPRIM_400000_NS6detail17trampoline_kernelINS0_14default_configENS1_27lower_bound_config_selectorItlEEZNS1_14transform_implILb0ES3_S5_N6thrust23THRUST_200600_302600_NS17counting_iteratorItNS8_11use_defaultESA_SA_EEPlZNS1_13binary_searchIS3_S5_PtSB_SC_NS1_21lower_bound_search_opENS8_6detail16wrapped_functionI11custom_lessbEEEE10hipError_tPvRmT1_T2_T3_mmT4_T5_P12ihipStream_tbEUlRKtE_EESK_SO_SP_mSQ_ST_bEUlT_E_NS1_11comp_targetILNS1_3genE4ELNS1_11target_archE910ELNS1_3gpuE8ELNS1_3repE0EEENS1_30default_config_static_selectorELNS0_4arch9wavefront6targetE1EEEvSN_
                                        ; -- End function
	.section	.AMDGPU.csdata,"",@progbits
; Kernel info:
; codeLenInByte = 508
; NumSgprs: 21
; NumVgprs: 12
; NumAgprs: 0
; TotalNumVgprs: 12
; ScratchSize: 0
; MemoryBound: 0
; FloatMode: 240
; IeeeMode: 1
; LDSByteSize: 0 bytes/workgroup (compile time only)
; SGPRBlocks: 2
; VGPRBlocks: 1
; NumSGPRsForWavesPerEU: 21
; NumVGPRsForWavesPerEU: 12
; AccumOffset: 12
; Occupancy: 8
; WaveLimiterHint : 0
; COMPUTE_PGM_RSRC2:SCRATCH_EN: 0
; COMPUTE_PGM_RSRC2:USER_SGPR: 6
; COMPUTE_PGM_RSRC2:TRAP_HANDLER: 0
; COMPUTE_PGM_RSRC2:TGID_X_EN: 1
; COMPUTE_PGM_RSRC2:TGID_Y_EN: 0
; COMPUTE_PGM_RSRC2:TGID_Z_EN: 0
; COMPUTE_PGM_RSRC2:TIDIG_COMP_CNT: 0
; COMPUTE_PGM_RSRC3_GFX90A:ACCUM_OFFSET: 2
; COMPUTE_PGM_RSRC3_GFX90A:TG_SPLIT: 0
	.section	.text._ZN7rocprim17ROCPRIM_400000_NS6detail17trampoline_kernelINS0_14default_configENS1_27lower_bound_config_selectorItlEEZNS1_14transform_implILb0ES3_S5_N6thrust23THRUST_200600_302600_NS17counting_iteratorItNS8_11use_defaultESA_SA_EEPlZNS1_13binary_searchIS3_S5_PtSB_SC_NS1_21lower_bound_search_opENS8_6detail16wrapped_functionI11custom_lessbEEEE10hipError_tPvRmT1_T2_T3_mmT4_T5_P12ihipStream_tbEUlRKtE_EESK_SO_SP_mSQ_ST_bEUlT_E_NS1_11comp_targetILNS1_3genE3ELNS1_11target_archE908ELNS1_3gpuE7ELNS1_3repE0EEENS1_30default_config_static_selectorELNS0_4arch9wavefront6targetE1EEEvSN_,"axG",@progbits,_ZN7rocprim17ROCPRIM_400000_NS6detail17trampoline_kernelINS0_14default_configENS1_27lower_bound_config_selectorItlEEZNS1_14transform_implILb0ES3_S5_N6thrust23THRUST_200600_302600_NS17counting_iteratorItNS8_11use_defaultESA_SA_EEPlZNS1_13binary_searchIS3_S5_PtSB_SC_NS1_21lower_bound_search_opENS8_6detail16wrapped_functionI11custom_lessbEEEE10hipError_tPvRmT1_T2_T3_mmT4_T5_P12ihipStream_tbEUlRKtE_EESK_SO_SP_mSQ_ST_bEUlT_E_NS1_11comp_targetILNS1_3genE3ELNS1_11target_archE908ELNS1_3gpuE7ELNS1_3repE0EEENS1_30default_config_static_selectorELNS0_4arch9wavefront6targetE1EEEvSN_,comdat
	.protected	_ZN7rocprim17ROCPRIM_400000_NS6detail17trampoline_kernelINS0_14default_configENS1_27lower_bound_config_selectorItlEEZNS1_14transform_implILb0ES3_S5_N6thrust23THRUST_200600_302600_NS17counting_iteratorItNS8_11use_defaultESA_SA_EEPlZNS1_13binary_searchIS3_S5_PtSB_SC_NS1_21lower_bound_search_opENS8_6detail16wrapped_functionI11custom_lessbEEEE10hipError_tPvRmT1_T2_T3_mmT4_T5_P12ihipStream_tbEUlRKtE_EESK_SO_SP_mSQ_ST_bEUlT_E_NS1_11comp_targetILNS1_3genE3ELNS1_11target_archE908ELNS1_3gpuE7ELNS1_3repE0EEENS1_30default_config_static_selectorELNS0_4arch9wavefront6targetE1EEEvSN_ ; -- Begin function _ZN7rocprim17ROCPRIM_400000_NS6detail17trampoline_kernelINS0_14default_configENS1_27lower_bound_config_selectorItlEEZNS1_14transform_implILb0ES3_S5_N6thrust23THRUST_200600_302600_NS17counting_iteratorItNS8_11use_defaultESA_SA_EEPlZNS1_13binary_searchIS3_S5_PtSB_SC_NS1_21lower_bound_search_opENS8_6detail16wrapped_functionI11custom_lessbEEEE10hipError_tPvRmT1_T2_T3_mmT4_T5_P12ihipStream_tbEUlRKtE_EESK_SO_SP_mSQ_ST_bEUlT_E_NS1_11comp_targetILNS1_3genE3ELNS1_11target_archE908ELNS1_3gpuE7ELNS1_3repE0EEENS1_30default_config_static_selectorELNS0_4arch9wavefront6targetE1EEEvSN_
	.globl	_ZN7rocprim17ROCPRIM_400000_NS6detail17trampoline_kernelINS0_14default_configENS1_27lower_bound_config_selectorItlEEZNS1_14transform_implILb0ES3_S5_N6thrust23THRUST_200600_302600_NS17counting_iteratorItNS8_11use_defaultESA_SA_EEPlZNS1_13binary_searchIS3_S5_PtSB_SC_NS1_21lower_bound_search_opENS8_6detail16wrapped_functionI11custom_lessbEEEE10hipError_tPvRmT1_T2_T3_mmT4_T5_P12ihipStream_tbEUlRKtE_EESK_SO_SP_mSQ_ST_bEUlT_E_NS1_11comp_targetILNS1_3genE3ELNS1_11target_archE908ELNS1_3gpuE7ELNS1_3repE0EEENS1_30default_config_static_selectorELNS0_4arch9wavefront6targetE1EEEvSN_
	.p2align	8
	.type	_ZN7rocprim17ROCPRIM_400000_NS6detail17trampoline_kernelINS0_14default_configENS1_27lower_bound_config_selectorItlEEZNS1_14transform_implILb0ES3_S5_N6thrust23THRUST_200600_302600_NS17counting_iteratorItNS8_11use_defaultESA_SA_EEPlZNS1_13binary_searchIS3_S5_PtSB_SC_NS1_21lower_bound_search_opENS8_6detail16wrapped_functionI11custom_lessbEEEE10hipError_tPvRmT1_T2_T3_mmT4_T5_P12ihipStream_tbEUlRKtE_EESK_SO_SP_mSQ_ST_bEUlT_E_NS1_11comp_targetILNS1_3genE3ELNS1_11target_archE908ELNS1_3gpuE7ELNS1_3repE0EEENS1_30default_config_static_selectorELNS0_4arch9wavefront6targetE1EEEvSN_,@function
_ZN7rocprim17ROCPRIM_400000_NS6detail17trampoline_kernelINS0_14default_configENS1_27lower_bound_config_selectorItlEEZNS1_14transform_implILb0ES3_S5_N6thrust23THRUST_200600_302600_NS17counting_iteratorItNS8_11use_defaultESA_SA_EEPlZNS1_13binary_searchIS3_S5_PtSB_SC_NS1_21lower_bound_search_opENS8_6detail16wrapped_functionI11custom_lessbEEEE10hipError_tPvRmT1_T2_T3_mmT4_T5_P12ihipStream_tbEUlRKtE_EESK_SO_SP_mSQ_ST_bEUlT_E_NS1_11comp_targetILNS1_3genE3ELNS1_11target_archE908ELNS1_3gpuE7ELNS1_3repE0EEENS1_30default_config_static_selectorELNS0_4arch9wavefront6targetE1EEEvSN_: ; @_ZN7rocprim17ROCPRIM_400000_NS6detail17trampoline_kernelINS0_14default_configENS1_27lower_bound_config_selectorItlEEZNS1_14transform_implILb0ES3_S5_N6thrust23THRUST_200600_302600_NS17counting_iteratorItNS8_11use_defaultESA_SA_EEPlZNS1_13binary_searchIS3_S5_PtSB_SC_NS1_21lower_bound_search_opENS8_6detail16wrapped_functionI11custom_lessbEEEE10hipError_tPvRmT1_T2_T3_mmT4_T5_P12ihipStream_tbEUlRKtE_EESK_SO_SP_mSQ_ST_bEUlT_E_NS1_11comp_targetILNS1_3genE3ELNS1_11target_archE908ELNS1_3gpuE7ELNS1_3repE0EEENS1_30default_config_static_selectorELNS0_4arch9wavefront6targetE1EEEvSN_
; %bb.0:
	.section	.rodata,"a",@progbits
	.p2align	6, 0x0
	.amdhsa_kernel _ZN7rocprim17ROCPRIM_400000_NS6detail17trampoline_kernelINS0_14default_configENS1_27lower_bound_config_selectorItlEEZNS1_14transform_implILb0ES3_S5_N6thrust23THRUST_200600_302600_NS17counting_iteratorItNS8_11use_defaultESA_SA_EEPlZNS1_13binary_searchIS3_S5_PtSB_SC_NS1_21lower_bound_search_opENS8_6detail16wrapped_functionI11custom_lessbEEEE10hipError_tPvRmT1_T2_T3_mmT4_T5_P12ihipStream_tbEUlRKtE_EESK_SO_SP_mSQ_ST_bEUlT_E_NS1_11comp_targetILNS1_3genE3ELNS1_11target_archE908ELNS1_3gpuE7ELNS1_3repE0EEENS1_30default_config_static_selectorELNS0_4arch9wavefront6targetE1EEEvSN_
		.amdhsa_group_segment_fixed_size 0
		.amdhsa_private_segment_fixed_size 0
		.amdhsa_kernarg_size 56
		.amdhsa_user_sgpr_count 6
		.amdhsa_user_sgpr_private_segment_buffer 1
		.amdhsa_user_sgpr_dispatch_ptr 0
		.amdhsa_user_sgpr_queue_ptr 0
		.amdhsa_user_sgpr_kernarg_segment_ptr 1
		.amdhsa_user_sgpr_dispatch_id 0
		.amdhsa_user_sgpr_flat_scratch_init 0
		.amdhsa_user_sgpr_kernarg_preload_length 0
		.amdhsa_user_sgpr_kernarg_preload_offset 0
		.amdhsa_user_sgpr_private_segment_size 0
		.amdhsa_uses_dynamic_stack 0
		.amdhsa_system_sgpr_private_segment_wavefront_offset 0
		.amdhsa_system_sgpr_workgroup_id_x 1
		.amdhsa_system_sgpr_workgroup_id_y 0
		.amdhsa_system_sgpr_workgroup_id_z 0
		.amdhsa_system_sgpr_workgroup_info 0
		.amdhsa_system_vgpr_workitem_id 0
		.amdhsa_next_free_vgpr 1
		.amdhsa_next_free_sgpr 0
		.amdhsa_accum_offset 4
		.amdhsa_reserve_vcc 0
		.amdhsa_reserve_flat_scratch 0
		.amdhsa_float_round_mode_32 0
		.amdhsa_float_round_mode_16_64 0
		.amdhsa_float_denorm_mode_32 3
		.amdhsa_float_denorm_mode_16_64 3
		.amdhsa_dx10_clamp 1
		.amdhsa_ieee_mode 1
		.amdhsa_fp16_overflow 0
		.amdhsa_tg_split 0
		.amdhsa_exception_fp_ieee_invalid_op 0
		.amdhsa_exception_fp_denorm_src 0
		.amdhsa_exception_fp_ieee_div_zero 0
		.amdhsa_exception_fp_ieee_overflow 0
		.amdhsa_exception_fp_ieee_underflow 0
		.amdhsa_exception_fp_ieee_inexact 0
		.amdhsa_exception_int_div_zero 0
	.end_amdhsa_kernel
	.section	.text._ZN7rocprim17ROCPRIM_400000_NS6detail17trampoline_kernelINS0_14default_configENS1_27lower_bound_config_selectorItlEEZNS1_14transform_implILb0ES3_S5_N6thrust23THRUST_200600_302600_NS17counting_iteratorItNS8_11use_defaultESA_SA_EEPlZNS1_13binary_searchIS3_S5_PtSB_SC_NS1_21lower_bound_search_opENS8_6detail16wrapped_functionI11custom_lessbEEEE10hipError_tPvRmT1_T2_T3_mmT4_T5_P12ihipStream_tbEUlRKtE_EESK_SO_SP_mSQ_ST_bEUlT_E_NS1_11comp_targetILNS1_3genE3ELNS1_11target_archE908ELNS1_3gpuE7ELNS1_3repE0EEENS1_30default_config_static_selectorELNS0_4arch9wavefront6targetE1EEEvSN_,"axG",@progbits,_ZN7rocprim17ROCPRIM_400000_NS6detail17trampoline_kernelINS0_14default_configENS1_27lower_bound_config_selectorItlEEZNS1_14transform_implILb0ES3_S5_N6thrust23THRUST_200600_302600_NS17counting_iteratorItNS8_11use_defaultESA_SA_EEPlZNS1_13binary_searchIS3_S5_PtSB_SC_NS1_21lower_bound_search_opENS8_6detail16wrapped_functionI11custom_lessbEEEE10hipError_tPvRmT1_T2_T3_mmT4_T5_P12ihipStream_tbEUlRKtE_EESK_SO_SP_mSQ_ST_bEUlT_E_NS1_11comp_targetILNS1_3genE3ELNS1_11target_archE908ELNS1_3gpuE7ELNS1_3repE0EEENS1_30default_config_static_selectorELNS0_4arch9wavefront6targetE1EEEvSN_,comdat
.Lfunc_end50:
	.size	_ZN7rocprim17ROCPRIM_400000_NS6detail17trampoline_kernelINS0_14default_configENS1_27lower_bound_config_selectorItlEEZNS1_14transform_implILb0ES3_S5_N6thrust23THRUST_200600_302600_NS17counting_iteratorItNS8_11use_defaultESA_SA_EEPlZNS1_13binary_searchIS3_S5_PtSB_SC_NS1_21lower_bound_search_opENS8_6detail16wrapped_functionI11custom_lessbEEEE10hipError_tPvRmT1_T2_T3_mmT4_T5_P12ihipStream_tbEUlRKtE_EESK_SO_SP_mSQ_ST_bEUlT_E_NS1_11comp_targetILNS1_3genE3ELNS1_11target_archE908ELNS1_3gpuE7ELNS1_3repE0EEENS1_30default_config_static_selectorELNS0_4arch9wavefront6targetE1EEEvSN_, .Lfunc_end50-_ZN7rocprim17ROCPRIM_400000_NS6detail17trampoline_kernelINS0_14default_configENS1_27lower_bound_config_selectorItlEEZNS1_14transform_implILb0ES3_S5_N6thrust23THRUST_200600_302600_NS17counting_iteratorItNS8_11use_defaultESA_SA_EEPlZNS1_13binary_searchIS3_S5_PtSB_SC_NS1_21lower_bound_search_opENS8_6detail16wrapped_functionI11custom_lessbEEEE10hipError_tPvRmT1_T2_T3_mmT4_T5_P12ihipStream_tbEUlRKtE_EESK_SO_SP_mSQ_ST_bEUlT_E_NS1_11comp_targetILNS1_3genE3ELNS1_11target_archE908ELNS1_3gpuE7ELNS1_3repE0EEENS1_30default_config_static_selectorELNS0_4arch9wavefront6targetE1EEEvSN_
                                        ; -- End function
	.section	.AMDGPU.csdata,"",@progbits
; Kernel info:
; codeLenInByte = 0
; NumSgprs: 4
; NumVgprs: 0
; NumAgprs: 0
; TotalNumVgprs: 0
; ScratchSize: 0
; MemoryBound: 0
; FloatMode: 240
; IeeeMode: 1
; LDSByteSize: 0 bytes/workgroup (compile time only)
; SGPRBlocks: 0
; VGPRBlocks: 0
; NumSGPRsForWavesPerEU: 4
; NumVGPRsForWavesPerEU: 1
; AccumOffset: 4
; Occupancy: 8
; WaveLimiterHint : 0
; COMPUTE_PGM_RSRC2:SCRATCH_EN: 0
; COMPUTE_PGM_RSRC2:USER_SGPR: 6
; COMPUTE_PGM_RSRC2:TRAP_HANDLER: 0
; COMPUTE_PGM_RSRC2:TGID_X_EN: 1
; COMPUTE_PGM_RSRC2:TGID_Y_EN: 0
; COMPUTE_PGM_RSRC2:TGID_Z_EN: 0
; COMPUTE_PGM_RSRC2:TIDIG_COMP_CNT: 0
; COMPUTE_PGM_RSRC3_GFX90A:ACCUM_OFFSET: 0
; COMPUTE_PGM_RSRC3_GFX90A:TG_SPLIT: 0
	.section	.text._ZN7rocprim17ROCPRIM_400000_NS6detail17trampoline_kernelINS0_14default_configENS1_27lower_bound_config_selectorItlEEZNS1_14transform_implILb0ES3_S5_N6thrust23THRUST_200600_302600_NS17counting_iteratorItNS8_11use_defaultESA_SA_EEPlZNS1_13binary_searchIS3_S5_PtSB_SC_NS1_21lower_bound_search_opENS8_6detail16wrapped_functionI11custom_lessbEEEE10hipError_tPvRmT1_T2_T3_mmT4_T5_P12ihipStream_tbEUlRKtE_EESK_SO_SP_mSQ_ST_bEUlT_E_NS1_11comp_targetILNS1_3genE2ELNS1_11target_archE906ELNS1_3gpuE6ELNS1_3repE0EEENS1_30default_config_static_selectorELNS0_4arch9wavefront6targetE1EEEvSN_,"axG",@progbits,_ZN7rocprim17ROCPRIM_400000_NS6detail17trampoline_kernelINS0_14default_configENS1_27lower_bound_config_selectorItlEEZNS1_14transform_implILb0ES3_S5_N6thrust23THRUST_200600_302600_NS17counting_iteratorItNS8_11use_defaultESA_SA_EEPlZNS1_13binary_searchIS3_S5_PtSB_SC_NS1_21lower_bound_search_opENS8_6detail16wrapped_functionI11custom_lessbEEEE10hipError_tPvRmT1_T2_T3_mmT4_T5_P12ihipStream_tbEUlRKtE_EESK_SO_SP_mSQ_ST_bEUlT_E_NS1_11comp_targetILNS1_3genE2ELNS1_11target_archE906ELNS1_3gpuE6ELNS1_3repE0EEENS1_30default_config_static_selectorELNS0_4arch9wavefront6targetE1EEEvSN_,comdat
	.protected	_ZN7rocprim17ROCPRIM_400000_NS6detail17trampoline_kernelINS0_14default_configENS1_27lower_bound_config_selectorItlEEZNS1_14transform_implILb0ES3_S5_N6thrust23THRUST_200600_302600_NS17counting_iteratorItNS8_11use_defaultESA_SA_EEPlZNS1_13binary_searchIS3_S5_PtSB_SC_NS1_21lower_bound_search_opENS8_6detail16wrapped_functionI11custom_lessbEEEE10hipError_tPvRmT1_T2_T3_mmT4_T5_P12ihipStream_tbEUlRKtE_EESK_SO_SP_mSQ_ST_bEUlT_E_NS1_11comp_targetILNS1_3genE2ELNS1_11target_archE906ELNS1_3gpuE6ELNS1_3repE0EEENS1_30default_config_static_selectorELNS0_4arch9wavefront6targetE1EEEvSN_ ; -- Begin function _ZN7rocprim17ROCPRIM_400000_NS6detail17trampoline_kernelINS0_14default_configENS1_27lower_bound_config_selectorItlEEZNS1_14transform_implILb0ES3_S5_N6thrust23THRUST_200600_302600_NS17counting_iteratorItNS8_11use_defaultESA_SA_EEPlZNS1_13binary_searchIS3_S5_PtSB_SC_NS1_21lower_bound_search_opENS8_6detail16wrapped_functionI11custom_lessbEEEE10hipError_tPvRmT1_T2_T3_mmT4_T5_P12ihipStream_tbEUlRKtE_EESK_SO_SP_mSQ_ST_bEUlT_E_NS1_11comp_targetILNS1_3genE2ELNS1_11target_archE906ELNS1_3gpuE6ELNS1_3repE0EEENS1_30default_config_static_selectorELNS0_4arch9wavefront6targetE1EEEvSN_
	.globl	_ZN7rocprim17ROCPRIM_400000_NS6detail17trampoline_kernelINS0_14default_configENS1_27lower_bound_config_selectorItlEEZNS1_14transform_implILb0ES3_S5_N6thrust23THRUST_200600_302600_NS17counting_iteratorItNS8_11use_defaultESA_SA_EEPlZNS1_13binary_searchIS3_S5_PtSB_SC_NS1_21lower_bound_search_opENS8_6detail16wrapped_functionI11custom_lessbEEEE10hipError_tPvRmT1_T2_T3_mmT4_T5_P12ihipStream_tbEUlRKtE_EESK_SO_SP_mSQ_ST_bEUlT_E_NS1_11comp_targetILNS1_3genE2ELNS1_11target_archE906ELNS1_3gpuE6ELNS1_3repE0EEENS1_30default_config_static_selectorELNS0_4arch9wavefront6targetE1EEEvSN_
	.p2align	8
	.type	_ZN7rocprim17ROCPRIM_400000_NS6detail17trampoline_kernelINS0_14default_configENS1_27lower_bound_config_selectorItlEEZNS1_14transform_implILb0ES3_S5_N6thrust23THRUST_200600_302600_NS17counting_iteratorItNS8_11use_defaultESA_SA_EEPlZNS1_13binary_searchIS3_S5_PtSB_SC_NS1_21lower_bound_search_opENS8_6detail16wrapped_functionI11custom_lessbEEEE10hipError_tPvRmT1_T2_T3_mmT4_T5_P12ihipStream_tbEUlRKtE_EESK_SO_SP_mSQ_ST_bEUlT_E_NS1_11comp_targetILNS1_3genE2ELNS1_11target_archE906ELNS1_3gpuE6ELNS1_3repE0EEENS1_30default_config_static_selectorELNS0_4arch9wavefront6targetE1EEEvSN_,@function
_ZN7rocprim17ROCPRIM_400000_NS6detail17trampoline_kernelINS0_14default_configENS1_27lower_bound_config_selectorItlEEZNS1_14transform_implILb0ES3_S5_N6thrust23THRUST_200600_302600_NS17counting_iteratorItNS8_11use_defaultESA_SA_EEPlZNS1_13binary_searchIS3_S5_PtSB_SC_NS1_21lower_bound_search_opENS8_6detail16wrapped_functionI11custom_lessbEEEE10hipError_tPvRmT1_T2_T3_mmT4_T5_P12ihipStream_tbEUlRKtE_EESK_SO_SP_mSQ_ST_bEUlT_E_NS1_11comp_targetILNS1_3genE2ELNS1_11target_archE906ELNS1_3gpuE6ELNS1_3repE0EEENS1_30default_config_static_selectorELNS0_4arch9wavefront6targetE1EEEvSN_: ; @_ZN7rocprim17ROCPRIM_400000_NS6detail17trampoline_kernelINS0_14default_configENS1_27lower_bound_config_selectorItlEEZNS1_14transform_implILb0ES3_S5_N6thrust23THRUST_200600_302600_NS17counting_iteratorItNS8_11use_defaultESA_SA_EEPlZNS1_13binary_searchIS3_S5_PtSB_SC_NS1_21lower_bound_search_opENS8_6detail16wrapped_functionI11custom_lessbEEEE10hipError_tPvRmT1_T2_T3_mmT4_T5_P12ihipStream_tbEUlRKtE_EESK_SO_SP_mSQ_ST_bEUlT_E_NS1_11comp_targetILNS1_3genE2ELNS1_11target_archE906ELNS1_3gpuE6ELNS1_3repE0EEENS1_30default_config_static_selectorELNS0_4arch9wavefront6targetE1EEEvSN_
; %bb.0:
	.section	.rodata,"a",@progbits
	.p2align	6, 0x0
	.amdhsa_kernel _ZN7rocprim17ROCPRIM_400000_NS6detail17trampoline_kernelINS0_14default_configENS1_27lower_bound_config_selectorItlEEZNS1_14transform_implILb0ES3_S5_N6thrust23THRUST_200600_302600_NS17counting_iteratorItNS8_11use_defaultESA_SA_EEPlZNS1_13binary_searchIS3_S5_PtSB_SC_NS1_21lower_bound_search_opENS8_6detail16wrapped_functionI11custom_lessbEEEE10hipError_tPvRmT1_T2_T3_mmT4_T5_P12ihipStream_tbEUlRKtE_EESK_SO_SP_mSQ_ST_bEUlT_E_NS1_11comp_targetILNS1_3genE2ELNS1_11target_archE906ELNS1_3gpuE6ELNS1_3repE0EEENS1_30default_config_static_selectorELNS0_4arch9wavefront6targetE1EEEvSN_
		.amdhsa_group_segment_fixed_size 0
		.amdhsa_private_segment_fixed_size 0
		.amdhsa_kernarg_size 56
		.amdhsa_user_sgpr_count 6
		.amdhsa_user_sgpr_private_segment_buffer 1
		.amdhsa_user_sgpr_dispatch_ptr 0
		.amdhsa_user_sgpr_queue_ptr 0
		.amdhsa_user_sgpr_kernarg_segment_ptr 1
		.amdhsa_user_sgpr_dispatch_id 0
		.amdhsa_user_sgpr_flat_scratch_init 0
		.amdhsa_user_sgpr_kernarg_preload_length 0
		.amdhsa_user_sgpr_kernarg_preload_offset 0
		.amdhsa_user_sgpr_private_segment_size 0
		.amdhsa_uses_dynamic_stack 0
		.amdhsa_system_sgpr_private_segment_wavefront_offset 0
		.amdhsa_system_sgpr_workgroup_id_x 1
		.amdhsa_system_sgpr_workgroup_id_y 0
		.amdhsa_system_sgpr_workgroup_id_z 0
		.amdhsa_system_sgpr_workgroup_info 0
		.amdhsa_system_vgpr_workitem_id 0
		.amdhsa_next_free_vgpr 1
		.amdhsa_next_free_sgpr 0
		.amdhsa_accum_offset 4
		.amdhsa_reserve_vcc 0
		.amdhsa_reserve_flat_scratch 0
		.amdhsa_float_round_mode_32 0
		.amdhsa_float_round_mode_16_64 0
		.amdhsa_float_denorm_mode_32 3
		.amdhsa_float_denorm_mode_16_64 3
		.amdhsa_dx10_clamp 1
		.amdhsa_ieee_mode 1
		.amdhsa_fp16_overflow 0
		.amdhsa_tg_split 0
		.amdhsa_exception_fp_ieee_invalid_op 0
		.amdhsa_exception_fp_denorm_src 0
		.amdhsa_exception_fp_ieee_div_zero 0
		.amdhsa_exception_fp_ieee_overflow 0
		.amdhsa_exception_fp_ieee_underflow 0
		.amdhsa_exception_fp_ieee_inexact 0
		.amdhsa_exception_int_div_zero 0
	.end_amdhsa_kernel
	.section	.text._ZN7rocprim17ROCPRIM_400000_NS6detail17trampoline_kernelINS0_14default_configENS1_27lower_bound_config_selectorItlEEZNS1_14transform_implILb0ES3_S5_N6thrust23THRUST_200600_302600_NS17counting_iteratorItNS8_11use_defaultESA_SA_EEPlZNS1_13binary_searchIS3_S5_PtSB_SC_NS1_21lower_bound_search_opENS8_6detail16wrapped_functionI11custom_lessbEEEE10hipError_tPvRmT1_T2_T3_mmT4_T5_P12ihipStream_tbEUlRKtE_EESK_SO_SP_mSQ_ST_bEUlT_E_NS1_11comp_targetILNS1_3genE2ELNS1_11target_archE906ELNS1_3gpuE6ELNS1_3repE0EEENS1_30default_config_static_selectorELNS0_4arch9wavefront6targetE1EEEvSN_,"axG",@progbits,_ZN7rocprim17ROCPRIM_400000_NS6detail17trampoline_kernelINS0_14default_configENS1_27lower_bound_config_selectorItlEEZNS1_14transform_implILb0ES3_S5_N6thrust23THRUST_200600_302600_NS17counting_iteratorItNS8_11use_defaultESA_SA_EEPlZNS1_13binary_searchIS3_S5_PtSB_SC_NS1_21lower_bound_search_opENS8_6detail16wrapped_functionI11custom_lessbEEEE10hipError_tPvRmT1_T2_T3_mmT4_T5_P12ihipStream_tbEUlRKtE_EESK_SO_SP_mSQ_ST_bEUlT_E_NS1_11comp_targetILNS1_3genE2ELNS1_11target_archE906ELNS1_3gpuE6ELNS1_3repE0EEENS1_30default_config_static_selectorELNS0_4arch9wavefront6targetE1EEEvSN_,comdat
.Lfunc_end51:
	.size	_ZN7rocprim17ROCPRIM_400000_NS6detail17trampoline_kernelINS0_14default_configENS1_27lower_bound_config_selectorItlEEZNS1_14transform_implILb0ES3_S5_N6thrust23THRUST_200600_302600_NS17counting_iteratorItNS8_11use_defaultESA_SA_EEPlZNS1_13binary_searchIS3_S5_PtSB_SC_NS1_21lower_bound_search_opENS8_6detail16wrapped_functionI11custom_lessbEEEE10hipError_tPvRmT1_T2_T3_mmT4_T5_P12ihipStream_tbEUlRKtE_EESK_SO_SP_mSQ_ST_bEUlT_E_NS1_11comp_targetILNS1_3genE2ELNS1_11target_archE906ELNS1_3gpuE6ELNS1_3repE0EEENS1_30default_config_static_selectorELNS0_4arch9wavefront6targetE1EEEvSN_, .Lfunc_end51-_ZN7rocprim17ROCPRIM_400000_NS6detail17trampoline_kernelINS0_14default_configENS1_27lower_bound_config_selectorItlEEZNS1_14transform_implILb0ES3_S5_N6thrust23THRUST_200600_302600_NS17counting_iteratorItNS8_11use_defaultESA_SA_EEPlZNS1_13binary_searchIS3_S5_PtSB_SC_NS1_21lower_bound_search_opENS8_6detail16wrapped_functionI11custom_lessbEEEE10hipError_tPvRmT1_T2_T3_mmT4_T5_P12ihipStream_tbEUlRKtE_EESK_SO_SP_mSQ_ST_bEUlT_E_NS1_11comp_targetILNS1_3genE2ELNS1_11target_archE906ELNS1_3gpuE6ELNS1_3repE0EEENS1_30default_config_static_selectorELNS0_4arch9wavefront6targetE1EEEvSN_
                                        ; -- End function
	.section	.AMDGPU.csdata,"",@progbits
; Kernel info:
; codeLenInByte = 0
; NumSgprs: 4
; NumVgprs: 0
; NumAgprs: 0
; TotalNumVgprs: 0
; ScratchSize: 0
; MemoryBound: 0
; FloatMode: 240
; IeeeMode: 1
; LDSByteSize: 0 bytes/workgroup (compile time only)
; SGPRBlocks: 0
; VGPRBlocks: 0
; NumSGPRsForWavesPerEU: 4
; NumVGPRsForWavesPerEU: 1
; AccumOffset: 4
; Occupancy: 8
; WaveLimiterHint : 0
; COMPUTE_PGM_RSRC2:SCRATCH_EN: 0
; COMPUTE_PGM_RSRC2:USER_SGPR: 6
; COMPUTE_PGM_RSRC2:TRAP_HANDLER: 0
; COMPUTE_PGM_RSRC2:TGID_X_EN: 1
; COMPUTE_PGM_RSRC2:TGID_Y_EN: 0
; COMPUTE_PGM_RSRC2:TGID_Z_EN: 0
; COMPUTE_PGM_RSRC2:TIDIG_COMP_CNT: 0
; COMPUTE_PGM_RSRC3_GFX90A:ACCUM_OFFSET: 0
; COMPUTE_PGM_RSRC3_GFX90A:TG_SPLIT: 0
	.section	.text._ZN7rocprim17ROCPRIM_400000_NS6detail17trampoline_kernelINS0_14default_configENS1_27lower_bound_config_selectorItlEEZNS1_14transform_implILb0ES3_S5_N6thrust23THRUST_200600_302600_NS17counting_iteratorItNS8_11use_defaultESA_SA_EEPlZNS1_13binary_searchIS3_S5_PtSB_SC_NS1_21lower_bound_search_opENS8_6detail16wrapped_functionI11custom_lessbEEEE10hipError_tPvRmT1_T2_T3_mmT4_T5_P12ihipStream_tbEUlRKtE_EESK_SO_SP_mSQ_ST_bEUlT_E_NS1_11comp_targetILNS1_3genE10ELNS1_11target_archE1201ELNS1_3gpuE5ELNS1_3repE0EEENS1_30default_config_static_selectorELNS0_4arch9wavefront6targetE1EEEvSN_,"axG",@progbits,_ZN7rocprim17ROCPRIM_400000_NS6detail17trampoline_kernelINS0_14default_configENS1_27lower_bound_config_selectorItlEEZNS1_14transform_implILb0ES3_S5_N6thrust23THRUST_200600_302600_NS17counting_iteratorItNS8_11use_defaultESA_SA_EEPlZNS1_13binary_searchIS3_S5_PtSB_SC_NS1_21lower_bound_search_opENS8_6detail16wrapped_functionI11custom_lessbEEEE10hipError_tPvRmT1_T2_T3_mmT4_T5_P12ihipStream_tbEUlRKtE_EESK_SO_SP_mSQ_ST_bEUlT_E_NS1_11comp_targetILNS1_3genE10ELNS1_11target_archE1201ELNS1_3gpuE5ELNS1_3repE0EEENS1_30default_config_static_selectorELNS0_4arch9wavefront6targetE1EEEvSN_,comdat
	.protected	_ZN7rocprim17ROCPRIM_400000_NS6detail17trampoline_kernelINS0_14default_configENS1_27lower_bound_config_selectorItlEEZNS1_14transform_implILb0ES3_S5_N6thrust23THRUST_200600_302600_NS17counting_iteratorItNS8_11use_defaultESA_SA_EEPlZNS1_13binary_searchIS3_S5_PtSB_SC_NS1_21lower_bound_search_opENS8_6detail16wrapped_functionI11custom_lessbEEEE10hipError_tPvRmT1_T2_T3_mmT4_T5_P12ihipStream_tbEUlRKtE_EESK_SO_SP_mSQ_ST_bEUlT_E_NS1_11comp_targetILNS1_3genE10ELNS1_11target_archE1201ELNS1_3gpuE5ELNS1_3repE0EEENS1_30default_config_static_selectorELNS0_4arch9wavefront6targetE1EEEvSN_ ; -- Begin function _ZN7rocprim17ROCPRIM_400000_NS6detail17trampoline_kernelINS0_14default_configENS1_27lower_bound_config_selectorItlEEZNS1_14transform_implILb0ES3_S5_N6thrust23THRUST_200600_302600_NS17counting_iteratorItNS8_11use_defaultESA_SA_EEPlZNS1_13binary_searchIS3_S5_PtSB_SC_NS1_21lower_bound_search_opENS8_6detail16wrapped_functionI11custom_lessbEEEE10hipError_tPvRmT1_T2_T3_mmT4_T5_P12ihipStream_tbEUlRKtE_EESK_SO_SP_mSQ_ST_bEUlT_E_NS1_11comp_targetILNS1_3genE10ELNS1_11target_archE1201ELNS1_3gpuE5ELNS1_3repE0EEENS1_30default_config_static_selectorELNS0_4arch9wavefront6targetE1EEEvSN_
	.globl	_ZN7rocprim17ROCPRIM_400000_NS6detail17trampoline_kernelINS0_14default_configENS1_27lower_bound_config_selectorItlEEZNS1_14transform_implILb0ES3_S5_N6thrust23THRUST_200600_302600_NS17counting_iteratorItNS8_11use_defaultESA_SA_EEPlZNS1_13binary_searchIS3_S5_PtSB_SC_NS1_21lower_bound_search_opENS8_6detail16wrapped_functionI11custom_lessbEEEE10hipError_tPvRmT1_T2_T3_mmT4_T5_P12ihipStream_tbEUlRKtE_EESK_SO_SP_mSQ_ST_bEUlT_E_NS1_11comp_targetILNS1_3genE10ELNS1_11target_archE1201ELNS1_3gpuE5ELNS1_3repE0EEENS1_30default_config_static_selectorELNS0_4arch9wavefront6targetE1EEEvSN_
	.p2align	8
	.type	_ZN7rocprim17ROCPRIM_400000_NS6detail17trampoline_kernelINS0_14default_configENS1_27lower_bound_config_selectorItlEEZNS1_14transform_implILb0ES3_S5_N6thrust23THRUST_200600_302600_NS17counting_iteratorItNS8_11use_defaultESA_SA_EEPlZNS1_13binary_searchIS3_S5_PtSB_SC_NS1_21lower_bound_search_opENS8_6detail16wrapped_functionI11custom_lessbEEEE10hipError_tPvRmT1_T2_T3_mmT4_T5_P12ihipStream_tbEUlRKtE_EESK_SO_SP_mSQ_ST_bEUlT_E_NS1_11comp_targetILNS1_3genE10ELNS1_11target_archE1201ELNS1_3gpuE5ELNS1_3repE0EEENS1_30default_config_static_selectorELNS0_4arch9wavefront6targetE1EEEvSN_,@function
_ZN7rocprim17ROCPRIM_400000_NS6detail17trampoline_kernelINS0_14default_configENS1_27lower_bound_config_selectorItlEEZNS1_14transform_implILb0ES3_S5_N6thrust23THRUST_200600_302600_NS17counting_iteratorItNS8_11use_defaultESA_SA_EEPlZNS1_13binary_searchIS3_S5_PtSB_SC_NS1_21lower_bound_search_opENS8_6detail16wrapped_functionI11custom_lessbEEEE10hipError_tPvRmT1_T2_T3_mmT4_T5_P12ihipStream_tbEUlRKtE_EESK_SO_SP_mSQ_ST_bEUlT_E_NS1_11comp_targetILNS1_3genE10ELNS1_11target_archE1201ELNS1_3gpuE5ELNS1_3repE0EEENS1_30default_config_static_selectorELNS0_4arch9wavefront6targetE1EEEvSN_: ; @_ZN7rocprim17ROCPRIM_400000_NS6detail17trampoline_kernelINS0_14default_configENS1_27lower_bound_config_selectorItlEEZNS1_14transform_implILb0ES3_S5_N6thrust23THRUST_200600_302600_NS17counting_iteratorItNS8_11use_defaultESA_SA_EEPlZNS1_13binary_searchIS3_S5_PtSB_SC_NS1_21lower_bound_search_opENS8_6detail16wrapped_functionI11custom_lessbEEEE10hipError_tPvRmT1_T2_T3_mmT4_T5_P12ihipStream_tbEUlRKtE_EESK_SO_SP_mSQ_ST_bEUlT_E_NS1_11comp_targetILNS1_3genE10ELNS1_11target_archE1201ELNS1_3gpuE5ELNS1_3repE0EEENS1_30default_config_static_selectorELNS0_4arch9wavefront6targetE1EEEvSN_
; %bb.0:
	.section	.rodata,"a",@progbits
	.p2align	6, 0x0
	.amdhsa_kernel _ZN7rocprim17ROCPRIM_400000_NS6detail17trampoline_kernelINS0_14default_configENS1_27lower_bound_config_selectorItlEEZNS1_14transform_implILb0ES3_S5_N6thrust23THRUST_200600_302600_NS17counting_iteratorItNS8_11use_defaultESA_SA_EEPlZNS1_13binary_searchIS3_S5_PtSB_SC_NS1_21lower_bound_search_opENS8_6detail16wrapped_functionI11custom_lessbEEEE10hipError_tPvRmT1_T2_T3_mmT4_T5_P12ihipStream_tbEUlRKtE_EESK_SO_SP_mSQ_ST_bEUlT_E_NS1_11comp_targetILNS1_3genE10ELNS1_11target_archE1201ELNS1_3gpuE5ELNS1_3repE0EEENS1_30default_config_static_selectorELNS0_4arch9wavefront6targetE1EEEvSN_
		.amdhsa_group_segment_fixed_size 0
		.amdhsa_private_segment_fixed_size 0
		.amdhsa_kernarg_size 56
		.amdhsa_user_sgpr_count 6
		.amdhsa_user_sgpr_private_segment_buffer 1
		.amdhsa_user_sgpr_dispatch_ptr 0
		.amdhsa_user_sgpr_queue_ptr 0
		.amdhsa_user_sgpr_kernarg_segment_ptr 1
		.amdhsa_user_sgpr_dispatch_id 0
		.amdhsa_user_sgpr_flat_scratch_init 0
		.amdhsa_user_sgpr_kernarg_preload_length 0
		.amdhsa_user_sgpr_kernarg_preload_offset 0
		.amdhsa_user_sgpr_private_segment_size 0
		.amdhsa_uses_dynamic_stack 0
		.amdhsa_system_sgpr_private_segment_wavefront_offset 0
		.amdhsa_system_sgpr_workgroup_id_x 1
		.amdhsa_system_sgpr_workgroup_id_y 0
		.amdhsa_system_sgpr_workgroup_id_z 0
		.amdhsa_system_sgpr_workgroup_info 0
		.amdhsa_system_vgpr_workitem_id 0
		.amdhsa_next_free_vgpr 1
		.amdhsa_next_free_sgpr 0
		.amdhsa_accum_offset 4
		.amdhsa_reserve_vcc 0
		.amdhsa_reserve_flat_scratch 0
		.amdhsa_float_round_mode_32 0
		.amdhsa_float_round_mode_16_64 0
		.amdhsa_float_denorm_mode_32 3
		.amdhsa_float_denorm_mode_16_64 3
		.amdhsa_dx10_clamp 1
		.amdhsa_ieee_mode 1
		.amdhsa_fp16_overflow 0
		.amdhsa_tg_split 0
		.amdhsa_exception_fp_ieee_invalid_op 0
		.amdhsa_exception_fp_denorm_src 0
		.amdhsa_exception_fp_ieee_div_zero 0
		.amdhsa_exception_fp_ieee_overflow 0
		.amdhsa_exception_fp_ieee_underflow 0
		.amdhsa_exception_fp_ieee_inexact 0
		.amdhsa_exception_int_div_zero 0
	.end_amdhsa_kernel
	.section	.text._ZN7rocprim17ROCPRIM_400000_NS6detail17trampoline_kernelINS0_14default_configENS1_27lower_bound_config_selectorItlEEZNS1_14transform_implILb0ES3_S5_N6thrust23THRUST_200600_302600_NS17counting_iteratorItNS8_11use_defaultESA_SA_EEPlZNS1_13binary_searchIS3_S5_PtSB_SC_NS1_21lower_bound_search_opENS8_6detail16wrapped_functionI11custom_lessbEEEE10hipError_tPvRmT1_T2_T3_mmT4_T5_P12ihipStream_tbEUlRKtE_EESK_SO_SP_mSQ_ST_bEUlT_E_NS1_11comp_targetILNS1_3genE10ELNS1_11target_archE1201ELNS1_3gpuE5ELNS1_3repE0EEENS1_30default_config_static_selectorELNS0_4arch9wavefront6targetE1EEEvSN_,"axG",@progbits,_ZN7rocprim17ROCPRIM_400000_NS6detail17trampoline_kernelINS0_14default_configENS1_27lower_bound_config_selectorItlEEZNS1_14transform_implILb0ES3_S5_N6thrust23THRUST_200600_302600_NS17counting_iteratorItNS8_11use_defaultESA_SA_EEPlZNS1_13binary_searchIS3_S5_PtSB_SC_NS1_21lower_bound_search_opENS8_6detail16wrapped_functionI11custom_lessbEEEE10hipError_tPvRmT1_T2_T3_mmT4_T5_P12ihipStream_tbEUlRKtE_EESK_SO_SP_mSQ_ST_bEUlT_E_NS1_11comp_targetILNS1_3genE10ELNS1_11target_archE1201ELNS1_3gpuE5ELNS1_3repE0EEENS1_30default_config_static_selectorELNS0_4arch9wavefront6targetE1EEEvSN_,comdat
.Lfunc_end52:
	.size	_ZN7rocprim17ROCPRIM_400000_NS6detail17trampoline_kernelINS0_14default_configENS1_27lower_bound_config_selectorItlEEZNS1_14transform_implILb0ES3_S5_N6thrust23THRUST_200600_302600_NS17counting_iteratorItNS8_11use_defaultESA_SA_EEPlZNS1_13binary_searchIS3_S5_PtSB_SC_NS1_21lower_bound_search_opENS8_6detail16wrapped_functionI11custom_lessbEEEE10hipError_tPvRmT1_T2_T3_mmT4_T5_P12ihipStream_tbEUlRKtE_EESK_SO_SP_mSQ_ST_bEUlT_E_NS1_11comp_targetILNS1_3genE10ELNS1_11target_archE1201ELNS1_3gpuE5ELNS1_3repE0EEENS1_30default_config_static_selectorELNS0_4arch9wavefront6targetE1EEEvSN_, .Lfunc_end52-_ZN7rocprim17ROCPRIM_400000_NS6detail17trampoline_kernelINS0_14default_configENS1_27lower_bound_config_selectorItlEEZNS1_14transform_implILb0ES3_S5_N6thrust23THRUST_200600_302600_NS17counting_iteratorItNS8_11use_defaultESA_SA_EEPlZNS1_13binary_searchIS3_S5_PtSB_SC_NS1_21lower_bound_search_opENS8_6detail16wrapped_functionI11custom_lessbEEEE10hipError_tPvRmT1_T2_T3_mmT4_T5_P12ihipStream_tbEUlRKtE_EESK_SO_SP_mSQ_ST_bEUlT_E_NS1_11comp_targetILNS1_3genE10ELNS1_11target_archE1201ELNS1_3gpuE5ELNS1_3repE0EEENS1_30default_config_static_selectorELNS0_4arch9wavefront6targetE1EEEvSN_
                                        ; -- End function
	.section	.AMDGPU.csdata,"",@progbits
; Kernel info:
; codeLenInByte = 0
; NumSgprs: 4
; NumVgprs: 0
; NumAgprs: 0
; TotalNumVgprs: 0
; ScratchSize: 0
; MemoryBound: 0
; FloatMode: 240
; IeeeMode: 1
; LDSByteSize: 0 bytes/workgroup (compile time only)
; SGPRBlocks: 0
; VGPRBlocks: 0
; NumSGPRsForWavesPerEU: 4
; NumVGPRsForWavesPerEU: 1
; AccumOffset: 4
; Occupancy: 8
; WaveLimiterHint : 0
; COMPUTE_PGM_RSRC2:SCRATCH_EN: 0
; COMPUTE_PGM_RSRC2:USER_SGPR: 6
; COMPUTE_PGM_RSRC2:TRAP_HANDLER: 0
; COMPUTE_PGM_RSRC2:TGID_X_EN: 1
; COMPUTE_PGM_RSRC2:TGID_Y_EN: 0
; COMPUTE_PGM_RSRC2:TGID_Z_EN: 0
; COMPUTE_PGM_RSRC2:TIDIG_COMP_CNT: 0
; COMPUTE_PGM_RSRC3_GFX90A:ACCUM_OFFSET: 0
; COMPUTE_PGM_RSRC3_GFX90A:TG_SPLIT: 0
	.section	.text._ZN7rocprim17ROCPRIM_400000_NS6detail17trampoline_kernelINS0_14default_configENS1_27lower_bound_config_selectorItlEEZNS1_14transform_implILb0ES3_S5_N6thrust23THRUST_200600_302600_NS17counting_iteratorItNS8_11use_defaultESA_SA_EEPlZNS1_13binary_searchIS3_S5_PtSB_SC_NS1_21lower_bound_search_opENS8_6detail16wrapped_functionI11custom_lessbEEEE10hipError_tPvRmT1_T2_T3_mmT4_T5_P12ihipStream_tbEUlRKtE_EESK_SO_SP_mSQ_ST_bEUlT_E_NS1_11comp_targetILNS1_3genE10ELNS1_11target_archE1200ELNS1_3gpuE4ELNS1_3repE0EEENS1_30default_config_static_selectorELNS0_4arch9wavefront6targetE1EEEvSN_,"axG",@progbits,_ZN7rocprim17ROCPRIM_400000_NS6detail17trampoline_kernelINS0_14default_configENS1_27lower_bound_config_selectorItlEEZNS1_14transform_implILb0ES3_S5_N6thrust23THRUST_200600_302600_NS17counting_iteratorItNS8_11use_defaultESA_SA_EEPlZNS1_13binary_searchIS3_S5_PtSB_SC_NS1_21lower_bound_search_opENS8_6detail16wrapped_functionI11custom_lessbEEEE10hipError_tPvRmT1_T2_T3_mmT4_T5_P12ihipStream_tbEUlRKtE_EESK_SO_SP_mSQ_ST_bEUlT_E_NS1_11comp_targetILNS1_3genE10ELNS1_11target_archE1200ELNS1_3gpuE4ELNS1_3repE0EEENS1_30default_config_static_selectorELNS0_4arch9wavefront6targetE1EEEvSN_,comdat
	.protected	_ZN7rocprim17ROCPRIM_400000_NS6detail17trampoline_kernelINS0_14default_configENS1_27lower_bound_config_selectorItlEEZNS1_14transform_implILb0ES3_S5_N6thrust23THRUST_200600_302600_NS17counting_iteratorItNS8_11use_defaultESA_SA_EEPlZNS1_13binary_searchIS3_S5_PtSB_SC_NS1_21lower_bound_search_opENS8_6detail16wrapped_functionI11custom_lessbEEEE10hipError_tPvRmT1_T2_T3_mmT4_T5_P12ihipStream_tbEUlRKtE_EESK_SO_SP_mSQ_ST_bEUlT_E_NS1_11comp_targetILNS1_3genE10ELNS1_11target_archE1200ELNS1_3gpuE4ELNS1_3repE0EEENS1_30default_config_static_selectorELNS0_4arch9wavefront6targetE1EEEvSN_ ; -- Begin function _ZN7rocprim17ROCPRIM_400000_NS6detail17trampoline_kernelINS0_14default_configENS1_27lower_bound_config_selectorItlEEZNS1_14transform_implILb0ES3_S5_N6thrust23THRUST_200600_302600_NS17counting_iteratorItNS8_11use_defaultESA_SA_EEPlZNS1_13binary_searchIS3_S5_PtSB_SC_NS1_21lower_bound_search_opENS8_6detail16wrapped_functionI11custom_lessbEEEE10hipError_tPvRmT1_T2_T3_mmT4_T5_P12ihipStream_tbEUlRKtE_EESK_SO_SP_mSQ_ST_bEUlT_E_NS1_11comp_targetILNS1_3genE10ELNS1_11target_archE1200ELNS1_3gpuE4ELNS1_3repE0EEENS1_30default_config_static_selectorELNS0_4arch9wavefront6targetE1EEEvSN_
	.globl	_ZN7rocprim17ROCPRIM_400000_NS6detail17trampoline_kernelINS0_14default_configENS1_27lower_bound_config_selectorItlEEZNS1_14transform_implILb0ES3_S5_N6thrust23THRUST_200600_302600_NS17counting_iteratorItNS8_11use_defaultESA_SA_EEPlZNS1_13binary_searchIS3_S5_PtSB_SC_NS1_21lower_bound_search_opENS8_6detail16wrapped_functionI11custom_lessbEEEE10hipError_tPvRmT1_T2_T3_mmT4_T5_P12ihipStream_tbEUlRKtE_EESK_SO_SP_mSQ_ST_bEUlT_E_NS1_11comp_targetILNS1_3genE10ELNS1_11target_archE1200ELNS1_3gpuE4ELNS1_3repE0EEENS1_30default_config_static_selectorELNS0_4arch9wavefront6targetE1EEEvSN_
	.p2align	8
	.type	_ZN7rocprim17ROCPRIM_400000_NS6detail17trampoline_kernelINS0_14default_configENS1_27lower_bound_config_selectorItlEEZNS1_14transform_implILb0ES3_S5_N6thrust23THRUST_200600_302600_NS17counting_iteratorItNS8_11use_defaultESA_SA_EEPlZNS1_13binary_searchIS3_S5_PtSB_SC_NS1_21lower_bound_search_opENS8_6detail16wrapped_functionI11custom_lessbEEEE10hipError_tPvRmT1_T2_T3_mmT4_T5_P12ihipStream_tbEUlRKtE_EESK_SO_SP_mSQ_ST_bEUlT_E_NS1_11comp_targetILNS1_3genE10ELNS1_11target_archE1200ELNS1_3gpuE4ELNS1_3repE0EEENS1_30default_config_static_selectorELNS0_4arch9wavefront6targetE1EEEvSN_,@function
_ZN7rocprim17ROCPRIM_400000_NS6detail17trampoline_kernelINS0_14default_configENS1_27lower_bound_config_selectorItlEEZNS1_14transform_implILb0ES3_S5_N6thrust23THRUST_200600_302600_NS17counting_iteratorItNS8_11use_defaultESA_SA_EEPlZNS1_13binary_searchIS3_S5_PtSB_SC_NS1_21lower_bound_search_opENS8_6detail16wrapped_functionI11custom_lessbEEEE10hipError_tPvRmT1_T2_T3_mmT4_T5_P12ihipStream_tbEUlRKtE_EESK_SO_SP_mSQ_ST_bEUlT_E_NS1_11comp_targetILNS1_3genE10ELNS1_11target_archE1200ELNS1_3gpuE4ELNS1_3repE0EEENS1_30default_config_static_selectorELNS0_4arch9wavefront6targetE1EEEvSN_: ; @_ZN7rocprim17ROCPRIM_400000_NS6detail17trampoline_kernelINS0_14default_configENS1_27lower_bound_config_selectorItlEEZNS1_14transform_implILb0ES3_S5_N6thrust23THRUST_200600_302600_NS17counting_iteratorItNS8_11use_defaultESA_SA_EEPlZNS1_13binary_searchIS3_S5_PtSB_SC_NS1_21lower_bound_search_opENS8_6detail16wrapped_functionI11custom_lessbEEEE10hipError_tPvRmT1_T2_T3_mmT4_T5_P12ihipStream_tbEUlRKtE_EESK_SO_SP_mSQ_ST_bEUlT_E_NS1_11comp_targetILNS1_3genE10ELNS1_11target_archE1200ELNS1_3gpuE4ELNS1_3repE0EEENS1_30default_config_static_selectorELNS0_4arch9wavefront6targetE1EEEvSN_
; %bb.0:
	.section	.rodata,"a",@progbits
	.p2align	6, 0x0
	.amdhsa_kernel _ZN7rocprim17ROCPRIM_400000_NS6detail17trampoline_kernelINS0_14default_configENS1_27lower_bound_config_selectorItlEEZNS1_14transform_implILb0ES3_S5_N6thrust23THRUST_200600_302600_NS17counting_iteratorItNS8_11use_defaultESA_SA_EEPlZNS1_13binary_searchIS3_S5_PtSB_SC_NS1_21lower_bound_search_opENS8_6detail16wrapped_functionI11custom_lessbEEEE10hipError_tPvRmT1_T2_T3_mmT4_T5_P12ihipStream_tbEUlRKtE_EESK_SO_SP_mSQ_ST_bEUlT_E_NS1_11comp_targetILNS1_3genE10ELNS1_11target_archE1200ELNS1_3gpuE4ELNS1_3repE0EEENS1_30default_config_static_selectorELNS0_4arch9wavefront6targetE1EEEvSN_
		.amdhsa_group_segment_fixed_size 0
		.amdhsa_private_segment_fixed_size 0
		.amdhsa_kernarg_size 56
		.amdhsa_user_sgpr_count 6
		.amdhsa_user_sgpr_private_segment_buffer 1
		.amdhsa_user_sgpr_dispatch_ptr 0
		.amdhsa_user_sgpr_queue_ptr 0
		.amdhsa_user_sgpr_kernarg_segment_ptr 1
		.amdhsa_user_sgpr_dispatch_id 0
		.amdhsa_user_sgpr_flat_scratch_init 0
		.amdhsa_user_sgpr_kernarg_preload_length 0
		.amdhsa_user_sgpr_kernarg_preload_offset 0
		.amdhsa_user_sgpr_private_segment_size 0
		.amdhsa_uses_dynamic_stack 0
		.amdhsa_system_sgpr_private_segment_wavefront_offset 0
		.amdhsa_system_sgpr_workgroup_id_x 1
		.amdhsa_system_sgpr_workgroup_id_y 0
		.amdhsa_system_sgpr_workgroup_id_z 0
		.amdhsa_system_sgpr_workgroup_info 0
		.amdhsa_system_vgpr_workitem_id 0
		.amdhsa_next_free_vgpr 1
		.amdhsa_next_free_sgpr 0
		.amdhsa_accum_offset 4
		.amdhsa_reserve_vcc 0
		.amdhsa_reserve_flat_scratch 0
		.amdhsa_float_round_mode_32 0
		.amdhsa_float_round_mode_16_64 0
		.amdhsa_float_denorm_mode_32 3
		.amdhsa_float_denorm_mode_16_64 3
		.amdhsa_dx10_clamp 1
		.amdhsa_ieee_mode 1
		.amdhsa_fp16_overflow 0
		.amdhsa_tg_split 0
		.amdhsa_exception_fp_ieee_invalid_op 0
		.amdhsa_exception_fp_denorm_src 0
		.amdhsa_exception_fp_ieee_div_zero 0
		.amdhsa_exception_fp_ieee_overflow 0
		.amdhsa_exception_fp_ieee_underflow 0
		.amdhsa_exception_fp_ieee_inexact 0
		.amdhsa_exception_int_div_zero 0
	.end_amdhsa_kernel
	.section	.text._ZN7rocprim17ROCPRIM_400000_NS6detail17trampoline_kernelINS0_14default_configENS1_27lower_bound_config_selectorItlEEZNS1_14transform_implILb0ES3_S5_N6thrust23THRUST_200600_302600_NS17counting_iteratorItNS8_11use_defaultESA_SA_EEPlZNS1_13binary_searchIS3_S5_PtSB_SC_NS1_21lower_bound_search_opENS8_6detail16wrapped_functionI11custom_lessbEEEE10hipError_tPvRmT1_T2_T3_mmT4_T5_P12ihipStream_tbEUlRKtE_EESK_SO_SP_mSQ_ST_bEUlT_E_NS1_11comp_targetILNS1_3genE10ELNS1_11target_archE1200ELNS1_3gpuE4ELNS1_3repE0EEENS1_30default_config_static_selectorELNS0_4arch9wavefront6targetE1EEEvSN_,"axG",@progbits,_ZN7rocprim17ROCPRIM_400000_NS6detail17trampoline_kernelINS0_14default_configENS1_27lower_bound_config_selectorItlEEZNS1_14transform_implILb0ES3_S5_N6thrust23THRUST_200600_302600_NS17counting_iteratorItNS8_11use_defaultESA_SA_EEPlZNS1_13binary_searchIS3_S5_PtSB_SC_NS1_21lower_bound_search_opENS8_6detail16wrapped_functionI11custom_lessbEEEE10hipError_tPvRmT1_T2_T3_mmT4_T5_P12ihipStream_tbEUlRKtE_EESK_SO_SP_mSQ_ST_bEUlT_E_NS1_11comp_targetILNS1_3genE10ELNS1_11target_archE1200ELNS1_3gpuE4ELNS1_3repE0EEENS1_30default_config_static_selectorELNS0_4arch9wavefront6targetE1EEEvSN_,comdat
.Lfunc_end53:
	.size	_ZN7rocprim17ROCPRIM_400000_NS6detail17trampoline_kernelINS0_14default_configENS1_27lower_bound_config_selectorItlEEZNS1_14transform_implILb0ES3_S5_N6thrust23THRUST_200600_302600_NS17counting_iteratorItNS8_11use_defaultESA_SA_EEPlZNS1_13binary_searchIS3_S5_PtSB_SC_NS1_21lower_bound_search_opENS8_6detail16wrapped_functionI11custom_lessbEEEE10hipError_tPvRmT1_T2_T3_mmT4_T5_P12ihipStream_tbEUlRKtE_EESK_SO_SP_mSQ_ST_bEUlT_E_NS1_11comp_targetILNS1_3genE10ELNS1_11target_archE1200ELNS1_3gpuE4ELNS1_3repE0EEENS1_30default_config_static_selectorELNS0_4arch9wavefront6targetE1EEEvSN_, .Lfunc_end53-_ZN7rocprim17ROCPRIM_400000_NS6detail17trampoline_kernelINS0_14default_configENS1_27lower_bound_config_selectorItlEEZNS1_14transform_implILb0ES3_S5_N6thrust23THRUST_200600_302600_NS17counting_iteratorItNS8_11use_defaultESA_SA_EEPlZNS1_13binary_searchIS3_S5_PtSB_SC_NS1_21lower_bound_search_opENS8_6detail16wrapped_functionI11custom_lessbEEEE10hipError_tPvRmT1_T2_T3_mmT4_T5_P12ihipStream_tbEUlRKtE_EESK_SO_SP_mSQ_ST_bEUlT_E_NS1_11comp_targetILNS1_3genE10ELNS1_11target_archE1200ELNS1_3gpuE4ELNS1_3repE0EEENS1_30default_config_static_selectorELNS0_4arch9wavefront6targetE1EEEvSN_
                                        ; -- End function
	.section	.AMDGPU.csdata,"",@progbits
; Kernel info:
; codeLenInByte = 0
; NumSgprs: 4
; NumVgprs: 0
; NumAgprs: 0
; TotalNumVgprs: 0
; ScratchSize: 0
; MemoryBound: 0
; FloatMode: 240
; IeeeMode: 1
; LDSByteSize: 0 bytes/workgroup (compile time only)
; SGPRBlocks: 0
; VGPRBlocks: 0
; NumSGPRsForWavesPerEU: 4
; NumVGPRsForWavesPerEU: 1
; AccumOffset: 4
; Occupancy: 8
; WaveLimiterHint : 0
; COMPUTE_PGM_RSRC2:SCRATCH_EN: 0
; COMPUTE_PGM_RSRC2:USER_SGPR: 6
; COMPUTE_PGM_RSRC2:TRAP_HANDLER: 0
; COMPUTE_PGM_RSRC2:TGID_X_EN: 1
; COMPUTE_PGM_RSRC2:TGID_Y_EN: 0
; COMPUTE_PGM_RSRC2:TGID_Z_EN: 0
; COMPUTE_PGM_RSRC2:TIDIG_COMP_CNT: 0
; COMPUTE_PGM_RSRC3_GFX90A:ACCUM_OFFSET: 0
; COMPUTE_PGM_RSRC3_GFX90A:TG_SPLIT: 0
	.section	.text._ZN7rocprim17ROCPRIM_400000_NS6detail17trampoline_kernelINS0_14default_configENS1_27lower_bound_config_selectorItlEEZNS1_14transform_implILb0ES3_S5_N6thrust23THRUST_200600_302600_NS17counting_iteratorItNS8_11use_defaultESA_SA_EEPlZNS1_13binary_searchIS3_S5_PtSB_SC_NS1_21lower_bound_search_opENS8_6detail16wrapped_functionI11custom_lessbEEEE10hipError_tPvRmT1_T2_T3_mmT4_T5_P12ihipStream_tbEUlRKtE_EESK_SO_SP_mSQ_ST_bEUlT_E_NS1_11comp_targetILNS1_3genE9ELNS1_11target_archE1100ELNS1_3gpuE3ELNS1_3repE0EEENS1_30default_config_static_selectorELNS0_4arch9wavefront6targetE1EEEvSN_,"axG",@progbits,_ZN7rocprim17ROCPRIM_400000_NS6detail17trampoline_kernelINS0_14default_configENS1_27lower_bound_config_selectorItlEEZNS1_14transform_implILb0ES3_S5_N6thrust23THRUST_200600_302600_NS17counting_iteratorItNS8_11use_defaultESA_SA_EEPlZNS1_13binary_searchIS3_S5_PtSB_SC_NS1_21lower_bound_search_opENS8_6detail16wrapped_functionI11custom_lessbEEEE10hipError_tPvRmT1_T2_T3_mmT4_T5_P12ihipStream_tbEUlRKtE_EESK_SO_SP_mSQ_ST_bEUlT_E_NS1_11comp_targetILNS1_3genE9ELNS1_11target_archE1100ELNS1_3gpuE3ELNS1_3repE0EEENS1_30default_config_static_selectorELNS0_4arch9wavefront6targetE1EEEvSN_,comdat
	.protected	_ZN7rocprim17ROCPRIM_400000_NS6detail17trampoline_kernelINS0_14default_configENS1_27lower_bound_config_selectorItlEEZNS1_14transform_implILb0ES3_S5_N6thrust23THRUST_200600_302600_NS17counting_iteratorItNS8_11use_defaultESA_SA_EEPlZNS1_13binary_searchIS3_S5_PtSB_SC_NS1_21lower_bound_search_opENS8_6detail16wrapped_functionI11custom_lessbEEEE10hipError_tPvRmT1_T2_T3_mmT4_T5_P12ihipStream_tbEUlRKtE_EESK_SO_SP_mSQ_ST_bEUlT_E_NS1_11comp_targetILNS1_3genE9ELNS1_11target_archE1100ELNS1_3gpuE3ELNS1_3repE0EEENS1_30default_config_static_selectorELNS0_4arch9wavefront6targetE1EEEvSN_ ; -- Begin function _ZN7rocprim17ROCPRIM_400000_NS6detail17trampoline_kernelINS0_14default_configENS1_27lower_bound_config_selectorItlEEZNS1_14transform_implILb0ES3_S5_N6thrust23THRUST_200600_302600_NS17counting_iteratorItNS8_11use_defaultESA_SA_EEPlZNS1_13binary_searchIS3_S5_PtSB_SC_NS1_21lower_bound_search_opENS8_6detail16wrapped_functionI11custom_lessbEEEE10hipError_tPvRmT1_T2_T3_mmT4_T5_P12ihipStream_tbEUlRKtE_EESK_SO_SP_mSQ_ST_bEUlT_E_NS1_11comp_targetILNS1_3genE9ELNS1_11target_archE1100ELNS1_3gpuE3ELNS1_3repE0EEENS1_30default_config_static_selectorELNS0_4arch9wavefront6targetE1EEEvSN_
	.globl	_ZN7rocprim17ROCPRIM_400000_NS6detail17trampoline_kernelINS0_14default_configENS1_27lower_bound_config_selectorItlEEZNS1_14transform_implILb0ES3_S5_N6thrust23THRUST_200600_302600_NS17counting_iteratorItNS8_11use_defaultESA_SA_EEPlZNS1_13binary_searchIS3_S5_PtSB_SC_NS1_21lower_bound_search_opENS8_6detail16wrapped_functionI11custom_lessbEEEE10hipError_tPvRmT1_T2_T3_mmT4_T5_P12ihipStream_tbEUlRKtE_EESK_SO_SP_mSQ_ST_bEUlT_E_NS1_11comp_targetILNS1_3genE9ELNS1_11target_archE1100ELNS1_3gpuE3ELNS1_3repE0EEENS1_30default_config_static_selectorELNS0_4arch9wavefront6targetE1EEEvSN_
	.p2align	8
	.type	_ZN7rocprim17ROCPRIM_400000_NS6detail17trampoline_kernelINS0_14default_configENS1_27lower_bound_config_selectorItlEEZNS1_14transform_implILb0ES3_S5_N6thrust23THRUST_200600_302600_NS17counting_iteratorItNS8_11use_defaultESA_SA_EEPlZNS1_13binary_searchIS3_S5_PtSB_SC_NS1_21lower_bound_search_opENS8_6detail16wrapped_functionI11custom_lessbEEEE10hipError_tPvRmT1_T2_T3_mmT4_T5_P12ihipStream_tbEUlRKtE_EESK_SO_SP_mSQ_ST_bEUlT_E_NS1_11comp_targetILNS1_3genE9ELNS1_11target_archE1100ELNS1_3gpuE3ELNS1_3repE0EEENS1_30default_config_static_selectorELNS0_4arch9wavefront6targetE1EEEvSN_,@function
_ZN7rocprim17ROCPRIM_400000_NS6detail17trampoline_kernelINS0_14default_configENS1_27lower_bound_config_selectorItlEEZNS1_14transform_implILb0ES3_S5_N6thrust23THRUST_200600_302600_NS17counting_iteratorItNS8_11use_defaultESA_SA_EEPlZNS1_13binary_searchIS3_S5_PtSB_SC_NS1_21lower_bound_search_opENS8_6detail16wrapped_functionI11custom_lessbEEEE10hipError_tPvRmT1_T2_T3_mmT4_T5_P12ihipStream_tbEUlRKtE_EESK_SO_SP_mSQ_ST_bEUlT_E_NS1_11comp_targetILNS1_3genE9ELNS1_11target_archE1100ELNS1_3gpuE3ELNS1_3repE0EEENS1_30default_config_static_selectorELNS0_4arch9wavefront6targetE1EEEvSN_: ; @_ZN7rocprim17ROCPRIM_400000_NS6detail17trampoline_kernelINS0_14default_configENS1_27lower_bound_config_selectorItlEEZNS1_14transform_implILb0ES3_S5_N6thrust23THRUST_200600_302600_NS17counting_iteratorItNS8_11use_defaultESA_SA_EEPlZNS1_13binary_searchIS3_S5_PtSB_SC_NS1_21lower_bound_search_opENS8_6detail16wrapped_functionI11custom_lessbEEEE10hipError_tPvRmT1_T2_T3_mmT4_T5_P12ihipStream_tbEUlRKtE_EESK_SO_SP_mSQ_ST_bEUlT_E_NS1_11comp_targetILNS1_3genE9ELNS1_11target_archE1100ELNS1_3gpuE3ELNS1_3repE0EEENS1_30default_config_static_selectorELNS0_4arch9wavefront6targetE1EEEvSN_
; %bb.0:
	.section	.rodata,"a",@progbits
	.p2align	6, 0x0
	.amdhsa_kernel _ZN7rocprim17ROCPRIM_400000_NS6detail17trampoline_kernelINS0_14default_configENS1_27lower_bound_config_selectorItlEEZNS1_14transform_implILb0ES3_S5_N6thrust23THRUST_200600_302600_NS17counting_iteratorItNS8_11use_defaultESA_SA_EEPlZNS1_13binary_searchIS3_S5_PtSB_SC_NS1_21lower_bound_search_opENS8_6detail16wrapped_functionI11custom_lessbEEEE10hipError_tPvRmT1_T2_T3_mmT4_T5_P12ihipStream_tbEUlRKtE_EESK_SO_SP_mSQ_ST_bEUlT_E_NS1_11comp_targetILNS1_3genE9ELNS1_11target_archE1100ELNS1_3gpuE3ELNS1_3repE0EEENS1_30default_config_static_selectorELNS0_4arch9wavefront6targetE1EEEvSN_
		.amdhsa_group_segment_fixed_size 0
		.amdhsa_private_segment_fixed_size 0
		.amdhsa_kernarg_size 56
		.amdhsa_user_sgpr_count 6
		.amdhsa_user_sgpr_private_segment_buffer 1
		.amdhsa_user_sgpr_dispatch_ptr 0
		.amdhsa_user_sgpr_queue_ptr 0
		.amdhsa_user_sgpr_kernarg_segment_ptr 1
		.amdhsa_user_sgpr_dispatch_id 0
		.amdhsa_user_sgpr_flat_scratch_init 0
		.amdhsa_user_sgpr_kernarg_preload_length 0
		.amdhsa_user_sgpr_kernarg_preload_offset 0
		.amdhsa_user_sgpr_private_segment_size 0
		.amdhsa_uses_dynamic_stack 0
		.amdhsa_system_sgpr_private_segment_wavefront_offset 0
		.amdhsa_system_sgpr_workgroup_id_x 1
		.amdhsa_system_sgpr_workgroup_id_y 0
		.amdhsa_system_sgpr_workgroup_id_z 0
		.amdhsa_system_sgpr_workgroup_info 0
		.amdhsa_system_vgpr_workitem_id 0
		.amdhsa_next_free_vgpr 1
		.amdhsa_next_free_sgpr 0
		.amdhsa_accum_offset 4
		.amdhsa_reserve_vcc 0
		.amdhsa_reserve_flat_scratch 0
		.amdhsa_float_round_mode_32 0
		.amdhsa_float_round_mode_16_64 0
		.amdhsa_float_denorm_mode_32 3
		.amdhsa_float_denorm_mode_16_64 3
		.amdhsa_dx10_clamp 1
		.amdhsa_ieee_mode 1
		.amdhsa_fp16_overflow 0
		.amdhsa_tg_split 0
		.amdhsa_exception_fp_ieee_invalid_op 0
		.amdhsa_exception_fp_denorm_src 0
		.amdhsa_exception_fp_ieee_div_zero 0
		.amdhsa_exception_fp_ieee_overflow 0
		.amdhsa_exception_fp_ieee_underflow 0
		.amdhsa_exception_fp_ieee_inexact 0
		.amdhsa_exception_int_div_zero 0
	.end_amdhsa_kernel
	.section	.text._ZN7rocprim17ROCPRIM_400000_NS6detail17trampoline_kernelINS0_14default_configENS1_27lower_bound_config_selectorItlEEZNS1_14transform_implILb0ES3_S5_N6thrust23THRUST_200600_302600_NS17counting_iteratorItNS8_11use_defaultESA_SA_EEPlZNS1_13binary_searchIS3_S5_PtSB_SC_NS1_21lower_bound_search_opENS8_6detail16wrapped_functionI11custom_lessbEEEE10hipError_tPvRmT1_T2_T3_mmT4_T5_P12ihipStream_tbEUlRKtE_EESK_SO_SP_mSQ_ST_bEUlT_E_NS1_11comp_targetILNS1_3genE9ELNS1_11target_archE1100ELNS1_3gpuE3ELNS1_3repE0EEENS1_30default_config_static_selectorELNS0_4arch9wavefront6targetE1EEEvSN_,"axG",@progbits,_ZN7rocprim17ROCPRIM_400000_NS6detail17trampoline_kernelINS0_14default_configENS1_27lower_bound_config_selectorItlEEZNS1_14transform_implILb0ES3_S5_N6thrust23THRUST_200600_302600_NS17counting_iteratorItNS8_11use_defaultESA_SA_EEPlZNS1_13binary_searchIS3_S5_PtSB_SC_NS1_21lower_bound_search_opENS8_6detail16wrapped_functionI11custom_lessbEEEE10hipError_tPvRmT1_T2_T3_mmT4_T5_P12ihipStream_tbEUlRKtE_EESK_SO_SP_mSQ_ST_bEUlT_E_NS1_11comp_targetILNS1_3genE9ELNS1_11target_archE1100ELNS1_3gpuE3ELNS1_3repE0EEENS1_30default_config_static_selectorELNS0_4arch9wavefront6targetE1EEEvSN_,comdat
.Lfunc_end54:
	.size	_ZN7rocprim17ROCPRIM_400000_NS6detail17trampoline_kernelINS0_14default_configENS1_27lower_bound_config_selectorItlEEZNS1_14transform_implILb0ES3_S5_N6thrust23THRUST_200600_302600_NS17counting_iteratorItNS8_11use_defaultESA_SA_EEPlZNS1_13binary_searchIS3_S5_PtSB_SC_NS1_21lower_bound_search_opENS8_6detail16wrapped_functionI11custom_lessbEEEE10hipError_tPvRmT1_T2_T3_mmT4_T5_P12ihipStream_tbEUlRKtE_EESK_SO_SP_mSQ_ST_bEUlT_E_NS1_11comp_targetILNS1_3genE9ELNS1_11target_archE1100ELNS1_3gpuE3ELNS1_3repE0EEENS1_30default_config_static_selectorELNS0_4arch9wavefront6targetE1EEEvSN_, .Lfunc_end54-_ZN7rocprim17ROCPRIM_400000_NS6detail17trampoline_kernelINS0_14default_configENS1_27lower_bound_config_selectorItlEEZNS1_14transform_implILb0ES3_S5_N6thrust23THRUST_200600_302600_NS17counting_iteratorItNS8_11use_defaultESA_SA_EEPlZNS1_13binary_searchIS3_S5_PtSB_SC_NS1_21lower_bound_search_opENS8_6detail16wrapped_functionI11custom_lessbEEEE10hipError_tPvRmT1_T2_T3_mmT4_T5_P12ihipStream_tbEUlRKtE_EESK_SO_SP_mSQ_ST_bEUlT_E_NS1_11comp_targetILNS1_3genE9ELNS1_11target_archE1100ELNS1_3gpuE3ELNS1_3repE0EEENS1_30default_config_static_selectorELNS0_4arch9wavefront6targetE1EEEvSN_
                                        ; -- End function
	.section	.AMDGPU.csdata,"",@progbits
; Kernel info:
; codeLenInByte = 0
; NumSgprs: 4
; NumVgprs: 0
; NumAgprs: 0
; TotalNumVgprs: 0
; ScratchSize: 0
; MemoryBound: 0
; FloatMode: 240
; IeeeMode: 1
; LDSByteSize: 0 bytes/workgroup (compile time only)
; SGPRBlocks: 0
; VGPRBlocks: 0
; NumSGPRsForWavesPerEU: 4
; NumVGPRsForWavesPerEU: 1
; AccumOffset: 4
; Occupancy: 8
; WaveLimiterHint : 0
; COMPUTE_PGM_RSRC2:SCRATCH_EN: 0
; COMPUTE_PGM_RSRC2:USER_SGPR: 6
; COMPUTE_PGM_RSRC2:TRAP_HANDLER: 0
; COMPUTE_PGM_RSRC2:TGID_X_EN: 1
; COMPUTE_PGM_RSRC2:TGID_Y_EN: 0
; COMPUTE_PGM_RSRC2:TGID_Z_EN: 0
; COMPUTE_PGM_RSRC2:TIDIG_COMP_CNT: 0
; COMPUTE_PGM_RSRC3_GFX90A:ACCUM_OFFSET: 0
; COMPUTE_PGM_RSRC3_GFX90A:TG_SPLIT: 0
	.section	.text._ZN7rocprim17ROCPRIM_400000_NS6detail17trampoline_kernelINS0_14default_configENS1_27lower_bound_config_selectorItlEEZNS1_14transform_implILb0ES3_S5_N6thrust23THRUST_200600_302600_NS17counting_iteratorItNS8_11use_defaultESA_SA_EEPlZNS1_13binary_searchIS3_S5_PtSB_SC_NS1_21lower_bound_search_opENS8_6detail16wrapped_functionI11custom_lessbEEEE10hipError_tPvRmT1_T2_T3_mmT4_T5_P12ihipStream_tbEUlRKtE_EESK_SO_SP_mSQ_ST_bEUlT_E_NS1_11comp_targetILNS1_3genE8ELNS1_11target_archE1030ELNS1_3gpuE2ELNS1_3repE0EEENS1_30default_config_static_selectorELNS0_4arch9wavefront6targetE1EEEvSN_,"axG",@progbits,_ZN7rocprim17ROCPRIM_400000_NS6detail17trampoline_kernelINS0_14default_configENS1_27lower_bound_config_selectorItlEEZNS1_14transform_implILb0ES3_S5_N6thrust23THRUST_200600_302600_NS17counting_iteratorItNS8_11use_defaultESA_SA_EEPlZNS1_13binary_searchIS3_S5_PtSB_SC_NS1_21lower_bound_search_opENS8_6detail16wrapped_functionI11custom_lessbEEEE10hipError_tPvRmT1_T2_T3_mmT4_T5_P12ihipStream_tbEUlRKtE_EESK_SO_SP_mSQ_ST_bEUlT_E_NS1_11comp_targetILNS1_3genE8ELNS1_11target_archE1030ELNS1_3gpuE2ELNS1_3repE0EEENS1_30default_config_static_selectorELNS0_4arch9wavefront6targetE1EEEvSN_,comdat
	.protected	_ZN7rocprim17ROCPRIM_400000_NS6detail17trampoline_kernelINS0_14default_configENS1_27lower_bound_config_selectorItlEEZNS1_14transform_implILb0ES3_S5_N6thrust23THRUST_200600_302600_NS17counting_iteratorItNS8_11use_defaultESA_SA_EEPlZNS1_13binary_searchIS3_S5_PtSB_SC_NS1_21lower_bound_search_opENS8_6detail16wrapped_functionI11custom_lessbEEEE10hipError_tPvRmT1_T2_T3_mmT4_T5_P12ihipStream_tbEUlRKtE_EESK_SO_SP_mSQ_ST_bEUlT_E_NS1_11comp_targetILNS1_3genE8ELNS1_11target_archE1030ELNS1_3gpuE2ELNS1_3repE0EEENS1_30default_config_static_selectorELNS0_4arch9wavefront6targetE1EEEvSN_ ; -- Begin function _ZN7rocprim17ROCPRIM_400000_NS6detail17trampoline_kernelINS0_14default_configENS1_27lower_bound_config_selectorItlEEZNS1_14transform_implILb0ES3_S5_N6thrust23THRUST_200600_302600_NS17counting_iteratorItNS8_11use_defaultESA_SA_EEPlZNS1_13binary_searchIS3_S5_PtSB_SC_NS1_21lower_bound_search_opENS8_6detail16wrapped_functionI11custom_lessbEEEE10hipError_tPvRmT1_T2_T3_mmT4_T5_P12ihipStream_tbEUlRKtE_EESK_SO_SP_mSQ_ST_bEUlT_E_NS1_11comp_targetILNS1_3genE8ELNS1_11target_archE1030ELNS1_3gpuE2ELNS1_3repE0EEENS1_30default_config_static_selectorELNS0_4arch9wavefront6targetE1EEEvSN_
	.globl	_ZN7rocprim17ROCPRIM_400000_NS6detail17trampoline_kernelINS0_14default_configENS1_27lower_bound_config_selectorItlEEZNS1_14transform_implILb0ES3_S5_N6thrust23THRUST_200600_302600_NS17counting_iteratorItNS8_11use_defaultESA_SA_EEPlZNS1_13binary_searchIS3_S5_PtSB_SC_NS1_21lower_bound_search_opENS8_6detail16wrapped_functionI11custom_lessbEEEE10hipError_tPvRmT1_T2_T3_mmT4_T5_P12ihipStream_tbEUlRKtE_EESK_SO_SP_mSQ_ST_bEUlT_E_NS1_11comp_targetILNS1_3genE8ELNS1_11target_archE1030ELNS1_3gpuE2ELNS1_3repE0EEENS1_30default_config_static_selectorELNS0_4arch9wavefront6targetE1EEEvSN_
	.p2align	8
	.type	_ZN7rocprim17ROCPRIM_400000_NS6detail17trampoline_kernelINS0_14default_configENS1_27lower_bound_config_selectorItlEEZNS1_14transform_implILb0ES3_S5_N6thrust23THRUST_200600_302600_NS17counting_iteratorItNS8_11use_defaultESA_SA_EEPlZNS1_13binary_searchIS3_S5_PtSB_SC_NS1_21lower_bound_search_opENS8_6detail16wrapped_functionI11custom_lessbEEEE10hipError_tPvRmT1_T2_T3_mmT4_T5_P12ihipStream_tbEUlRKtE_EESK_SO_SP_mSQ_ST_bEUlT_E_NS1_11comp_targetILNS1_3genE8ELNS1_11target_archE1030ELNS1_3gpuE2ELNS1_3repE0EEENS1_30default_config_static_selectorELNS0_4arch9wavefront6targetE1EEEvSN_,@function
_ZN7rocprim17ROCPRIM_400000_NS6detail17trampoline_kernelINS0_14default_configENS1_27lower_bound_config_selectorItlEEZNS1_14transform_implILb0ES3_S5_N6thrust23THRUST_200600_302600_NS17counting_iteratorItNS8_11use_defaultESA_SA_EEPlZNS1_13binary_searchIS3_S5_PtSB_SC_NS1_21lower_bound_search_opENS8_6detail16wrapped_functionI11custom_lessbEEEE10hipError_tPvRmT1_T2_T3_mmT4_T5_P12ihipStream_tbEUlRKtE_EESK_SO_SP_mSQ_ST_bEUlT_E_NS1_11comp_targetILNS1_3genE8ELNS1_11target_archE1030ELNS1_3gpuE2ELNS1_3repE0EEENS1_30default_config_static_selectorELNS0_4arch9wavefront6targetE1EEEvSN_: ; @_ZN7rocprim17ROCPRIM_400000_NS6detail17trampoline_kernelINS0_14default_configENS1_27lower_bound_config_selectorItlEEZNS1_14transform_implILb0ES3_S5_N6thrust23THRUST_200600_302600_NS17counting_iteratorItNS8_11use_defaultESA_SA_EEPlZNS1_13binary_searchIS3_S5_PtSB_SC_NS1_21lower_bound_search_opENS8_6detail16wrapped_functionI11custom_lessbEEEE10hipError_tPvRmT1_T2_T3_mmT4_T5_P12ihipStream_tbEUlRKtE_EESK_SO_SP_mSQ_ST_bEUlT_E_NS1_11comp_targetILNS1_3genE8ELNS1_11target_archE1030ELNS1_3gpuE2ELNS1_3repE0EEENS1_30default_config_static_selectorELNS0_4arch9wavefront6targetE1EEEvSN_
; %bb.0:
	.section	.rodata,"a",@progbits
	.p2align	6, 0x0
	.amdhsa_kernel _ZN7rocprim17ROCPRIM_400000_NS6detail17trampoline_kernelINS0_14default_configENS1_27lower_bound_config_selectorItlEEZNS1_14transform_implILb0ES3_S5_N6thrust23THRUST_200600_302600_NS17counting_iteratorItNS8_11use_defaultESA_SA_EEPlZNS1_13binary_searchIS3_S5_PtSB_SC_NS1_21lower_bound_search_opENS8_6detail16wrapped_functionI11custom_lessbEEEE10hipError_tPvRmT1_T2_T3_mmT4_T5_P12ihipStream_tbEUlRKtE_EESK_SO_SP_mSQ_ST_bEUlT_E_NS1_11comp_targetILNS1_3genE8ELNS1_11target_archE1030ELNS1_3gpuE2ELNS1_3repE0EEENS1_30default_config_static_selectorELNS0_4arch9wavefront6targetE1EEEvSN_
		.amdhsa_group_segment_fixed_size 0
		.amdhsa_private_segment_fixed_size 0
		.amdhsa_kernarg_size 56
		.amdhsa_user_sgpr_count 6
		.amdhsa_user_sgpr_private_segment_buffer 1
		.amdhsa_user_sgpr_dispatch_ptr 0
		.amdhsa_user_sgpr_queue_ptr 0
		.amdhsa_user_sgpr_kernarg_segment_ptr 1
		.amdhsa_user_sgpr_dispatch_id 0
		.amdhsa_user_sgpr_flat_scratch_init 0
		.amdhsa_user_sgpr_kernarg_preload_length 0
		.amdhsa_user_sgpr_kernarg_preload_offset 0
		.amdhsa_user_sgpr_private_segment_size 0
		.amdhsa_uses_dynamic_stack 0
		.amdhsa_system_sgpr_private_segment_wavefront_offset 0
		.amdhsa_system_sgpr_workgroup_id_x 1
		.amdhsa_system_sgpr_workgroup_id_y 0
		.amdhsa_system_sgpr_workgroup_id_z 0
		.amdhsa_system_sgpr_workgroup_info 0
		.amdhsa_system_vgpr_workitem_id 0
		.amdhsa_next_free_vgpr 1
		.amdhsa_next_free_sgpr 0
		.amdhsa_accum_offset 4
		.amdhsa_reserve_vcc 0
		.amdhsa_reserve_flat_scratch 0
		.amdhsa_float_round_mode_32 0
		.amdhsa_float_round_mode_16_64 0
		.amdhsa_float_denorm_mode_32 3
		.amdhsa_float_denorm_mode_16_64 3
		.amdhsa_dx10_clamp 1
		.amdhsa_ieee_mode 1
		.amdhsa_fp16_overflow 0
		.amdhsa_tg_split 0
		.amdhsa_exception_fp_ieee_invalid_op 0
		.amdhsa_exception_fp_denorm_src 0
		.amdhsa_exception_fp_ieee_div_zero 0
		.amdhsa_exception_fp_ieee_overflow 0
		.amdhsa_exception_fp_ieee_underflow 0
		.amdhsa_exception_fp_ieee_inexact 0
		.amdhsa_exception_int_div_zero 0
	.end_amdhsa_kernel
	.section	.text._ZN7rocprim17ROCPRIM_400000_NS6detail17trampoline_kernelINS0_14default_configENS1_27lower_bound_config_selectorItlEEZNS1_14transform_implILb0ES3_S5_N6thrust23THRUST_200600_302600_NS17counting_iteratorItNS8_11use_defaultESA_SA_EEPlZNS1_13binary_searchIS3_S5_PtSB_SC_NS1_21lower_bound_search_opENS8_6detail16wrapped_functionI11custom_lessbEEEE10hipError_tPvRmT1_T2_T3_mmT4_T5_P12ihipStream_tbEUlRKtE_EESK_SO_SP_mSQ_ST_bEUlT_E_NS1_11comp_targetILNS1_3genE8ELNS1_11target_archE1030ELNS1_3gpuE2ELNS1_3repE0EEENS1_30default_config_static_selectorELNS0_4arch9wavefront6targetE1EEEvSN_,"axG",@progbits,_ZN7rocprim17ROCPRIM_400000_NS6detail17trampoline_kernelINS0_14default_configENS1_27lower_bound_config_selectorItlEEZNS1_14transform_implILb0ES3_S5_N6thrust23THRUST_200600_302600_NS17counting_iteratorItNS8_11use_defaultESA_SA_EEPlZNS1_13binary_searchIS3_S5_PtSB_SC_NS1_21lower_bound_search_opENS8_6detail16wrapped_functionI11custom_lessbEEEE10hipError_tPvRmT1_T2_T3_mmT4_T5_P12ihipStream_tbEUlRKtE_EESK_SO_SP_mSQ_ST_bEUlT_E_NS1_11comp_targetILNS1_3genE8ELNS1_11target_archE1030ELNS1_3gpuE2ELNS1_3repE0EEENS1_30default_config_static_selectorELNS0_4arch9wavefront6targetE1EEEvSN_,comdat
.Lfunc_end55:
	.size	_ZN7rocprim17ROCPRIM_400000_NS6detail17trampoline_kernelINS0_14default_configENS1_27lower_bound_config_selectorItlEEZNS1_14transform_implILb0ES3_S5_N6thrust23THRUST_200600_302600_NS17counting_iteratorItNS8_11use_defaultESA_SA_EEPlZNS1_13binary_searchIS3_S5_PtSB_SC_NS1_21lower_bound_search_opENS8_6detail16wrapped_functionI11custom_lessbEEEE10hipError_tPvRmT1_T2_T3_mmT4_T5_P12ihipStream_tbEUlRKtE_EESK_SO_SP_mSQ_ST_bEUlT_E_NS1_11comp_targetILNS1_3genE8ELNS1_11target_archE1030ELNS1_3gpuE2ELNS1_3repE0EEENS1_30default_config_static_selectorELNS0_4arch9wavefront6targetE1EEEvSN_, .Lfunc_end55-_ZN7rocprim17ROCPRIM_400000_NS6detail17trampoline_kernelINS0_14default_configENS1_27lower_bound_config_selectorItlEEZNS1_14transform_implILb0ES3_S5_N6thrust23THRUST_200600_302600_NS17counting_iteratorItNS8_11use_defaultESA_SA_EEPlZNS1_13binary_searchIS3_S5_PtSB_SC_NS1_21lower_bound_search_opENS8_6detail16wrapped_functionI11custom_lessbEEEE10hipError_tPvRmT1_T2_T3_mmT4_T5_P12ihipStream_tbEUlRKtE_EESK_SO_SP_mSQ_ST_bEUlT_E_NS1_11comp_targetILNS1_3genE8ELNS1_11target_archE1030ELNS1_3gpuE2ELNS1_3repE0EEENS1_30default_config_static_selectorELNS0_4arch9wavefront6targetE1EEEvSN_
                                        ; -- End function
	.section	.AMDGPU.csdata,"",@progbits
; Kernel info:
; codeLenInByte = 0
; NumSgprs: 4
; NumVgprs: 0
; NumAgprs: 0
; TotalNumVgprs: 0
; ScratchSize: 0
; MemoryBound: 0
; FloatMode: 240
; IeeeMode: 1
; LDSByteSize: 0 bytes/workgroup (compile time only)
; SGPRBlocks: 0
; VGPRBlocks: 0
; NumSGPRsForWavesPerEU: 4
; NumVGPRsForWavesPerEU: 1
; AccumOffset: 4
; Occupancy: 8
; WaveLimiterHint : 0
; COMPUTE_PGM_RSRC2:SCRATCH_EN: 0
; COMPUTE_PGM_RSRC2:USER_SGPR: 6
; COMPUTE_PGM_RSRC2:TRAP_HANDLER: 0
; COMPUTE_PGM_RSRC2:TGID_X_EN: 1
; COMPUTE_PGM_RSRC2:TGID_Y_EN: 0
; COMPUTE_PGM_RSRC2:TGID_Z_EN: 0
; COMPUTE_PGM_RSRC2:TIDIG_COMP_CNT: 0
; COMPUTE_PGM_RSRC3_GFX90A:ACCUM_OFFSET: 0
; COMPUTE_PGM_RSRC3_GFX90A:TG_SPLIT: 0
	.section	.text._ZN6thrust23THRUST_200600_302600_NS11hip_rocprim14__parallel_for6kernelILj256ENS1_20__uninitialized_fill7functorINS0_10device_ptrIxEExEEmLj1EEEvT0_T1_SA_,"axG",@progbits,_ZN6thrust23THRUST_200600_302600_NS11hip_rocprim14__parallel_for6kernelILj256ENS1_20__uninitialized_fill7functorINS0_10device_ptrIxEExEEmLj1EEEvT0_T1_SA_,comdat
	.protected	_ZN6thrust23THRUST_200600_302600_NS11hip_rocprim14__parallel_for6kernelILj256ENS1_20__uninitialized_fill7functorINS0_10device_ptrIxEExEEmLj1EEEvT0_T1_SA_ ; -- Begin function _ZN6thrust23THRUST_200600_302600_NS11hip_rocprim14__parallel_for6kernelILj256ENS1_20__uninitialized_fill7functorINS0_10device_ptrIxEExEEmLj1EEEvT0_T1_SA_
	.globl	_ZN6thrust23THRUST_200600_302600_NS11hip_rocprim14__parallel_for6kernelILj256ENS1_20__uninitialized_fill7functorINS0_10device_ptrIxEExEEmLj1EEEvT0_T1_SA_
	.p2align	8
	.type	_ZN6thrust23THRUST_200600_302600_NS11hip_rocprim14__parallel_for6kernelILj256ENS1_20__uninitialized_fill7functorINS0_10device_ptrIxEExEEmLj1EEEvT0_T1_SA_,@function
_ZN6thrust23THRUST_200600_302600_NS11hip_rocprim14__parallel_for6kernelILj256ENS1_20__uninitialized_fill7functorINS0_10device_ptrIxEExEEmLj1EEEvT0_T1_SA_: ; @_ZN6thrust23THRUST_200600_302600_NS11hip_rocprim14__parallel_for6kernelILj256ENS1_20__uninitialized_fill7functorINS0_10device_ptrIxEExEEmLj1EEEvT0_T1_SA_
; %bb.0:
	s_load_dwordx8 s[8:15], s[4:5], 0x0
	s_lshl_b32 s0, s6, 8
	v_mov_b32_e32 v2, 0x100
	v_mov_b32_e32 v3, 0
	s_waitcnt lgkmcnt(0)
	s_add_u32 s0, s0, s14
	s_addc_u32 s1, 0, s15
	s_sub_u32 s2, s12, s0
	s_subb_u32 s3, s13, s1
	v_cmp_lt_u64_e32 vcc, s[2:3], v[2:3]
	s_cbranch_vccz .LBB56_2
; %bb.1:
	v_cmp_gt_u32_e32 vcc, s2, v0
	s_and_b64 s[2:3], vcc, exec
	s_cbranch_execz .LBB56_3
	s_branch .LBB56_4
.LBB56_2:
	s_mov_b64 s[2:3], 0
.LBB56_3:
	s_or_b64 s[2:3], s[2:3], exec
.LBB56_4:
	s_and_saveexec_b64 s[4:5], s[2:3]
	s_cbranch_execnz .LBB56_6
; %bb.5:
	s_endpgm
.LBB56_6:
	s_lshl_b64 s[0:1], s[0:1], 3
	v_mov_b32_e32 v1, 0
	s_add_u32 s0, s8, s0
	s_addc_u32 s1, s9, s1
	v_lshlrev_b64 v[0:1], 3, v[0:1]
	v_mov_b32_e32 v4, s1
	v_add_co_u32_e32 v0, vcc, s0, v0
	v_mov_b32_e32 v2, s10
	v_mov_b32_e32 v3, s11
	v_addc_co_u32_e32 v1, vcc, v4, v1, vcc
	flat_store_dwordx2 v[0:1], v[2:3]
	s_endpgm
	.section	.rodata,"a",@progbits
	.p2align	6, 0x0
	.amdhsa_kernel _ZN6thrust23THRUST_200600_302600_NS11hip_rocprim14__parallel_for6kernelILj256ENS1_20__uninitialized_fill7functorINS0_10device_ptrIxEExEEmLj1EEEvT0_T1_SA_
		.amdhsa_group_segment_fixed_size 0
		.amdhsa_private_segment_fixed_size 0
		.amdhsa_kernarg_size 32
		.amdhsa_user_sgpr_count 6
		.amdhsa_user_sgpr_private_segment_buffer 1
		.amdhsa_user_sgpr_dispatch_ptr 0
		.amdhsa_user_sgpr_queue_ptr 0
		.amdhsa_user_sgpr_kernarg_segment_ptr 1
		.amdhsa_user_sgpr_dispatch_id 0
		.amdhsa_user_sgpr_flat_scratch_init 0
		.amdhsa_user_sgpr_kernarg_preload_length 0
		.amdhsa_user_sgpr_kernarg_preload_offset 0
		.amdhsa_user_sgpr_private_segment_size 0
		.amdhsa_uses_dynamic_stack 0
		.amdhsa_system_sgpr_private_segment_wavefront_offset 0
		.amdhsa_system_sgpr_workgroup_id_x 1
		.amdhsa_system_sgpr_workgroup_id_y 0
		.amdhsa_system_sgpr_workgroup_id_z 0
		.amdhsa_system_sgpr_workgroup_info 0
		.amdhsa_system_vgpr_workitem_id 0
		.amdhsa_next_free_vgpr 5
		.amdhsa_next_free_sgpr 16
		.amdhsa_accum_offset 8
		.amdhsa_reserve_vcc 1
		.amdhsa_reserve_flat_scratch 0
		.amdhsa_float_round_mode_32 0
		.amdhsa_float_round_mode_16_64 0
		.amdhsa_float_denorm_mode_32 3
		.amdhsa_float_denorm_mode_16_64 3
		.amdhsa_dx10_clamp 1
		.amdhsa_ieee_mode 1
		.amdhsa_fp16_overflow 0
		.amdhsa_tg_split 0
		.amdhsa_exception_fp_ieee_invalid_op 0
		.amdhsa_exception_fp_denorm_src 0
		.amdhsa_exception_fp_ieee_div_zero 0
		.amdhsa_exception_fp_ieee_overflow 0
		.amdhsa_exception_fp_ieee_underflow 0
		.amdhsa_exception_fp_ieee_inexact 0
		.amdhsa_exception_int_div_zero 0
	.end_amdhsa_kernel
	.section	.text._ZN6thrust23THRUST_200600_302600_NS11hip_rocprim14__parallel_for6kernelILj256ENS1_20__uninitialized_fill7functorINS0_10device_ptrIxEExEEmLj1EEEvT0_T1_SA_,"axG",@progbits,_ZN6thrust23THRUST_200600_302600_NS11hip_rocprim14__parallel_for6kernelILj256ENS1_20__uninitialized_fill7functorINS0_10device_ptrIxEExEEmLj1EEEvT0_T1_SA_,comdat
.Lfunc_end56:
	.size	_ZN6thrust23THRUST_200600_302600_NS11hip_rocprim14__parallel_for6kernelILj256ENS1_20__uninitialized_fill7functorINS0_10device_ptrIxEExEEmLj1EEEvT0_T1_SA_, .Lfunc_end56-_ZN6thrust23THRUST_200600_302600_NS11hip_rocprim14__parallel_for6kernelILj256ENS1_20__uninitialized_fill7functorINS0_10device_ptrIxEExEEmLj1EEEvT0_T1_SA_
                                        ; -- End function
	.section	.AMDGPU.csdata,"",@progbits
; Kernel info:
; codeLenInByte = 144
; NumSgprs: 20
; NumVgprs: 5
; NumAgprs: 0
; TotalNumVgprs: 5
; ScratchSize: 0
; MemoryBound: 0
; FloatMode: 240
; IeeeMode: 1
; LDSByteSize: 0 bytes/workgroup (compile time only)
; SGPRBlocks: 2
; VGPRBlocks: 0
; NumSGPRsForWavesPerEU: 20
; NumVGPRsForWavesPerEU: 5
; AccumOffset: 8
; Occupancy: 8
; WaveLimiterHint : 0
; COMPUTE_PGM_RSRC2:SCRATCH_EN: 0
; COMPUTE_PGM_RSRC2:USER_SGPR: 6
; COMPUTE_PGM_RSRC2:TRAP_HANDLER: 0
; COMPUTE_PGM_RSRC2:TGID_X_EN: 1
; COMPUTE_PGM_RSRC2:TGID_Y_EN: 0
; COMPUTE_PGM_RSRC2:TGID_Z_EN: 0
; COMPUTE_PGM_RSRC2:TIDIG_COMP_CNT: 0
; COMPUTE_PGM_RSRC3_GFX90A:ACCUM_OFFSET: 1
; COMPUTE_PGM_RSRC3_GFX90A:TG_SPLIT: 0
	.section	.text._Z18lower_bound_kernelIxEvmPT_Pl,"axG",@progbits,_Z18lower_bound_kernelIxEvmPT_Pl,comdat
	.protected	_Z18lower_bound_kernelIxEvmPT_Pl ; -- Begin function _Z18lower_bound_kernelIxEvmPT_Pl
	.globl	_Z18lower_bound_kernelIxEvmPT_Pl
	.p2align	8
	.type	_Z18lower_bound_kernelIxEvmPT_Pl,@function
_Z18lower_bound_kernelIxEvmPT_Pl:       ; @_Z18lower_bound_kernelIxEvmPT_Pl
; %bb.0:
	s_load_dwordx4 s[8:11], s[4:5], 0x0
	s_load_dwordx2 s[6:7], s[4:5], 0x10
	s_mov_b64 s[2:3], 0
	s_waitcnt lgkmcnt(0)
	v_cmp_lt_i64_e64 s[0:1], s[8:9], 1
	s_and_b64 s[0:1], exec, s[0:1]
	s_mov_b64 vcc, s[0:1]
	s_cbranch_vccnz .LBB57_3
; %bb.1:
	s_mov_b64 s[4:5], s[8:9]
.LBB57_2:                               ; =>This Inner Loop Header: Depth=1
	s_sub_u32 s12, s4, s2
	s_subb_u32 s13, s5, s3
	s_lshr_b32 s14, s13, 31
	s_add_u32 s12, s12, s14
	s_addc_u32 s13, s13, 0
	s_ashr_i64 s[12:13], s[12:13], 1
	s_add_u32 s12, s12, s2
	s_addc_u32 s13, s13, s3
	s_lshl_b64 s[14:15], s[12:13], 3
	s_add_u32 s14, s10, s14
	s_addc_u32 s15, s11, s15
	s_load_dwordx2 s[14:15], s[14:15], 0x0
	s_add_u32 s16, s12, 1
	s_addc_u32 s17, s13, 0
	s_waitcnt lgkmcnt(0)
	v_cmp_lt_i64_e64 s[14:15], s[14:15], 0
	s_and_b64 s[14:15], s[14:15], exec
	s_cselect_b32 s5, s5, s13
	s_cselect_b32 s4, s4, s12
	;; [unrolled: 1-line block ×4, first 2 shown]
	v_pk_mov_b32 v[0:1], s[4:5], s[4:5] op_sel:[0,1]
	v_cmp_lt_i64_e32 vcc, s[2:3], v[0:1]
	s_cbranch_vccnz .LBB57_2
.LBB57_3:
	v_cmp_gt_i64_e64 s[4:5], s[8:9], 0
	v_cndmask_b32_e64 v3, 0, 1, s[4:5]
	v_mov_b32_e32 v2, 0
	v_pk_mov_b32 v[0:1], s[2:3], s[2:3] op_sel:[0,1]
	v_cmp_ne_u32_e64 s[2:3], 1, v3
	s_andn2_b64 vcc, exec, s[4:5]
	s_mov_b64 s[4:5], 0
	global_store_dwordx2 v2, v[0:1], s[6:7]
	s_cbranch_vccnz .LBB57_6
; %bb.4:
	s_mov_b64 s[12:13], s[8:9]
.LBB57_5:                               ; =>This Inner Loop Header: Depth=1
	s_sub_u32 s14, s12, s4
	s_subb_u32 s15, s13, s5
	s_lshr_b32 s16, s15, 31
	s_add_u32 s14, s14, s16
	s_addc_u32 s15, s15, 0
	s_ashr_i64 s[14:15], s[14:15], 1
	s_add_u32 s14, s14, s4
	s_addc_u32 s15, s15, s5
	s_lshl_b64 s[16:17], s[14:15], 3
	s_add_u32 s16, s10, s16
	s_addc_u32 s17, s11, s17
	s_load_dwordx2 s[16:17], s[16:17], 0x0
	s_add_u32 s18, s14, 1
	s_addc_u32 s19, s15, 0
	s_waitcnt lgkmcnt(0)
	v_cmp_lt_i64_e64 s[16:17], s[16:17], 1
	s_and_b64 s[16:17], s[16:17], exec
	s_cselect_b32 s13, s13, s15
	s_cselect_b32 s12, s12, s14
	s_cselect_b32 s5, s19, s5
	s_cselect_b32 s4, s18, s4
	v_pk_mov_b32 v[0:1], s[12:13], s[12:13] op_sel:[0,1]
	v_cmp_lt_i64_e32 vcc, s[4:5], v[0:1]
	s_cbranch_vccnz .LBB57_5
.LBB57_6:
	v_mov_b32_e32 v2, 0
	v_pk_mov_b32 v[0:1], s[4:5], s[4:5] op_sel:[0,1]
	s_and_b64 vcc, exec, s[2:3]
	s_mov_b64 s[4:5], 0
	global_store_dwordx2 v2, v[0:1], s[6:7] offset:8
	s_cbranch_vccnz .LBB57_9
; %bb.7:
	s_mov_b64 s[12:13], s[8:9]
.LBB57_8:                               ; =>This Inner Loop Header: Depth=1
	s_sub_u32 s14, s12, s4
	s_subb_u32 s15, s13, s5
	s_lshr_b32 s16, s15, 31
	s_add_u32 s14, s14, s16
	s_addc_u32 s15, s15, 0
	s_ashr_i64 s[14:15], s[14:15], 1
	s_add_u32 s14, s14, s4
	s_addc_u32 s15, s15, s5
	s_lshl_b64 s[16:17], s[14:15], 3
	s_add_u32 s16, s10, s16
	s_addc_u32 s17, s11, s17
	s_load_dwordx2 s[16:17], s[16:17], 0x0
	s_add_u32 s18, s14, 1
	s_addc_u32 s19, s15, 0
	s_waitcnt lgkmcnt(0)
	v_cmp_lt_i64_e64 s[16:17], s[16:17], 2
	s_and_b64 s[16:17], s[16:17], exec
	s_cselect_b32 s13, s13, s15
	s_cselect_b32 s12, s12, s14
	;; [unrolled: 1-line block ×4, first 2 shown]
	v_pk_mov_b32 v[0:1], s[12:13], s[12:13] op_sel:[0,1]
	v_cmp_lt_i64_e32 vcc, s[4:5], v[0:1]
	s_cbranch_vccnz .LBB57_8
.LBB57_9:
	v_mov_b32_e32 v2, 0
	v_pk_mov_b32 v[0:1], s[4:5], s[4:5] op_sel:[0,1]
	s_and_b64 vcc, exec, s[2:3]
	s_mov_b64 s[4:5], 0
	global_store_dwordx2 v2, v[0:1], s[6:7] offset:16
	s_cbranch_vccnz .LBB57_12
; %bb.10:
	s_mov_b64 s[12:13], s[8:9]
.LBB57_11:                              ; =>This Inner Loop Header: Depth=1
	s_sub_u32 s14, s12, s4
	s_subb_u32 s15, s13, s5
	s_lshr_b32 s16, s15, 31
	s_add_u32 s14, s14, s16
	s_addc_u32 s15, s15, 0
	s_ashr_i64 s[14:15], s[14:15], 1
	s_add_u32 s14, s14, s4
	s_addc_u32 s15, s15, s5
	s_lshl_b64 s[16:17], s[14:15], 3
	s_add_u32 s16, s10, s16
	s_addc_u32 s17, s11, s17
	s_load_dwordx2 s[16:17], s[16:17], 0x0
	s_add_u32 s18, s14, 1
	s_addc_u32 s19, s15, 0
	s_waitcnt lgkmcnt(0)
	v_cmp_lt_i64_e64 s[16:17], s[16:17], 3
	s_and_b64 s[16:17], s[16:17], exec
	s_cselect_b32 s13, s13, s15
	s_cselect_b32 s12, s12, s14
	s_cselect_b32 s5, s19, s5
	s_cselect_b32 s4, s18, s4
	v_pk_mov_b32 v[0:1], s[12:13], s[12:13] op_sel:[0,1]
	v_cmp_lt_i64_e32 vcc, s[4:5], v[0:1]
	s_cbranch_vccnz .LBB57_11
.LBB57_12:
	v_mov_b32_e32 v2, 0
	v_pk_mov_b32 v[0:1], s[4:5], s[4:5] op_sel:[0,1]
	s_and_b64 vcc, exec, s[2:3]
	s_mov_b64 s[4:5], 0
	global_store_dwordx2 v2, v[0:1], s[6:7] offset:24
	s_cbranch_vccnz .LBB57_15
; %bb.13:
	s_mov_b64 s[12:13], s[8:9]
.LBB57_14:                              ; =>This Inner Loop Header: Depth=1
	s_sub_u32 s14, s12, s4
	s_subb_u32 s15, s13, s5
	s_lshr_b32 s16, s15, 31
	s_add_u32 s14, s14, s16
	s_addc_u32 s15, s15, 0
	s_ashr_i64 s[14:15], s[14:15], 1
	s_add_u32 s14, s14, s4
	s_addc_u32 s15, s15, s5
	s_lshl_b64 s[16:17], s[14:15], 3
	s_add_u32 s16, s10, s16
	s_addc_u32 s17, s11, s17
	s_load_dwordx2 s[16:17], s[16:17], 0x0
	s_add_u32 s18, s14, 1
	s_addc_u32 s19, s15, 0
	s_waitcnt lgkmcnt(0)
	v_cmp_lt_i64_e64 s[16:17], s[16:17], 4
	s_and_b64 s[16:17], s[16:17], exec
	s_cselect_b32 s13, s13, s15
	s_cselect_b32 s12, s12, s14
	s_cselect_b32 s5, s19, s5
	s_cselect_b32 s4, s18, s4
	v_pk_mov_b32 v[0:1], s[12:13], s[12:13] op_sel:[0,1]
	v_cmp_lt_i64_e32 vcc, s[4:5], v[0:1]
	s_cbranch_vccnz .LBB57_14
.LBB57_15:
	;; [unrolled: 34-line block ×5, first 2 shown]
	v_mov_b32_e32 v0, 0
	v_pk_mov_b32 v[2:3], s[2:3], s[2:3] op_sel:[0,1]
	s_mov_b64 vcc, s[0:1]
	global_store_dwordx2 v0, v[2:3], s[6:7] offset:56
	s_cbranch_vccz .LBB57_26
; %bb.25:
	v_mov_b32_e32 v1, v0
	global_store_dwordx2 v0, v[0:1], s[6:7] offset:64
	s_mov_b64 s[0:1], 0
	s_cbranch_execz .LBB57_27
	s_branch .LBB57_31
.LBB57_26:
                                        ; implicit-def: $sgpr0_sgpr1
.LBB57_27:
	s_mov_b64 s[0:1], 0
	s_mov_b64 s[2:3], s[8:9]
.LBB57_28:                              ; =>This Inner Loop Header: Depth=1
	s_sub_u32 s4, s2, s0
	s_subb_u32 s5, s3, s1
	s_lshr_b32 s12, s5, 31
	s_add_u32 s4, s4, s12
	s_addc_u32 s5, s5, 0
	s_ashr_i64 s[4:5], s[4:5], 1
	s_add_u32 s4, s4, s0
	s_addc_u32 s5, s5, s1
	s_lshl_b64 s[12:13], s[4:5], 3
	s_add_u32 s12, s10, s12
	s_addc_u32 s13, s11, s13
	s_load_dwordx2 s[12:13], s[12:13], 0x0
	s_add_u32 s14, s4, 1
	s_addc_u32 s15, s5, 0
	s_waitcnt lgkmcnt(0)
	v_cmp_lt_i64_e64 s[12:13], s[12:13], 8
	s_and_b64 s[12:13], s[12:13], exec
	s_cselect_b32 s3, s3, s5
	s_cselect_b32 s2, s2, s4
	;; [unrolled: 1-line block ×4, first 2 shown]
	v_pk_mov_b32 v[0:1], s[2:3], s[2:3] op_sel:[0,1]
	v_cmp_lt_i64_e32 vcc, s[0:1], v[0:1]
	s_cbranch_vccnz .LBB57_28
; %bb.29:
	v_mov_b32_e32 v2, 0
	v_pk_mov_b32 v[0:1], s[0:1], s[0:1] op_sel:[0,1]
	s_mov_b64 s[0:1], 0
	global_store_dwordx2 v2, v[0:1], s[6:7] offset:64
.LBB57_30:                              ; =>This Inner Loop Header: Depth=1
	s_sub_u32 s2, s8, s0
	s_subb_u32 s3, s9, s1
	s_lshr_b32 s4, s3, 31
	s_add_u32 s2, s2, s4
	s_addc_u32 s3, s3, 0
	s_ashr_i64 s[2:3], s[2:3], 1
	s_add_u32 s2, s2, s0
	s_addc_u32 s3, s3, s1
	s_lshl_b64 s[4:5], s[2:3], 3
	s_add_u32 s4, s10, s4
	s_addc_u32 s5, s11, s5
	s_load_dwordx2 s[4:5], s[4:5], 0x0
	s_add_u32 s12, s2, 1
	s_addc_u32 s13, s3, 0
	s_waitcnt lgkmcnt(0)
	v_cmp_lt_i64_e64 s[4:5], s[4:5], 9
	s_and_b64 s[4:5], s[4:5], exec
	s_cselect_b32 s9, s9, s3
	s_cselect_b32 s8, s8, s2
	;; [unrolled: 1-line block ×4, first 2 shown]
	v_pk_mov_b32 v[0:1], s[8:9], s[8:9] op_sel:[0,1]
	v_cmp_ge_i64_e32 vcc, s[0:1], v[0:1]
	s_cbranch_vccz .LBB57_30
.LBB57_31:
	v_mov_b32_e32 v2, 0
	v_pk_mov_b32 v[0:1], s[0:1], s[0:1] op_sel:[0,1]
	global_store_dwordx2 v2, v[0:1], s[6:7] offset:72
	s_endpgm
	.section	.rodata,"a",@progbits
	.p2align	6, 0x0
	.amdhsa_kernel _Z18lower_bound_kernelIxEvmPT_Pl
		.amdhsa_group_segment_fixed_size 0
		.amdhsa_private_segment_fixed_size 0
		.amdhsa_kernarg_size 24
		.amdhsa_user_sgpr_count 6
		.amdhsa_user_sgpr_private_segment_buffer 1
		.amdhsa_user_sgpr_dispatch_ptr 0
		.amdhsa_user_sgpr_queue_ptr 0
		.amdhsa_user_sgpr_kernarg_segment_ptr 1
		.amdhsa_user_sgpr_dispatch_id 0
		.amdhsa_user_sgpr_flat_scratch_init 0
		.amdhsa_user_sgpr_kernarg_preload_length 0
		.amdhsa_user_sgpr_kernarg_preload_offset 0
		.amdhsa_user_sgpr_private_segment_size 0
		.amdhsa_uses_dynamic_stack 0
		.amdhsa_system_sgpr_private_segment_wavefront_offset 0
		.amdhsa_system_sgpr_workgroup_id_x 1
		.amdhsa_system_sgpr_workgroup_id_y 0
		.amdhsa_system_sgpr_workgroup_id_z 0
		.amdhsa_system_sgpr_workgroup_info 0
		.amdhsa_system_vgpr_workitem_id 0
		.amdhsa_next_free_vgpr 4
		.amdhsa_next_free_sgpr 20
		.amdhsa_accum_offset 4
		.amdhsa_reserve_vcc 1
		.amdhsa_reserve_flat_scratch 0
		.amdhsa_float_round_mode_32 0
		.amdhsa_float_round_mode_16_64 0
		.amdhsa_float_denorm_mode_32 3
		.amdhsa_float_denorm_mode_16_64 3
		.amdhsa_dx10_clamp 1
		.amdhsa_ieee_mode 1
		.amdhsa_fp16_overflow 0
		.amdhsa_tg_split 0
		.amdhsa_exception_fp_ieee_invalid_op 0
		.amdhsa_exception_fp_denorm_src 0
		.amdhsa_exception_fp_ieee_div_zero 0
		.amdhsa_exception_fp_ieee_overflow 0
		.amdhsa_exception_fp_ieee_underflow 0
		.amdhsa_exception_fp_ieee_inexact 0
		.amdhsa_exception_int_div_zero 0
	.end_amdhsa_kernel
	.section	.text._Z18lower_bound_kernelIxEvmPT_Pl,"axG",@progbits,_Z18lower_bound_kernelIxEvmPT_Pl,comdat
.Lfunc_end57:
	.size	_Z18lower_bound_kernelIxEvmPT_Pl, .Lfunc_end57-_Z18lower_bound_kernelIxEvmPT_Pl
                                        ; -- End function
	.section	.AMDGPU.csdata,"",@progbits
; Kernel info:
; codeLenInByte = 1512
; NumSgprs: 24
; NumVgprs: 4
; NumAgprs: 0
; TotalNumVgprs: 4
; ScratchSize: 0
; MemoryBound: 0
; FloatMode: 240
; IeeeMode: 1
; LDSByteSize: 0 bytes/workgroup (compile time only)
; SGPRBlocks: 2
; VGPRBlocks: 0
; NumSGPRsForWavesPerEU: 24
; NumVGPRsForWavesPerEU: 4
; AccumOffset: 4
; Occupancy: 8
; WaveLimiterHint : 0
; COMPUTE_PGM_RSRC2:SCRATCH_EN: 0
; COMPUTE_PGM_RSRC2:USER_SGPR: 6
; COMPUTE_PGM_RSRC2:TRAP_HANDLER: 0
; COMPUTE_PGM_RSRC2:TGID_X_EN: 1
; COMPUTE_PGM_RSRC2:TGID_Y_EN: 0
; COMPUTE_PGM_RSRC2:TGID_Z_EN: 0
; COMPUTE_PGM_RSRC2:TIDIG_COMP_CNT: 0
; COMPUTE_PGM_RSRC3_GFX90A:ACCUM_OFFSET: 0
; COMPUTE_PGM_RSRC3_GFX90A:TG_SPLIT: 0
	.section	.text._ZN7rocprim17ROCPRIM_400000_NS6detail17trampoline_kernelINS0_14default_configENS1_27lower_bound_config_selectorIxlEEZNS1_14transform_implILb0ES3_S5_N6thrust23THRUST_200600_302600_NS17counting_iteratorIxNS8_11use_defaultESA_SA_EEPlZNS1_13binary_searchIS3_S5_PxSB_SC_NS1_21lower_bound_search_opENS8_6detail16wrapped_functionI11custom_lessbEEEE10hipError_tPvRmT1_T2_T3_mmT4_T5_P12ihipStream_tbEUlRKxE_EESK_SO_SP_mSQ_ST_bEUlT_E_NS1_11comp_targetILNS1_3genE0ELNS1_11target_archE4294967295ELNS1_3gpuE0ELNS1_3repE0EEENS1_30default_config_static_selectorELNS0_4arch9wavefront6targetE1EEEvSN_,"axG",@progbits,_ZN7rocprim17ROCPRIM_400000_NS6detail17trampoline_kernelINS0_14default_configENS1_27lower_bound_config_selectorIxlEEZNS1_14transform_implILb0ES3_S5_N6thrust23THRUST_200600_302600_NS17counting_iteratorIxNS8_11use_defaultESA_SA_EEPlZNS1_13binary_searchIS3_S5_PxSB_SC_NS1_21lower_bound_search_opENS8_6detail16wrapped_functionI11custom_lessbEEEE10hipError_tPvRmT1_T2_T3_mmT4_T5_P12ihipStream_tbEUlRKxE_EESK_SO_SP_mSQ_ST_bEUlT_E_NS1_11comp_targetILNS1_3genE0ELNS1_11target_archE4294967295ELNS1_3gpuE0ELNS1_3repE0EEENS1_30default_config_static_selectorELNS0_4arch9wavefront6targetE1EEEvSN_,comdat
	.protected	_ZN7rocprim17ROCPRIM_400000_NS6detail17trampoline_kernelINS0_14default_configENS1_27lower_bound_config_selectorIxlEEZNS1_14transform_implILb0ES3_S5_N6thrust23THRUST_200600_302600_NS17counting_iteratorIxNS8_11use_defaultESA_SA_EEPlZNS1_13binary_searchIS3_S5_PxSB_SC_NS1_21lower_bound_search_opENS8_6detail16wrapped_functionI11custom_lessbEEEE10hipError_tPvRmT1_T2_T3_mmT4_T5_P12ihipStream_tbEUlRKxE_EESK_SO_SP_mSQ_ST_bEUlT_E_NS1_11comp_targetILNS1_3genE0ELNS1_11target_archE4294967295ELNS1_3gpuE0ELNS1_3repE0EEENS1_30default_config_static_selectorELNS0_4arch9wavefront6targetE1EEEvSN_ ; -- Begin function _ZN7rocprim17ROCPRIM_400000_NS6detail17trampoline_kernelINS0_14default_configENS1_27lower_bound_config_selectorIxlEEZNS1_14transform_implILb0ES3_S5_N6thrust23THRUST_200600_302600_NS17counting_iteratorIxNS8_11use_defaultESA_SA_EEPlZNS1_13binary_searchIS3_S5_PxSB_SC_NS1_21lower_bound_search_opENS8_6detail16wrapped_functionI11custom_lessbEEEE10hipError_tPvRmT1_T2_T3_mmT4_T5_P12ihipStream_tbEUlRKxE_EESK_SO_SP_mSQ_ST_bEUlT_E_NS1_11comp_targetILNS1_3genE0ELNS1_11target_archE4294967295ELNS1_3gpuE0ELNS1_3repE0EEENS1_30default_config_static_selectorELNS0_4arch9wavefront6targetE1EEEvSN_
	.globl	_ZN7rocprim17ROCPRIM_400000_NS6detail17trampoline_kernelINS0_14default_configENS1_27lower_bound_config_selectorIxlEEZNS1_14transform_implILb0ES3_S5_N6thrust23THRUST_200600_302600_NS17counting_iteratorIxNS8_11use_defaultESA_SA_EEPlZNS1_13binary_searchIS3_S5_PxSB_SC_NS1_21lower_bound_search_opENS8_6detail16wrapped_functionI11custom_lessbEEEE10hipError_tPvRmT1_T2_T3_mmT4_T5_P12ihipStream_tbEUlRKxE_EESK_SO_SP_mSQ_ST_bEUlT_E_NS1_11comp_targetILNS1_3genE0ELNS1_11target_archE4294967295ELNS1_3gpuE0ELNS1_3repE0EEENS1_30default_config_static_selectorELNS0_4arch9wavefront6targetE1EEEvSN_
	.p2align	8
	.type	_ZN7rocprim17ROCPRIM_400000_NS6detail17trampoline_kernelINS0_14default_configENS1_27lower_bound_config_selectorIxlEEZNS1_14transform_implILb0ES3_S5_N6thrust23THRUST_200600_302600_NS17counting_iteratorIxNS8_11use_defaultESA_SA_EEPlZNS1_13binary_searchIS3_S5_PxSB_SC_NS1_21lower_bound_search_opENS8_6detail16wrapped_functionI11custom_lessbEEEE10hipError_tPvRmT1_T2_T3_mmT4_T5_P12ihipStream_tbEUlRKxE_EESK_SO_SP_mSQ_ST_bEUlT_E_NS1_11comp_targetILNS1_3genE0ELNS1_11target_archE4294967295ELNS1_3gpuE0ELNS1_3repE0EEENS1_30default_config_static_selectorELNS0_4arch9wavefront6targetE1EEEvSN_,@function
_ZN7rocprim17ROCPRIM_400000_NS6detail17trampoline_kernelINS0_14default_configENS1_27lower_bound_config_selectorIxlEEZNS1_14transform_implILb0ES3_S5_N6thrust23THRUST_200600_302600_NS17counting_iteratorIxNS8_11use_defaultESA_SA_EEPlZNS1_13binary_searchIS3_S5_PxSB_SC_NS1_21lower_bound_search_opENS8_6detail16wrapped_functionI11custom_lessbEEEE10hipError_tPvRmT1_T2_T3_mmT4_T5_P12ihipStream_tbEUlRKxE_EESK_SO_SP_mSQ_ST_bEUlT_E_NS1_11comp_targetILNS1_3genE0ELNS1_11target_archE4294967295ELNS1_3gpuE0ELNS1_3repE0EEENS1_30default_config_static_selectorELNS0_4arch9wavefront6targetE1EEEvSN_: ; @_ZN7rocprim17ROCPRIM_400000_NS6detail17trampoline_kernelINS0_14default_configENS1_27lower_bound_config_selectorIxlEEZNS1_14transform_implILb0ES3_S5_N6thrust23THRUST_200600_302600_NS17counting_iteratorIxNS8_11use_defaultESA_SA_EEPlZNS1_13binary_searchIS3_S5_PxSB_SC_NS1_21lower_bound_search_opENS8_6detail16wrapped_functionI11custom_lessbEEEE10hipError_tPvRmT1_T2_T3_mmT4_T5_P12ihipStream_tbEUlRKxE_EESK_SO_SP_mSQ_ST_bEUlT_E_NS1_11comp_targetILNS1_3genE0ELNS1_11target_archE4294967295ELNS1_3gpuE0ELNS1_3repE0EEENS1_30default_config_static_selectorELNS0_4arch9wavefront6targetE1EEEvSN_
; %bb.0:
	.section	.rodata,"a",@progbits
	.p2align	6, 0x0
	.amdhsa_kernel _ZN7rocprim17ROCPRIM_400000_NS6detail17trampoline_kernelINS0_14default_configENS1_27lower_bound_config_selectorIxlEEZNS1_14transform_implILb0ES3_S5_N6thrust23THRUST_200600_302600_NS17counting_iteratorIxNS8_11use_defaultESA_SA_EEPlZNS1_13binary_searchIS3_S5_PxSB_SC_NS1_21lower_bound_search_opENS8_6detail16wrapped_functionI11custom_lessbEEEE10hipError_tPvRmT1_T2_T3_mmT4_T5_P12ihipStream_tbEUlRKxE_EESK_SO_SP_mSQ_ST_bEUlT_E_NS1_11comp_targetILNS1_3genE0ELNS1_11target_archE4294967295ELNS1_3gpuE0ELNS1_3repE0EEENS1_30default_config_static_selectorELNS0_4arch9wavefront6targetE1EEEvSN_
		.amdhsa_group_segment_fixed_size 0
		.amdhsa_private_segment_fixed_size 0
		.amdhsa_kernarg_size 56
		.amdhsa_user_sgpr_count 6
		.amdhsa_user_sgpr_private_segment_buffer 1
		.amdhsa_user_sgpr_dispatch_ptr 0
		.amdhsa_user_sgpr_queue_ptr 0
		.amdhsa_user_sgpr_kernarg_segment_ptr 1
		.amdhsa_user_sgpr_dispatch_id 0
		.amdhsa_user_sgpr_flat_scratch_init 0
		.amdhsa_user_sgpr_kernarg_preload_length 0
		.amdhsa_user_sgpr_kernarg_preload_offset 0
		.amdhsa_user_sgpr_private_segment_size 0
		.amdhsa_uses_dynamic_stack 0
		.amdhsa_system_sgpr_private_segment_wavefront_offset 0
		.amdhsa_system_sgpr_workgroup_id_x 1
		.amdhsa_system_sgpr_workgroup_id_y 0
		.amdhsa_system_sgpr_workgroup_id_z 0
		.amdhsa_system_sgpr_workgroup_info 0
		.amdhsa_system_vgpr_workitem_id 0
		.amdhsa_next_free_vgpr 1
		.amdhsa_next_free_sgpr 0
		.amdhsa_accum_offset 4
		.amdhsa_reserve_vcc 0
		.amdhsa_reserve_flat_scratch 0
		.amdhsa_float_round_mode_32 0
		.amdhsa_float_round_mode_16_64 0
		.amdhsa_float_denorm_mode_32 3
		.amdhsa_float_denorm_mode_16_64 3
		.amdhsa_dx10_clamp 1
		.amdhsa_ieee_mode 1
		.amdhsa_fp16_overflow 0
		.amdhsa_tg_split 0
		.amdhsa_exception_fp_ieee_invalid_op 0
		.amdhsa_exception_fp_denorm_src 0
		.amdhsa_exception_fp_ieee_div_zero 0
		.amdhsa_exception_fp_ieee_overflow 0
		.amdhsa_exception_fp_ieee_underflow 0
		.amdhsa_exception_fp_ieee_inexact 0
		.amdhsa_exception_int_div_zero 0
	.end_amdhsa_kernel
	.section	.text._ZN7rocprim17ROCPRIM_400000_NS6detail17trampoline_kernelINS0_14default_configENS1_27lower_bound_config_selectorIxlEEZNS1_14transform_implILb0ES3_S5_N6thrust23THRUST_200600_302600_NS17counting_iteratorIxNS8_11use_defaultESA_SA_EEPlZNS1_13binary_searchIS3_S5_PxSB_SC_NS1_21lower_bound_search_opENS8_6detail16wrapped_functionI11custom_lessbEEEE10hipError_tPvRmT1_T2_T3_mmT4_T5_P12ihipStream_tbEUlRKxE_EESK_SO_SP_mSQ_ST_bEUlT_E_NS1_11comp_targetILNS1_3genE0ELNS1_11target_archE4294967295ELNS1_3gpuE0ELNS1_3repE0EEENS1_30default_config_static_selectorELNS0_4arch9wavefront6targetE1EEEvSN_,"axG",@progbits,_ZN7rocprim17ROCPRIM_400000_NS6detail17trampoline_kernelINS0_14default_configENS1_27lower_bound_config_selectorIxlEEZNS1_14transform_implILb0ES3_S5_N6thrust23THRUST_200600_302600_NS17counting_iteratorIxNS8_11use_defaultESA_SA_EEPlZNS1_13binary_searchIS3_S5_PxSB_SC_NS1_21lower_bound_search_opENS8_6detail16wrapped_functionI11custom_lessbEEEE10hipError_tPvRmT1_T2_T3_mmT4_T5_P12ihipStream_tbEUlRKxE_EESK_SO_SP_mSQ_ST_bEUlT_E_NS1_11comp_targetILNS1_3genE0ELNS1_11target_archE4294967295ELNS1_3gpuE0ELNS1_3repE0EEENS1_30default_config_static_selectorELNS0_4arch9wavefront6targetE1EEEvSN_,comdat
.Lfunc_end58:
	.size	_ZN7rocprim17ROCPRIM_400000_NS6detail17trampoline_kernelINS0_14default_configENS1_27lower_bound_config_selectorIxlEEZNS1_14transform_implILb0ES3_S5_N6thrust23THRUST_200600_302600_NS17counting_iteratorIxNS8_11use_defaultESA_SA_EEPlZNS1_13binary_searchIS3_S5_PxSB_SC_NS1_21lower_bound_search_opENS8_6detail16wrapped_functionI11custom_lessbEEEE10hipError_tPvRmT1_T2_T3_mmT4_T5_P12ihipStream_tbEUlRKxE_EESK_SO_SP_mSQ_ST_bEUlT_E_NS1_11comp_targetILNS1_3genE0ELNS1_11target_archE4294967295ELNS1_3gpuE0ELNS1_3repE0EEENS1_30default_config_static_selectorELNS0_4arch9wavefront6targetE1EEEvSN_, .Lfunc_end58-_ZN7rocprim17ROCPRIM_400000_NS6detail17trampoline_kernelINS0_14default_configENS1_27lower_bound_config_selectorIxlEEZNS1_14transform_implILb0ES3_S5_N6thrust23THRUST_200600_302600_NS17counting_iteratorIxNS8_11use_defaultESA_SA_EEPlZNS1_13binary_searchIS3_S5_PxSB_SC_NS1_21lower_bound_search_opENS8_6detail16wrapped_functionI11custom_lessbEEEE10hipError_tPvRmT1_T2_T3_mmT4_T5_P12ihipStream_tbEUlRKxE_EESK_SO_SP_mSQ_ST_bEUlT_E_NS1_11comp_targetILNS1_3genE0ELNS1_11target_archE4294967295ELNS1_3gpuE0ELNS1_3repE0EEENS1_30default_config_static_selectorELNS0_4arch9wavefront6targetE1EEEvSN_
                                        ; -- End function
	.section	.AMDGPU.csdata,"",@progbits
; Kernel info:
; codeLenInByte = 0
; NumSgprs: 4
; NumVgprs: 0
; NumAgprs: 0
; TotalNumVgprs: 0
; ScratchSize: 0
; MemoryBound: 0
; FloatMode: 240
; IeeeMode: 1
; LDSByteSize: 0 bytes/workgroup (compile time only)
; SGPRBlocks: 0
; VGPRBlocks: 0
; NumSGPRsForWavesPerEU: 4
; NumVGPRsForWavesPerEU: 1
; AccumOffset: 4
; Occupancy: 8
; WaveLimiterHint : 0
; COMPUTE_PGM_RSRC2:SCRATCH_EN: 0
; COMPUTE_PGM_RSRC2:USER_SGPR: 6
; COMPUTE_PGM_RSRC2:TRAP_HANDLER: 0
; COMPUTE_PGM_RSRC2:TGID_X_EN: 1
; COMPUTE_PGM_RSRC2:TGID_Y_EN: 0
; COMPUTE_PGM_RSRC2:TGID_Z_EN: 0
; COMPUTE_PGM_RSRC2:TIDIG_COMP_CNT: 0
; COMPUTE_PGM_RSRC3_GFX90A:ACCUM_OFFSET: 0
; COMPUTE_PGM_RSRC3_GFX90A:TG_SPLIT: 0
	.section	.text._ZN7rocprim17ROCPRIM_400000_NS6detail17trampoline_kernelINS0_14default_configENS1_27lower_bound_config_selectorIxlEEZNS1_14transform_implILb0ES3_S5_N6thrust23THRUST_200600_302600_NS17counting_iteratorIxNS8_11use_defaultESA_SA_EEPlZNS1_13binary_searchIS3_S5_PxSB_SC_NS1_21lower_bound_search_opENS8_6detail16wrapped_functionI11custom_lessbEEEE10hipError_tPvRmT1_T2_T3_mmT4_T5_P12ihipStream_tbEUlRKxE_EESK_SO_SP_mSQ_ST_bEUlT_E_NS1_11comp_targetILNS1_3genE5ELNS1_11target_archE942ELNS1_3gpuE9ELNS1_3repE0EEENS1_30default_config_static_selectorELNS0_4arch9wavefront6targetE1EEEvSN_,"axG",@progbits,_ZN7rocprim17ROCPRIM_400000_NS6detail17trampoline_kernelINS0_14default_configENS1_27lower_bound_config_selectorIxlEEZNS1_14transform_implILb0ES3_S5_N6thrust23THRUST_200600_302600_NS17counting_iteratorIxNS8_11use_defaultESA_SA_EEPlZNS1_13binary_searchIS3_S5_PxSB_SC_NS1_21lower_bound_search_opENS8_6detail16wrapped_functionI11custom_lessbEEEE10hipError_tPvRmT1_T2_T3_mmT4_T5_P12ihipStream_tbEUlRKxE_EESK_SO_SP_mSQ_ST_bEUlT_E_NS1_11comp_targetILNS1_3genE5ELNS1_11target_archE942ELNS1_3gpuE9ELNS1_3repE0EEENS1_30default_config_static_selectorELNS0_4arch9wavefront6targetE1EEEvSN_,comdat
	.protected	_ZN7rocprim17ROCPRIM_400000_NS6detail17trampoline_kernelINS0_14default_configENS1_27lower_bound_config_selectorIxlEEZNS1_14transform_implILb0ES3_S5_N6thrust23THRUST_200600_302600_NS17counting_iteratorIxNS8_11use_defaultESA_SA_EEPlZNS1_13binary_searchIS3_S5_PxSB_SC_NS1_21lower_bound_search_opENS8_6detail16wrapped_functionI11custom_lessbEEEE10hipError_tPvRmT1_T2_T3_mmT4_T5_P12ihipStream_tbEUlRKxE_EESK_SO_SP_mSQ_ST_bEUlT_E_NS1_11comp_targetILNS1_3genE5ELNS1_11target_archE942ELNS1_3gpuE9ELNS1_3repE0EEENS1_30default_config_static_selectorELNS0_4arch9wavefront6targetE1EEEvSN_ ; -- Begin function _ZN7rocprim17ROCPRIM_400000_NS6detail17trampoline_kernelINS0_14default_configENS1_27lower_bound_config_selectorIxlEEZNS1_14transform_implILb0ES3_S5_N6thrust23THRUST_200600_302600_NS17counting_iteratorIxNS8_11use_defaultESA_SA_EEPlZNS1_13binary_searchIS3_S5_PxSB_SC_NS1_21lower_bound_search_opENS8_6detail16wrapped_functionI11custom_lessbEEEE10hipError_tPvRmT1_T2_T3_mmT4_T5_P12ihipStream_tbEUlRKxE_EESK_SO_SP_mSQ_ST_bEUlT_E_NS1_11comp_targetILNS1_3genE5ELNS1_11target_archE942ELNS1_3gpuE9ELNS1_3repE0EEENS1_30default_config_static_selectorELNS0_4arch9wavefront6targetE1EEEvSN_
	.globl	_ZN7rocprim17ROCPRIM_400000_NS6detail17trampoline_kernelINS0_14default_configENS1_27lower_bound_config_selectorIxlEEZNS1_14transform_implILb0ES3_S5_N6thrust23THRUST_200600_302600_NS17counting_iteratorIxNS8_11use_defaultESA_SA_EEPlZNS1_13binary_searchIS3_S5_PxSB_SC_NS1_21lower_bound_search_opENS8_6detail16wrapped_functionI11custom_lessbEEEE10hipError_tPvRmT1_T2_T3_mmT4_T5_P12ihipStream_tbEUlRKxE_EESK_SO_SP_mSQ_ST_bEUlT_E_NS1_11comp_targetILNS1_3genE5ELNS1_11target_archE942ELNS1_3gpuE9ELNS1_3repE0EEENS1_30default_config_static_selectorELNS0_4arch9wavefront6targetE1EEEvSN_
	.p2align	8
	.type	_ZN7rocprim17ROCPRIM_400000_NS6detail17trampoline_kernelINS0_14default_configENS1_27lower_bound_config_selectorIxlEEZNS1_14transform_implILb0ES3_S5_N6thrust23THRUST_200600_302600_NS17counting_iteratorIxNS8_11use_defaultESA_SA_EEPlZNS1_13binary_searchIS3_S5_PxSB_SC_NS1_21lower_bound_search_opENS8_6detail16wrapped_functionI11custom_lessbEEEE10hipError_tPvRmT1_T2_T3_mmT4_T5_P12ihipStream_tbEUlRKxE_EESK_SO_SP_mSQ_ST_bEUlT_E_NS1_11comp_targetILNS1_3genE5ELNS1_11target_archE942ELNS1_3gpuE9ELNS1_3repE0EEENS1_30default_config_static_selectorELNS0_4arch9wavefront6targetE1EEEvSN_,@function
_ZN7rocprim17ROCPRIM_400000_NS6detail17trampoline_kernelINS0_14default_configENS1_27lower_bound_config_selectorIxlEEZNS1_14transform_implILb0ES3_S5_N6thrust23THRUST_200600_302600_NS17counting_iteratorIxNS8_11use_defaultESA_SA_EEPlZNS1_13binary_searchIS3_S5_PxSB_SC_NS1_21lower_bound_search_opENS8_6detail16wrapped_functionI11custom_lessbEEEE10hipError_tPvRmT1_T2_T3_mmT4_T5_P12ihipStream_tbEUlRKxE_EESK_SO_SP_mSQ_ST_bEUlT_E_NS1_11comp_targetILNS1_3genE5ELNS1_11target_archE942ELNS1_3gpuE9ELNS1_3repE0EEENS1_30default_config_static_selectorELNS0_4arch9wavefront6targetE1EEEvSN_: ; @_ZN7rocprim17ROCPRIM_400000_NS6detail17trampoline_kernelINS0_14default_configENS1_27lower_bound_config_selectorIxlEEZNS1_14transform_implILb0ES3_S5_N6thrust23THRUST_200600_302600_NS17counting_iteratorIxNS8_11use_defaultESA_SA_EEPlZNS1_13binary_searchIS3_S5_PxSB_SC_NS1_21lower_bound_search_opENS8_6detail16wrapped_functionI11custom_lessbEEEE10hipError_tPvRmT1_T2_T3_mmT4_T5_P12ihipStream_tbEUlRKxE_EESK_SO_SP_mSQ_ST_bEUlT_E_NS1_11comp_targetILNS1_3genE5ELNS1_11target_archE942ELNS1_3gpuE9ELNS1_3repE0EEENS1_30default_config_static_selectorELNS0_4arch9wavefront6targetE1EEEvSN_
; %bb.0:
	.section	.rodata,"a",@progbits
	.p2align	6, 0x0
	.amdhsa_kernel _ZN7rocprim17ROCPRIM_400000_NS6detail17trampoline_kernelINS0_14default_configENS1_27lower_bound_config_selectorIxlEEZNS1_14transform_implILb0ES3_S5_N6thrust23THRUST_200600_302600_NS17counting_iteratorIxNS8_11use_defaultESA_SA_EEPlZNS1_13binary_searchIS3_S5_PxSB_SC_NS1_21lower_bound_search_opENS8_6detail16wrapped_functionI11custom_lessbEEEE10hipError_tPvRmT1_T2_T3_mmT4_T5_P12ihipStream_tbEUlRKxE_EESK_SO_SP_mSQ_ST_bEUlT_E_NS1_11comp_targetILNS1_3genE5ELNS1_11target_archE942ELNS1_3gpuE9ELNS1_3repE0EEENS1_30default_config_static_selectorELNS0_4arch9wavefront6targetE1EEEvSN_
		.amdhsa_group_segment_fixed_size 0
		.amdhsa_private_segment_fixed_size 0
		.amdhsa_kernarg_size 56
		.amdhsa_user_sgpr_count 6
		.amdhsa_user_sgpr_private_segment_buffer 1
		.amdhsa_user_sgpr_dispatch_ptr 0
		.amdhsa_user_sgpr_queue_ptr 0
		.amdhsa_user_sgpr_kernarg_segment_ptr 1
		.amdhsa_user_sgpr_dispatch_id 0
		.amdhsa_user_sgpr_flat_scratch_init 0
		.amdhsa_user_sgpr_kernarg_preload_length 0
		.amdhsa_user_sgpr_kernarg_preload_offset 0
		.amdhsa_user_sgpr_private_segment_size 0
		.amdhsa_uses_dynamic_stack 0
		.amdhsa_system_sgpr_private_segment_wavefront_offset 0
		.amdhsa_system_sgpr_workgroup_id_x 1
		.amdhsa_system_sgpr_workgroup_id_y 0
		.amdhsa_system_sgpr_workgroup_id_z 0
		.amdhsa_system_sgpr_workgroup_info 0
		.amdhsa_system_vgpr_workitem_id 0
		.amdhsa_next_free_vgpr 1
		.amdhsa_next_free_sgpr 0
		.amdhsa_accum_offset 4
		.amdhsa_reserve_vcc 0
		.amdhsa_reserve_flat_scratch 0
		.amdhsa_float_round_mode_32 0
		.amdhsa_float_round_mode_16_64 0
		.amdhsa_float_denorm_mode_32 3
		.amdhsa_float_denorm_mode_16_64 3
		.amdhsa_dx10_clamp 1
		.amdhsa_ieee_mode 1
		.amdhsa_fp16_overflow 0
		.amdhsa_tg_split 0
		.amdhsa_exception_fp_ieee_invalid_op 0
		.amdhsa_exception_fp_denorm_src 0
		.amdhsa_exception_fp_ieee_div_zero 0
		.amdhsa_exception_fp_ieee_overflow 0
		.amdhsa_exception_fp_ieee_underflow 0
		.amdhsa_exception_fp_ieee_inexact 0
		.amdhsa_exception_int_div_zero 0
	.end_amdhsa_kernel
	.section	.text._ZN7rocprim17ROCPRIM_400000_NS6detail17trampoline_kernelINS0_14default_configENS1_27lower_bound_config_selectorIxlEEZNS1_14transform_implILb0ES3_S5_N6thrust23THRUST_200600_302600_NS17counting_iteratorIxNS8_11use_defaultESA_SA_EEPlZNS1_13binary_searchIS3_S5_PxSB_SC_NS1_21lower_bound_search_opENS8_6detail16wrapped_functionI11custom_lessbEEEE10hipError_tPvRmT1_T2_T3_mmT4_T5_P12ihipStream_tbEUlRKxE_EESK_SO_SP_mSQ_ST_bEUlT_E_NS1_11comp_targetILNS1_3genE5ELNS1_11target_archE942ELNS1_3gpuE9ELNS1_3repE0EEENS1_30default_config_static_selectorELNS0_4arch9wavefront6targetE1EEEvSN_,"axG",@progbits,_ZN7rocprim17ROCPRIM_400000_NS6detail17trampoline_kernelINS0_14default_configENS1_27lower_bound_config_selectorIxlEEZNS1_14transform_implILb0ES3_S5_N6thrust23THRUST_200600_302600_NS17counting_iteratorIxNS8_11use_defaultESA_SA_EEPlZNS1_13binary_searchIS3_S5_PxSB_SC_NS1_21lower_bound_search_opENS8_6detail16wrapped_functionI11custom_lessbEEEE10hipError_tPvRmT1_T2_T3_mmT4_T5_P12ihipStream_tbEUlRKxE_EESK_SO_SP_mSQ_ST_bEUlT_E_NS1_11comp_targetILNS1_3genE5ELNS1_11target_archE942ELNS1_3gpuE9ELNS1_3repE0EEENS1_30default_config_static_selectorELNS0_4arch9wavefront6targetE1EEEvSN_,comdat
.Lfunc_end59:
	.size	_ZN7rocprim17ROCPRIM_400000_NS6detail17trampoline_kernelINS0_14default_configENS1_27lower_bound_config_selectorIxlEEZNS1_14transform_implILb0ES3_S5_N6thrust23THRUST_200600_302600_NS17counting_iteratorIxNS8_11use_defaultESA_SA_EEPlZNS1_13binary_searchIS3_S5_PxSB_SC_NS1_21lower_bound_search_opENS8_6detail16wrapped_functionI11custom_lessbEEEE10hipError_tPvRmT1_T2_T3_mmT4_T5_P12ihipStream_tbEUlRKxE_EESK_SO_SP_mSQ_ST_bEUlT_E_NS1_11comp_targetILNS1_3genE5ELNS1_11target_archE942ELNS1_3gpuE9ELNS1_3repE0EEENS1_30default_config_static_selectorELNS0_4arch9wavefront6targetE1EEEvSN_, .Lfunc_end59-_ZN7rocprim17ROCPRIM_400000_NS6detail17trampoline_kernelINS0_14default_configENS1_27lower_bound_config_selectorIxlEEZNS1_14transform_implILb0ES3_S5_N6thrust23THRUST_200600_302600_NS17counting_iteratorIxNS8_11use_defaultESA_SA_EEPlZNS1_13binary_searchIS3_S5_PxSB_SC_NS1_21lower_bound_search_opENS8_6detail16wrapped_functionI11custom_lessbEEEE10hipError_tPvRmT1_T2_T3_mmT4_T5_P12ihipStream_tbEUlRKxE_EESK_SO_SP_mSQ_ST_bEUlT_E_NS1_11comp_targetILNS1_3genE5ELNS1_11target_archE942ELNS1_3gpuE9ELNS1_3repE0EEENS1_30default_config_static_selectorELNS0_4arch9wavefront6targetE1EEEvSN_
                                        ; -- End function
	.section	.AMDGPU.csdata,"",@progbits
; Kernel info:
; codeLenInByte = 0
; NumSgprs: 4
; NumVgprs: 0
; NumAgprs: 0
; TotalNumVgprs: 0
; ScratchSize: 0
; MemoryBound: 0
; FloatMode: 240
; IeeeMode: 1
; LDSByteSize: 0 bytes/workgroup (compile time only)
; SGPRBlocks: 0
; VGPRBlocks: 0
; NumSGPRsForWavesPerEU: 4
; NumVGPRsForWavesPerEU: 1
; AccumOffset: 4
; Occupancy: 8
; WaveLimiterHint : 0
; COMPUTE_PGM_RSRC2:SCRATCH_EN: 0
; COMPUTE_PGM_RSRC2:USER_SGPR: 6
; COMPUTE_PGM_RSRC2:TRAP_HANDLER: 0
; COMPUTE_PGM_RSRC2:TGID_X_EN: 1
; COMPUTE_PGM_RSRC2:TGID_Y_EN: 0
; COMPUTE_PGM_RSRC2:TGID_Z_EN: 0
; COMPUTE_PGM_RSRC2:TIDIG_COMP_CNT: 0
; COMPUTE_PGM_RSRC3_GFX90A:ACCUM_OFFSET: 0
; COMPUTE_PGM_RSRC3_GFX90A:TG_SPLIT: 0
	.section	.text._ZN7rocprim17ROCPRIM_400000_NS6detail17trampoline_kernelINS0_14default_configENS1_27lower_bound_config_selectorIxlEEZNS1_14transform_implILb0ES3_S5_N6thrust23THRUST_200600_302600_NS17counting_iteratorIxNS8_11use_defaultESA_SA_EEPlZNS1_13binary_searchIS3_S5_PxSB_SC_NS1_21lower_bound_search_opENS8_6detail16wrapped_functionI11custom_lessbEEEE10hipError_tPvRmT1_T2_T3_mmT4_T5_P12ihipStream_tbEUlRKxE_EESK_SO_SP_mSQ_ST_bEUlT_E_NS1_11comp_targetILNS1_3genE4ELNS1_11target_archE910ELNS1_3gpuE8ELNS1_3repE0EEENS1_30default_config_static_selectorELNS0_4arch9wavefront6targetE1EEEvSN_,"axG",@progbits,_ZN7rocprim17ROCPRIM_400000_NS6detail17trampoline_kernelINS0_14default_configENS1_27lower_bound_config_selectorIxlEEZNS1_14transform_implILb0ES3_S5_N6thrust23THRUST_200600_302600_NS17counting_iteratorIxNS8_11use_defaultESA_SA_EEPlZNS1_13binary_searchIS3_S5_PxSB_SC_NS1_21lower_bound_search_opENS8_6detail16wrapped_functionI11custom_lessbEEEE10hipError_tPvRmT1_T2_T3_mmT4_T5_P12ihipStream_tbEUlRKxE_EESK_SO_SP_mSQ_ST_bEUlT_E_NS1_11comp_targetILNS1_3genE4ELNS1_11target_archE910ELNS1_3gpuE8ELNS1_3repE0EEENS1_30default_config_static_selectorELNS0_4arch9wavefront6targetE1EEEvSN_,comdat
	.protected	_ZN7rocprim17ROCPRIM_400000_NS6detail17trampoline_kernelINS0_14default_configENS1_27lower_bound_config_selectorIxlEEZNS1_14transform_implILb0ES3_S5_N6thrust23THRUST_200600_302600_NS17counting_iteratorIxNS8_11use_defaultESA_SA_EEPlZNS1_13binary_searchIS3_S5_PxSB_SC_NS1_21lower_bound_search_opENS8_6detail16wrapped_functionI11custom_lessbEEEE10hipError_tPvRmT1_T2_T3_mmT4_T5_P12ihipStream_tbEUlRKxE_EESK_SO_SP_mSQ_ST_bEUlT_E_NS1_11comp_targetILNS1_3genE4ELNS1_11target_archE910ELNS1_3gpuE8ELNS1_3repE0EEENS1_30default_config_static_selectorELNS0_4arch9wavefront6targetE1EEEvSN_ ; -- Begin function _ZN7rocprim17ROCPRIM_400000_NS6detail17trampoline_kernelINS0_14default_configENS1_27lower_bound_config_selectorIxlEEZNS1_14transform_implILb0ES3_S5_N6thrust23THRUST_200600_302600_NS17counting_iteratorIxNS8_11use_defaultESA_SA_EEPlZNS1_13binary_searchIS3_S5_PxSB_SC_NS1_21lower_bound_search_opENS8_6detail16wrapped_functionI11custom_lessbEEEE10hipError_tPvRmT1_T2_T3_mmT4_T5_P12ihipStream_tbEUlRKxE_EESK_SO_SP_mSQ_ST_bEUlT_E_NS1_11comp_targetILNS1_3genE4ELNS1_11target_archE910ELNS1_3gpuE8ELNS1_3repE0EEENS1_30default_config_static_selectorELNS0_4arch9wavefront6targetE1EEEvSN_
	.globl	_ZN7rocprim17ROCPRIM_400000_NS6detail17trampoline_kernelINS0_14default_configENS1_27lower_bound_config_selectorIxlEEZNS1_14transform_implILb0ES3_S5_N6thrust23THRUST_200600_302600_NS17counting_iteratorIxNS8_11use_defaultESA_SA_EEPlZNS1_13binary_searchIS3_S5_PxSB_SC_NS1_21lower_bound_search_opENS8_6detail16wrapped_functionI11custom_lessbEEEE10hipError_tPvRmT1_T2_T3_mmT4_T5_P12ihipStream_tbEUlRKxE_EESK_SO_SP_mSQ_ST_bEUlT_E_NS1_11comp_targetILNS1_3genE4ELNS1_11target_archE910ELNS1_3gpuE8ELNS1_3repE0EEENS1_30default_config_static_selectorELNS0_4arch9wavefront6targetE1EEEvSN_
	.p2align	8
	.type	_ZN7rocprim17ROCPRIM_400000_NS6detail17trampoline_kernelINS0_14default_configENS1_27lower_bound_config_selectorIxlEEZNS1_14transform_implILb0ES3_S5_N6thrust23THRUST_200600_302600_NS17counting_iteratorIxNS8_11use_defaultESA_SA_EEPlZNS1_13binary_searchIS3_S5_PxSB_SC_NS1_21lower_bound_search_opENS8_6detail16wrapped_functionI11custom_lessbEEEE10hipError_tPvRmT1_T2_T3_mmT4_T5_P12ihipStream_tbEUlRKxE_EESK_SO_SP_mSQ_ST_bEUlT_E_NS1_11comp_targetILNS1_3genE4ELNS1_11target_archE910ELNS1_3gpuE8ELNS1_3repE0EEENS1_30default_config_static_selectorELNS0_4arch9wavefront6targetE1EEEvSN_,@function
_ZN7rocprim17ROCPRIM_400000_NS6detail17trampoline_kernelINS0_14default_configENS1_27lower_bound_config_selectorIxlEEZNS1_14transform_implILb0ES3_S5_N6thrust23THRUST_200600_302600_NS17counting_iteratorIxNS8_11use_defaultESA_SA_EEPlZNS1_13binary_searchIS3_S5_PxSB_SC_NS1_21lower_bound_search_opENS8_6detail16wrapped_functionI11custom_lessbEEEE10hipError_tPvRmT1_T2_T3_mmT4_T5_P12ihipStream_tbEUlRKxE_EESK_SO_SP_mSQ_ST_bEUlT_E_NS1_11comp_targetILNS1_3genE4ELNS1_11target_archE910ELNS1_3gpuE8ELNS1_3repE0EEENS1_30default_config_static_selectorELNS0_4arch9wavefront6targetE1EEEvSN_: ; @_ZN7rocprim17ROCPRIM_400000_NS6detail17trampoline_kernelINS0_14default_configENS1_27lower_bound_config_selectorIxlEEZNS1_14transform_implILb0ES3_S5_N6thrust23THRUST_200600_302600_NS17counting_iteratorIxNS8_11use_defaultESA_SA_EEPlZNS1_13binary_searchIS3_S5_PxSB_SC_NS1_21lower_bound_search_opENS8_6detail16wrapped_functionI11custom_lessbEEEE10hipError_tPvRmT1_T2_T3_mmT4_T5_P12ihipStream_tbEUlRKxE_EESK_SO_SP_mSQ_ST_bEUlT_E_NS1_11comp_targetILNS1_3genE4ELNS1_11target_archE910ELNS1_3gpuE8ELNS1_3repE0EEENS1_30default_config_static_selectorELNS0_4arch9wavefront6targetE1EEEvSN_
; %bb.0:
	s_load_dwordx4 s[0:3], s[4:5], 0x0
	s_load_dwordx2 s[12:13], s[4:5], 0x28
	s_load_dword s7, s[4:5], 0x38
	s_load_dwordx4 s[8:11], s[4:5], 0x18
	s_waitcnt lgkmcnt(0)
	s_add_u32 s16, s2, s0
	s_addc_u32 s17, s3, s1
	s_lshl_b32 s0, s6, 6
	s_add_i32 s7, s7, -1
	s_cmp_lg_u32 s6, s7
	s_mov_b32 s1, 0
	s_cbranch_scc0 .LBB60_6
; %bb.1:
	v_mov_b32_e32 v1, 0
	s_mov_b64 s[14:15], 0
	s_cmp_eq_u64 s[12:13], 0
	v_pk_mov_b32 v[2:3], 0, 0
	s_cbranch_scc1 .LBB60_5
; %bb.2:
	s_add_u32 s6, s16, s0
	s_addc_u32 s7, s17, 0
	v_mov_b32_e32 v2, s7
	v_add_co_u32_e32 v4, vcc, s6, v0
	v_addc_co_u32_e32 v5, vcc, 0, v2, vcc
	s_mov_b64 s[6:7], 0
	v_pk_mov_b32 v[2:3], 0, 0
	v_pk_mov_b32 v[6:7], s[12:13], s[12:13] op_sel:[0,1]
	v_mov_b32_e32 v8, s11
.LBB60_3:                               ; =>This Inner Loop Header: Depth=1
	v_sub_co_u32_e32 v10, vcc, v6, v2
	v_subb_co_u32_e32 v11, vcc, v7, v3, vcc
	v_lshrrev_b64 v[12:13], 1, v[10:11]
	v_add_co_u32_e32 v9, vcc, v12, v2
	v_lshrrev_b64 v[10:11], 6, v[10:11]
	v_addc_co_u32_e32 v12, vcc, v13, v3, vcc
	v_add_co_u32_e32 v10, vcc, v9, v10
	v_addc_co_u32_e32 v11, vcc, v12, v11, vcc
	v_lshlrev_b64 v[12:13], 3, v[10:11]
	v_add_co_u32_e32 v12, vcc, s10, v12
	v_addc_co_u32_e32 v13, vcc, v8, v13, vcc
	global_load_dwordx2 v[12:13], v[12:13], off
	v_add_co_u32_e32 v9, vcc, 1, v10
	v_addc_co_u32_e32 v14, vcc, 0, v11, vcc
	s_waitcnt vmcnt(0)
	v_cmp_lt_i64_e32 vcc, v[12:13], v[4:5]
	v_cndmask_b32_e32 v7, v11, v7, vcc
	v_cndmask_b32_e32 v6, v10, v6, vcc
	;; [unrolled: 1-line block ×4, first 2 shown]
	v_cmp_ge_u64_e32 vcc, v[2:3], v[6:7]
	s_or_b64 s[6:7], vcc, s[6:7]
	s_andn2_b64 exec, exec, s[6:7]
	s_cbranch_execnz .LBB60_3
; %bb.4:
	s_or_b64 exec, exec, s[6:7]
.LBB60_5:
	s_mov_b64 s[6:7], -1
	s_andn2_b64 vcc, exec, s[14:15]
	s_cbranch_vccz .LBB60_7
	s_branch .LBB60_13
.LBB60_6:
	s_mov_b64 s[6:7], 0
                                        ; implicit-def: $vgpr2_vgpr3
.LBB60_7:
	s_load_dword s4, s[4:5], 0x10
	v_mov_b32_e32 v1, 0
                                        ; implicit-def: $vgpr2_vgpr3
	s_waitcnt lgkmcnt(0)
	s_sub_i32 s4, s4, s0
	v_cmp_gt_u32_e64 s[6:7], s4, v0
	s_and_saveexec_b64 s[4:5], s[6:7]
	s_cbranch_execz .LBB60_12
; %bb.8:
	s_mov_b64 s[14:15], 0
	s_cmp_eq_u64 s[12:13], 0
	v_pk_mov_b32 v[2:3], 0, 0
	s_cbranch_scc1 .LBB60_12
; %bb.9:
	s_add_u32 s16, s16, s0
	s_addc_u32 s17, s17, 0
	v_mov_b32_e32 v2, s17
	v_add_co_u32_e32 v4, vcc, s16, v0
	v_addc_co_u32_e32 v5, vcc, 0, v2, vcc
	v_pk_mov_b32 v[2:3], 0, 0
	v_pk_mov_b32 v[6:7], s[12:13], s[12:13] op_sel:[0,1]
	v_mov_b32_e32 v8, s11
.LBB60_10:                              ; =>This Inner Loop Header: Depth=1
	v_sub_co_u32_e32 v10, vcc, v6, v2
	v_subb_co_u32_e32 v11, vcc, v7, v3, vcc
	v_lshrrev_b64 v[12:13], 1, v[10:11]
	v_add_co_u32_e32 v9, vcc, v12, v2
	v_lshrrev_b64 v[10:11], 6, v[10:11]
	v_addc_co_u32_e32 v12, vcc, v13, v3, vcc
	v_add_co_u32_e32 v10, vcc, v9, v10
	v_addc_co_u32_e32 v11, vcc, v12, v11, vcc
	v_lshlrev_b64 v[12:13], 3, v[10:11]
	v_add_co_u32_e32 v12, vcc, s10, v12
	v_addc_co_u32_e32 v13, vcc, v8, v13, vcc
	global_load_dwordx2 v[12:13], v[12:13], off
	v_add_co_u32_e32 v9, vcc, 1, v10
	v_addc_co_u32_e32 v14, vcc, 0, v11, vcc
	s_waitcnt vmcnt(0)
	v_cmp_lt_i64_e32 vcc, v[12:13], v[4:5]
	v_cndmask_b32_e32 v7, v11, v7, vcc
	v_cndmask_b32_e32 v6, v10, v6, vcc
	;; [unrolled: 1-line block ×4, first 2 shown]
	v_cmp_ge_u64_e32 vcc, v[2:3], v[6:7]
	s_or_b64 s[14:15], vcc, s[14:15]
	s_andn2_b64 exec, exec, s[14:15]
	s_cbranch_execnz .LBB60_10
; %bb.11:
	s_or_b64 exec, exec, s[14:15]
.LBB60_12:
	s_or_b64 exec, exec, s[4:5]
.LBB60_13:
	s_and_saveexec_b64 s[4:5], s[6:7]
	s_cbranch_execnz .LBB60_15
; %bb.14:
	s_endpgm
.LBB60_15:
	s_lshl_b64 s[2:3], s[2:3], 3
	s_add_u32 s2, s8, s2
	s_addc_u32 s3, s9, s3
	s_lshl_b64 s[0:1], s[0:1], 3
	s_add_u32 s0, s2, s0
	s_addc_u32 s1, s3, s1
	v_lshlrev_b64 v[0:1], 3, v[0:1]
	v_mov_b32_e32 v4, s1
	v_add_co_u32_e32 v0, vcc, s0, v0
	v_addc_co_u32_e32 v1, vcc, v4, v1, vcc
	global_store_dwordx2 v[0:1], v[2:3], off
	s_endpgm
	.section	.rodata,"a",@progbits
	.p2align	6, 0x0
	.amdhsa_kernel _ZN7rocprim17ROCPRIM_400000_NS6detail17trampoline_kernelINS0_14default_configENS1_27lower_bound_config_selectorIxlEEZNS1_14transform_implILb0ES3_S5_N6thrust23THRUST_200600_302600_NS17counting_iteratorIxNS8_11use_defaultESA_SA_EEPlZNS1_13binary_searchIS3_S5_PxSB_SC_NS1_21lower_bound_search_opENS8_6detail16wrapped_functionI11custom_lessbEEEE10hipError_tPvRmT1_T2_T3_mmT4_T5_P12ihipStream_tbEUlRKxE_EESK_SO_SP_mSQ_ST_bEUlT_E_NS1_11comp_targetILNS1_3genE4ELNS1_11target_archE910ELNS1_3gpuE8ELNS1_3repE0EEENS1_30default_config_static_selectorELNS0_4arch9wavefront6targetE1EEEvSN_
		.amdhsa_group_segment_fixed_size 0
		.amdhsa_private_segment_fixed_size 0
		.amdhsa_kernarg_size 312
		.amdhsa_user_sgpr_count 6
		.amdhsa_user_sgpr_private_segment_buffer 1
		.amdhsa_user_sgpr_dispatch_ptr 0
		.amdhsa_user_sgpr_queue_ptr 0
		.amdhsa_user_sgpr_kernarg_segment_ptr 1
		.amdhsa_user_sgpr_dispatch_id 0
		.amdhsa_user_sgpr_flat_scratch_init 0
		.amdhsa_user_sgpr_kernarg_preload_length 0
		.amdhsa_user_sgpr_kernarg_preload_offset 0
		.amdhsa_user_sgpr_private_segment_size 0
		.amdhsa_uses_dynamic_stack 0
		.amdhsa_system_sgpr_private_segment_wavefront_offset 0
		.amdhsa_system_sgpr_workgroup_id_x 1
		.amdhsa_system_sgpr_workgroup_id_y 0
		.amdhsa_system_sgpr_workgroup_id_z 0
		.amdhsa_system_sgpr_workgroup_info 0
		.amdhsa_system_vgpr_workitem_id 0
		.amdhsa_next_free_vgpr 15
		.amdhsa_next_free_sgpr 18
		.amdhsa_accum_offset 16
		.amdhsa_reserve_vcc 1
		.amdhsa_reserve_flat_scratch 0
		.amdhsa_float_round_mode_32 0
		.amdhsa_float_round_mode_16_64 0
		.amdhsa_float_denorm_mode_32 3
		.amdhsa_float_denorm_mode_16_64 3
		.amdhsa_dx10_clamp 1
		.amdhsa_ieee_mode 1
		.amdhsa_fp16_overflow 0
		.amdhsa_tg_split 0
		.amdhsa_exception_fp_ieee_invalid_op 0
		.amdhsa_exception_fp_denorm_src 0
		.amdhsa_exception_fp_ieee_div_zero 0
		.amdhsa_exception_fp_ieee_overflow 0
		.amdhsa_exception_fp_ieee_underflow 0
		.amdhsa_exception_fp_ieee_inexact 0
		.amdhsa_exception_int_div_zero 0
	.end_amdhsa_kernel
	.section	.text._ZN7rocprim17ROCPRIM_400000_NS6detail17trampoline_kernelINS0_14default_configENS1_27lower_bound_config_selectorIxlEEZNS1_14transform_implILb0ES3_S5_N6thrust23THRUST_200600_302600_NS17counting_iteratorIxNS8_11use_defaultESA_SA_EEPlZNS1_13binary_searchIS3_S5_PxSB_SC_NS1_21lower_bound_search_opENS8_6detail16wrapped_functionI11custom_lessbEEEE10hipError_tPvRmT1_T2_T3_mmT4_T5_P12ihipStream_tbEUlRKxE_EESK_SO_SP_mSQ_ST_bEUlT_E_NS1_11comp_targetILNS1_3genE4ELNS1_11target_archE910ELNS1_3gpuE8ELNS1_3repE0EEENS1_30default_config_static_selectorELNS0_4arch9wavefront6targetE1EEEvSN_,"axG",@progbits,_ZN7rocprim17ROCPRIM_400000_NS6detail17trampoline_kernelINS0_14default_configENS1_27lower_bound_config_selectorIxlEEZNS1_14transform_implILb0ES3_S5_N6thrust23THRUST_200600_302600_NS17counting_iteratorIxNS8_11use_defaultESA_SA_EEPlZNS1_13binary_searchIS3_S5_PxSB_SC_NS1_21lower_bound_search_opENS8_6detail16wrapped_functionI11custom_lessbEEEE10hipError_tPvRmT1_T2_T3_mmT4_T5_P12ihipStream_tbEUlRKxE_EESK_SO_SP_mSQ_ST_bEUlT_E_NS1_11comp_targetILNS1_3genE4ELNS1_11target_archE910ELNS1_3gpuE8ELNS1_3repE0EEENS1_30default_config_static_selectorELNS0_4arch9wavefront6targetE1EEEvSN_,comdat
.Lfunc_end60:
	.size	_ZN7rocprim17ROCPRIM_400000_NS6detail17trampoline_kernelINS0_14default_configENS1_27lower_bound_config_selectorIxlEEZNS1_14transform_implILb0ES3_S5_N6thrust23THRUST_200600_302600_NS17counting_iteratorIxNS8_11use_defaultESA_SA_EEPlZNS1_13binary_searchIS3_S5_PxSB_SC_NS1_21lower_bound_search_opENS8_6detail16wrapped_functionI11custom_lessbEEEE10hipError_tPvRmT1_T2_T3_mmT4_T5_P12ihipStream_tbEUlRKxE_EESK_SO_SP_mSQ_ST_bEUlT_E_NS1_11comp_targetILNS1_3genE4ELNS1_11target_archE910ELNS1_3gpuE8ELNS1_3repE0EEENS1_30default_config_static_selectorELNS0_4arch9wavefront6targetE1EEEvSN_, .Lfunc_end60-_ZN7rocprim17ROCPRIM_400000_NS6detail17trampoline_kernelINS0_14default_configENS1_27lower_bound_config_selectorIxlEEZNS1_14transform_implILb0ES3_S5_N6thrust23THRUST_200600_302600_NS17counting_iteratorIxNS8_11use_defaultESA_SA_EEPlZNS1_13binary_searchIS3_S5_PxSB_SC_NS1_21lower_bound_search_opENS8_6detail16wrapped_functionI11custom_lessbEEEE10hipError_tPvRmT1_T2_T3_mmT4_T5_P12ihipStream_tbEUlRKxE_EESK_SO_SP_mSQ_ST_bEUlT_E_NS1_11comp_targetILNS1_3genE4ELNS1_11target_archE910ELNS1_3gpuE8ELNS1_3repE0EEENS1_30default_config_static_selectorELNS0_4arch9wavefront6targetE1EEEvSN_
                                        ; -- End function
	.section	.AMDGPU.csdata,"",@progbits
; Kernel info:
; codeLenInByte = 552
; NumSgprs: 22
; NumVgprs: 15
; NumAgprs: 0
; TotalNumVgprs: 15
; ScratchSize: 0
; MemoryBound: 0
; FloatMode: 240
; IeeeMode: 1
; LDSByteSize: 0 bytes/workgroup (compile time only)
; SGPRBlocks: 2
; VGPRBlocks: 1
; NumSGPRsForWavesPerEU: 22
; NumVGPRsForWavesPerEU: 15
; AccumOffset: 16
; Occupancy: 8
; WaveLimiterHint : 0
; COMPUTE_PGM_RSRC2:SCRATCH_EN: 0
; COMPUTE_PGM_RSRC2:USER_SGPR: 6
; COMPUTE_PGM_RSRC2:TRAP_HANDLER: 0
; COMPUTE_PGM_RSRC2:TGID_X_EN: 1
; COMPUTE_PGM_RSRC2:TGID_Y_EN: 0
; COMPUTE_PGM_RSRC2:TGID_Z_EN: 0
; COMPUTE_PGM_RSRC2:TIDIG_COMP_CNT: 0
; COMPUTE_PGM_RSRC3_GFX90A:ACCUM_OFFSET: 3
; COMPUTE_PGM_RSRC3_GFX90A:TG_SPLIT: 0
	.section	.text._ZN7rocprim17ROCPRIM_400000_NS6detail17trampoline_kernelINS0_14default_configENS1_27lower_bound_config_selectorIxlEEZNS1_14transform_implILb0ES3_S5_N6thrust23THRUST_200600_302600_NS17counting_iteratorIxNS8_11use_defaultESA_SA_EEPlZNS1_13binary_searchIS3_S5_PxSB_SC_NS1_21lower_bound_search_opENS8_6detail16wrapped_functionI11custom_lessbEEEE10hipError_tPvRmT1_T2_T3_mmT4_T5_P12ihipStream_tbEUlRKxE_EESK_SO_SP_mSQ_ST_bEUlT_E_NS1_11comp_targetILNS1_3genE3ELNS1_11target_archE908ELNS1_3gpuE7ELNS1_3repE0EEENS1_30default_config_static_selectorELNS0_4arch9wavefront6targetE1EEEvSN_,"axG",@progbits,_ZN7rocprim17ROCPRIM_400000_NS6detail17trampoline_kernelINS0_14default_configENS1_27lower_bound_config_selectorIxlEEZNS1_14transform_implILb0ES3_S5_N6thrust23THRUST_200600_302600_NS17counting_iteratorIxNS8_11use_defaultESA_SA_EEPlZNS1_13binary_searchIS3_S5_PxSB_SC_NS1_21lower_bound_search_opENS8_6detail16wrapped_functionI11custom_lessbEEEE10hipError_tPvRmT1_T2_T3_mmT4_T5_P12ihipStream_tbEUlRKxE_EESK_SO_SP_mSQ_ST_bEUlT_E_NS1_11comp_targetILNS1_3genE3ELNS1_11target_archE908ELNS1_3gpuE7ELNS1_3repE0EEENS1_30default_config_static_selectorELNS0_4arch9wavefront6targetE1EEEvSN_,comdat
	.protected	_ZN7rocprim17ROCPRIM_400000_NS6detail17trampoline_kernelINS0_14default_configENS1_27lower_bound_config_selectorIxlEEZNS1_14transform_implILb0ES3_S5_N6thrust23THRUST_200600_302600_NS17counting_iteratorIxNS8_11use_defaultESA_SA_EEPlZNS1_13binary_searchIS3_S5_PxSB_SC_NS1_21lower_bound_search_opENS8_6detail16wrapped_functionI11custom_lessbEEEE10hipError_tPvRmT1_T2_T3_mmT4_T5_P12ihipStream_tbEUlRKxE_EESK_SO_SP_mSQ_ST_bEUlT_E_NS1_11comp_targetILNS1_3genE3ELNS1_11target_archE908ELNS1_3gpuE7ELNS1_3repE0EEENS1_30default_config_static_selectorELNS0_4arch9wavefront6targetE1EEEvSN_ ; -- Begin function _ZN7rocprim17ROCPRIM_400000_NS6detail17trampoline_kernelINS0_14default_configENS1_27lower_bound_config_selectorIxlEEZNS1_14transform_implILb0ES3_S5_N6thrust23THRUST_200600_302600_NS17counting_iteratorIxNS8_11use_defaultESA_SA_EEPlZNS1_13binary_searchIS3_S5_PxSB_SC_NS1_21lower_bound_search_opENS8_6detail16wrapped_functionI11custom_lessbEEEE10hipError_tPvRmT1_T2_T3_mmT4_T5_P12ihipStream_tbEUlRKxE_EESK_SO_SP_mSQ_ST_bEUlT_E_NS1_11comp_targetILNS1_3genE3ELNS1_11target_archE908ELNS1_3gpuE7ELNS1_3repE0EEENS1_30default_config_static_selectorELNS0_4arch9wavefront6targetE1EEEvSN_
	.globl	_ZN7rocprim17ROCPRIM_400000_NS6detail17trampoline_kernelINS0_14default_configENS1_27lower_bound_config_selectorIxlEEZNS1_14transform_implILb0ES3_S5_N6thrust23THRUST_200600_302600_NS17counting_iteratorIxNS8_11use_defaultESA_SA_EEPlZNS1_13binary_searchIS3_S5_PxSB_SC_NS1_21lower_bound_search_opENS8_6detail16wrapped_functionI11custom_lessbEEEE10hipError_tPvRmT1_T2_T3_mmT4_T5_P12ihipStream_tbEUlRKxE_EESK_SO_SP_mSQ_ST_bEUlT_E_NS1_11comp_targetILNS1_3genE3ELNS1_11target_archE908ELNS1_3gpuE7ELNS1_3repE0EEENS1_30default_config_static_selectorELNS0_4arch9wavefront6targetE1EEEvSN_
	.p2align	8
	.type	_ZN7rocprim17ROCPRIM_400000_NS6detail17trampoline_kernelINS0_14default_configENS1_27lower_bound_config_selectorIxlEEZNS1_14transform_implILb0ES3_S5_N6thrust23THRUST_200600_302600_NS17counting_iteratorIxNS8_11use_defaultESA_SA_EEPlZNS1_13binary_searchIS3_S5_PxSB_SC_NS1_21lower_bound_search_opENS8_6detail16wrapped_functionI11custom_lessbEEEE10hipError_tPvRmT1_T2_T3_mmT4_T5_P12ihipStream_tbEUlRKxE_EESK_SO_SP_mSQ_ST_bEUlT_E_NS1_11comp_targetILNS1_3genE3ELNS1_11target_archE908ELNS1_3gpuE7ELNS1_3repE0EEENS1_30default_config_static_selectorELNS0_4arch9wavefront6targetE1EEEvSN_,@function
_ZN7rocprim17ROCPRIM_400000_NS6detail17trampoline_kernelINS0_14default_configENS1_27lower_bound_config_selectorIxlEEZNS1_14transform_implILb0ES3_S5_N6thrust23THRUST_200600_302600_NS17counting_iteratorIxNS8_11use_defaultESA_SA_EEPlZNS1_13binary_searchIS3_S5_PxSB_SC_NS1_21lower_bound_search_opENS8_6detail16wrapped_functionI11custom_lessbEEEE10hipError_tPvRmT1_T2_T3_mmT4_T5_P12ihipStream_tbEUlRKxE_EESK_SO_SP_mSQ_ST_bEUlT_E_NS1_11comp_targetILNS1_3genE3ELNS1_11target_archE908ELNS1_3gpuE7ELNS1_3repE0EEENS1_30default_config_static_selectorELNS0_4arch9wavefront6targetE1EEEvSN_: ; @_ZN7rocprim17ROCPRIM_400000_NS6detail17trampoline_kernelINS0_14default_configENS1_27lower_bound_config_selectorIxlEEZNS1_14transform_implILb0ES3_S5_N6thrust23THRUST_200600_302600_NS17counting_iteratorIxNS8_11use_defaultESA_SA_EEPlZNS1_13binary_searchIS3_S5_PxSB_SC_NS1_21lower_bound_search_opENS8_6detail16wrapped_functionI11custom_lessbEEEE10hipError_tPvRmT1_T2_T3_mmT4_T5_P12ihipStream_tbEUlRKxE_EESK_SO_SP_mSQ_ST_bEUlT_E_NS1_11comp_targetILNS1_3genE3ELNS1_11target_archE908ELNS1_3gpuE7ELNS1_3repE0EEENS1_30default_config_static_selectorELNS0_4arch9wavefront6targetE1EEEvSN_
; %bb.0:
	.section	.rodata,"a",@progbits
	.p2align	6, 0x0
	.amdhsa_kernel _ZN7rocprim17ROCPRIM_400000_NS6detail17trampoline_kernelINS0_14default_configENS1_27lower_bound_config_selectorIxlEEZNS1_14transform_implILb0ES3_S5_N6thrust23THRUST_200600_302600_NS17counting_iteratorIxNS8_11use_defaultESA_SA_EEPlZNS1_13binary_searchIS3_S5_PxSB_SC_NS1_21lower_bound_search_opENS8_6detail16wrapped_functionI11custom_lessbEEEE10hipError_tPvRmT1_T2_T3_mmT4_T5_P12ihipStream_tbEUlRKxE_EESK_SO_SP_mSQ_ST_bEUlT_E_NS1_11comp_targetILNS1_3genE3ELNS1_11target_archE908ELNS1_3gpuE7ELNS1_3repE0EEENS1_30default_config_static_selectorELNS0_4arch9wavefront6targetE1EEEvSN_
		.amdhsa_group_segment_fixed_size 0
		.amdhsa_private_segment_fixed_size 0
		.amdhsa_kernarg_size 56
		.amdhsa_user_sgpr_count 6
		.amdhsa_user_sgpr_private_segment_buffer 1
		.amdhsa_user_sgpr_dispatch_ptr 0
		.amdhsa_user_sgpr_queue_ptr 0
		.amdhsa_user_sgpr_kernarg_segment_ptr 1
		.amdhsa_user_sgpr_dispatch_id 0
		.amdhsa_user_sgpr_flat_scratch_init 0
		.amdhsa_user_sgpr_kernarg_preload_length 0
		.amdhsa_user_sgpr_kernarg_preload_offset 0
		.amdhsa_user_sgpr_private_segment_size 0
		.amdhsa_uses_dynamic_stack 0
		.amdhsa_system_sgpr_private_segment_wavefront_offset 0
		.amdhsa_system_sgpr_workgroup_id_x 1
		.amdhsa_system_sgpr_workgroup_id_y 0
		.amdhsa_system_sgpr_workgroup_id_z 0
		.amdhsa_system_sgpr_workgroup_info 0
		.amdhsa_system_vgpr_workitem_id 0
		.amdhsa_next_free_vgpr 1
		.amdhsa_next_free_sgpr 0
		.amdhsa_accum_offset 4
		.amdhsa_reserve_vcc 0
		.amdhsa_reserve_flat_scratch 0
		.amdhsa_float_round_mode_32 0
		.amdhsa_float_round_mode_16_64 0
		.amdhsa_float_denorm_mode_32 3
		.amdhsa_float_denorm_mode_16_64 3
		.amdhsa_dx10_clamp 1
		.amdhsa_ieee_mode 1
		.amdhsa_fp16_overflow 0
		.amdhsa_tg_split 0
		.amdhsa_exception_fp_ieee_invalid_op 0
		.amdhsa_exception_fp_denorm_src 0
		.amdhsa_exception_fp_ieee_div_zero 0
		.amdhsa_exception_fp_ieee_overflow 0
		.amdhsa_exception_fp_ieee_underflow 0
		.amdhsa_exception_fp_ieee_inexact 0
		.amdhsa_exception_int_div_zero 0
	.end_amdhsa_kernel
	.section	.text._ZN7rocprim17ROCPRIM_400000_NS6detail17trampoline_kernelINS0_14default_configENS1_27lower_bound_config_selectorIxlEEZNS1_14transform_implILb0ES3_S5_N6thrust23THRUST_200600_302600_NS17counting_iteratorIxNS8_11use_defaultESA_SA_EEPlZNS1_13binary_searchIS3_S5_PxSB_SC_NS1_21lower_bound_search_opENS8_6detail16wrapped_functionI11custom_lessbEEEE10hipError_tPvRmT1_T2_T3_mmT4_T5_P12ihipStream_tbEUlRKxE_EESK_SO_SP_mSQ_ST_bEUlT_E_NS1_11comp_targetILNS1_3genE3ELNS1_11target_archE908ELNS1_3gpuE7ELNS1_3repE0EEENS1_30default_config_static_selectorELNS0_4arch9wavefront6targetE1EEEvSN_,"axG",@progbits,_ZN7rocprim17ROCPRIM_400000_NS6detail17trampoline_kernelINS0_14default_configENS1_27lower_bound_config_selectorIxlEEZNS1_14transform_implILb0ES3_S5_N6thrust23THRUST_200600_302600_NS17counting_iteratorIxNS8_11use_defaultESA_SA_EEPlZNS1_13binary_searchIS3_S5_PxSB_SC_NS1_21lower_bound_search_opENS8_6detail16wrapped_functionI11custom_lessbEEEE10hipError_tPvRmT1_T2_T3_mmT4_T5_P12ihipStream_tbEUlRKxE_EESK_SO_SP_mSQ_ST_bEUlT_E_NS1_11comp_targetILNS1_3genE3ELNS1_11target_archE908ELNS1_3gpuE7ELNS1_3repE0EEENS1_30default_config_static_selectorELNS0_4arch9wavefront6targetE1EEEvSN_,comdat
.Lfunc_end61:
	.size	_ZN7rocprim17ROCPRIM_400000_NS6detail17trampoline_kernelINS0_14default_configENS1_27lower_bound_config_selectorIxlEEZNS1_14transform_implILb0ES3_S5_N6thrust23THRUST_200600_302600_NS17counting_iteratorIxNS8_11use_defaultESA_SA_EEPlZNS1_13binary_searchIS3_S5_PxSB_SC_NS1_21lower_bound_search_opENS8_6detail16wrapped_functionI11custom_lessbEEEE10hipError_tPvRmT1_T2_T3_mmT4_T5_P12ihipStream_tbEUlRKxE_EESK_SO_SP_mSQ_ST_bEUlT_E_NS1_11comp_targetILNS1_3genE3ELNS1_11target_archE908ELNS1_3gpuE7ELNS1_3repE0EEENS1_30default_config_static_selectorELNS0_4arch9wavefront6targetE1EEEvSN_, .Lfunc_end61-_ZN7rocprim17ROCPRIM_400000_NS6detail17trampoline_kernelINS0_14default_configENS1_27lower_bound_config_selectorIxlEEZNS1_14transform_implILb0ES3_S5_N6thrust23THRUST_200600_302600_NS17counting_iteratorIxNS8_11use_defaultESA_SA_EEPlZNS1_13binary_searchIS3_S5_PxSB_SC_NS1_21lower_bound_search_opENS8_6detail16wrapped_functionI11custom_lessbEEEE10hipError_tPvRmT1_T2_T3_mmT4_T5_P12ihipStream_tbEUlRKxE_EESK_SO_SP_mSQ_ST_bEUlT_E_NS1_11comp_targetILNS1_3genE3ELNS1_11target_archE908ELNS1_3gpuE7ELNS1_3repE0EEENS1_30default_config_static_selectorELNS0_4arch9wavefront6targetE1EEEvSN_
                                        ; -- End function
	.section	.AMDGPU.csdata,"",@progbits
; Kernel info:
; codeLenInByte = 0
; NumSgprs: 4
; NumVgprs: 0
; NumAgprs: 0
; TotalNumVgprs: 0
; ScratchSize: 0
; MemoryBound: 0
; FloatMode: 240
; IeeeMode: 1
; LDSByteSize: 0 bytes/workgroup (compile time only)
; SGPRBlocks: 0
; VGPRBlocks: 0
; NumSGPRsForWavesPerEU: 4
; NumVGPRsForWavesPerEU: 1
; AccumOffset: 4
; Occupancy: 8
; WaveLimiterHint : 0
; COMPUTE_PGM_RSRC2:SCRATCH_EN: 0
; COMPUTE_PGM_RSRC2:USER_SGPR: 6
; COMPUTE_PGM_RSRC2:TRAP_HANDLER: 0
; COMPUTE_PGM_RSRC2:TGID_X_EN: 1
; COMPUTE_PGM_RSRC2:TGID_Y_EN: 0
; COMPUTE_PGM_RSRC2:TGID_Z_EN: 0
; COMPUTE_PGM_RSRC2:TIDIG_COMP_CNT: 0
; COMPUTE_PGM_RSRC3_GFX90A:ACCUM_OFFSET: 0
; COMPUTE_PGM_RSRC3_GFX90A:TG_SPLIT: 0
	.section	.text._ZN7rocprim17ROCPRIM_400000_NS6detail17trampoline_kernelINS0_14default_configENS1_27lower_bound_config_selectorIxlEEZNS1_14transform_implILb0ES3_S5_N6thrust23THRUST_200600_302600_NS17counting_iteratorIxNS8_11use_defaultESA_SA_EEPlZNS1_13binary_searchIS3_S5_PxSB_SC_NS1_21lower_bound_search_opENS8_6detail16wrapped_functionI11custom_lessbEEEE10hipError_tPvRmT1_T2_T3_mmT4_T5_P12ihipStream_tbEUlRKxE_EESK_SO_SP_mSQ_ST_bEUlT_E_NS1_11comp_targetILNS1_3genE2ELNS1_11target_archE906ELNS1_3gpuE6ELNS1_3repE0EEENS1_30default_config_static_selectorELNS0_4arch9wavefront6targetE1EEEvSN_,"axG",@progbits,_ZN7rocprim17ROCPRIM_400000_NS6detail17trampoline_kernelINS0_14default_configENS1_27lower_bound_config_selectorIxlEEZNS1_14transform_implILb0ES3_S5_N6thrust23THRUST_200600_302600_NS17counting_iteratorIxNS8_11use_defaultESA_SA_EEPlZNS1_13binary_searchIS3_S5_PxSB_SC_NS1_21lower_bound_search_opENS8_6detail16wrapped_functionI11custom_lessbEEEE10hipError_tPvRmT1_T2_T3_mmT4_T5_P12ihipStream_tbEUlRKxE_EESK_SO_SP_mSQ_ST_bEUlT_E_NS1_11comp_targetILNS1_3genE2ELNS1_11target_archE906ELNS1_3gpuE6ELNS1_3repE0EEENS1_30default_config_static_selectorELNS0_4arch9wavefront6targetE1EEEvSN_,comdat
	.protected	_ZN7rocprim17ROCPRIM_400000_NS6detail17trampoline_kernelINS0_14default_configENS1_27lower_bound_config_selectorIxlEEZNS1_14transform_implILb0ES3_S5_N6thrust23THRUST_200600_302600_NS17counting_iteratorIxNS8_11use_defaultESA_SA_EEPlZNS1_13binary_searchIS3_S5_PxSB_SC_NS1_21lower_bound_search_opENS8_6detail16wrapped_functionI11custom_lessbEEEE10hipError_tPvRmT1_T2_T3_mmT4_T5_P12ihipStream_tbEUlRKxE_EESK_SO_SP_mSQ_ST_bEUlT_E_NS1_11comp_targetILNS1_3genE2ELNS1_11target_archE906ELNS1_3gpuE6ELNS1_3repE0EEENS1_30default_config_static_selectorELNS0_4arch9wavefront6targetE1EEEvSN_ ; -- Begin function _ZN7rocprim17ROCPRIM_400000_NS6detail17trampoline_kernelINS0_14default_configENS1_27lower_bound_config_selectorIxlEEZNS1_14transform_implILb0ES3_S5_N6thrust23THRUST_200600_302600_NS17counting_iteratorIxNS8_11use_defaultESA_SA_EEPlZNS1_13binary_searchIS3_S5_PxSB_SC_NS1_21lower_bound_search_opENS8_6detail16wrapped_functionI11custom_lessbEEEE10hipError_tPvRmT1_T2_T3_mmT4_T5_P12ihipStream_tbEUlRKxE_EESK_SO_SP_mSQ_ST_bEUlT_E_NS1_11comp_targetILNS1_3genE2ELNS1_11target_archE906ELNS1_3gpuE6ELNS1_3repE0EEENS1_30default_config_static_selectorELNS0_4arch9wavefront6targetE1EEEvSN_
	.globl	_ZN7rocprim17ROCPRIM_400000_NS6detail17trampoline_kernelINS0_14default_configENS1_27lower_bound_config_selectorIxlEEZNS1_14transform_implILb0ES3_S5_N6thrust23THRUST_200600_302600_NS17counting_iteratorIxNS8_11use_defaultESA_SA_EEPlZNS1_13binary_searchIS3_S5_PxSB_SC_NS1_21lower_bound_search_opENS8_6detail16wrapped_functionI11custom_lessbEEEE10hipError_tPvRmT1_T2_T3_mmT4_T5_P12ihipStream_tbEUlRKxE_EESK_SO_SP_mSQ_ST_bEUlT_E_NS1_11comp_targetILNS1_3genE2ELNS1_11target_archE906ELNS1_3gpuE6ELNS1_3repE0EEENS1_30default_config_static_selectorELNS0_4arch9wavefront6targetE1EEEvSN_
	.p2align	8
	.type	_ZN7rocprim17ROCPRIM_400000_NS6detail17trampoline_kernelINS0_14default_configENS1_27lower_bound_config_selectorIxlEEZNS1_14transform_implILb0ES3_S5_N6thrust23THRUST_200600_302600_NS17counting_iteratorIxNS8_11use_defaultESA_SA_EEPlZNS1_13binary_searchIS3_S5_PxSB_SC_NS1_21lower_bound_search_opENS8_6detail16wrapped_functionI11custom_lessbEEEE10hipError_tPvRmT1_T2_T3_mmT4_T5_P12ihipStream_tbEUlRKxE_EESK_SO_SP_mSQ_ST_bEUlT_E_NS1_11comp_targetILNS1_3genE2ELNS1_11target_archE906ELNS1_3gpuE6ELNS1_3repE0EEENS1_30default_config_static_selectorELNS0_4arch9wavefront6targetE1EEEvSN_,@function
_ZN7rocprim17ROCPRIM_400000_NS6detail17trampoline_kernelINS0_14default_configENS1_27lower_bound_config_selectorIxlEEZNS1_14transform_implILb0ES3_S5_N6thrust23THRUST_200600_302600_NS17counting_iteratorIxNS8_11use_defaultESA_SA_EEPlZNS1_13binary_searchIS3_S5_PxSB_SC_NS1_21lower_bound_search_opENS8_6detail16wrapped_functionI11custom_lessbEEEE10hipError_tPvRmT1_T2_T3_mmT4_T5_P12ihipStream_tbEUlRKxE_EESK_SO_SP_mSQ_ST_bEUlT_E_NS1_11comp_targetILNS1_3genE2ELNS1_11target_archE906ELNS1_3gpuE6ELNS1_3repE0EEENS1_30default_config_static_selectorELNS0_4arch9wavefront6targetE1EEEvSN_: ; @_ZN7rocprim17ROCPRIM_400000_NS6detail17trampoline_kernelINS0_14default_configENS1_27lower_bound_config_selectorIxlEEZNS1_14transform_implILb0ES3_S5_N6thrust23THRUST_200600_302600_NS17counting_iteratorIxNS8_11use_defaultESA_SA_EEPlZNS1_13binary_searchIS3_S5_PxSB_SC_NS1_21lower_bound_search_opENS8_6detail16wrapped_functionI11custom_lessbEEEE10hipError_tPvRmT1_T2_T3_mmT4_T5_P12ihipStream_tbEUlRKxE_EESK_SO_SP_mSQ_ST_bEUlT_E_NS1_11comp_targetILNS1_3genE2ELNS1_11target_archE906ELNS1_3gpuE6ELNS1_3repE0EEENS1_30default_config_static_selectorELNS0_4arch9wavefront6targetE1EEEvSN_
; %bb.0:
	.section	.rodata,"a",@progbits
	.p2align	6, 0x0
	.amdhsa_kernel _ZN7rocprim17ROCPRIM_400000_NS6detail17trampoline_kernelINS0_14default_configENS1_27lower_bound_config_selectorIxlEEZNS1_14transform_implILb0ES3_S5_N6thrust23THRUST_200600_302600_NS17counting_iteratorIxNS8_11use_defaultESA_SA_EEPlZNS1_13binary_searchIS3_S5_PxSB_SC_NS1_21lower_bound_search_opENS8_6detail16wrapped_functionI11custom_lessbEEEE10hipError_tPvRmT1_T2_T3_mmT4_T5_P12ihipStream_tbEUlRKxE_EESK_SO_SP_mSQ_ST_bEUlT_E_NS1_11comp_targetILNS1_3genE2ELNS1_11target_archE906ELNS1_3gpuE6ELNS1_3repE0EEENS1_30default_config_static_selectorELNS0_4arch9wavefront6targetE1EEEvSN_
		.amdhsa_group_segment_fixed_size 0
		.amdhsa_private_segment_fixed_size 0
		.amdhsa_kernarg_size 56
		.amdhsa_user_sgpr_count 6
		.amdhsa_user_sgpr_private_segment_buffer 1
		.amdhsa_user_sgpr_dispatch_ptr 0
		.amdhsa_user_sgpr_queue_ptr 0
		.amdhsa_user_sgpr_kernarg_segment_ptr 1
		.amdhsa_user_sgpr_dispatch_id 0
		.amdhsa_user_sgpr_flat_scratch_init 0
		.amdhsa_user_sgpr_kernarg_preload_length 0
		.amdhsa_user_sgpr_kernarg_preload_offset 0
		.amdhsa_user_sgpr_private_segment_size 0
		.amdhsa_uses_dynamic_stack 0
		.amdhsa_system_sgpr_private_segment_wavefront_offset 0
		.amdhsa_system_sgpr_workgroup_id_x 1
		.amdhsa_system_sgpr_workgroup_id_y 0
		.amdhsa_system_sgpr_workgroup_id_z 0
		.amdhsa_system_sgpr_workgroup_info 0
		.amdhsa_system_vgpr_workitem_id 0
		.amdhsa_next_free_vgpr 1
		.amdhsa_next_free_sgpr 0
		.amdhsa_accum_offset 4
		.amdhsa_reserve_vcc 0
		.amdhsa_reserve_flat_scratch 0
		.amdhsa_float_round_mode_32 0
		.amdhsa_float_round_mode_16_64 0
		.amdhsa_float_denorm_mode_32 3
		.amdhsa_float_denorm_mode_16_64 3
		.amdhsa_dx10_clamp 1
		.amdhsa_ieee_mode 1
		.amdhsa_fp16_overflow 0
		.amdhsa_tg_split 0
		.amdhsa_exception_fp_ieee_invalid_op 0
		.amdhsa_exception_fp_denorm_src 0
		.amdhsa_exception_fp_ieee_div_zero 0
		.amdhsa_exception_fp_ieee_overflow 0
		.amdhsa_exception_fp_ieee_underflow 0
		.amdhsa_exception_fp_ieee_inexact 0
		.amdhsa_exception_int_div_zero 0
	.end_amdhsa_kernel
	.section	.text._ZN7rocprim17ROCPRIM_400000_NS6detail17trampoline_kernelINS0_14default_configENS1_27lower_bound_config_selectorIxlEEZNS1_14transform_implILb0ES3_S5_N6thrust23THRUST_200600_302600_NS17counting_iteratorIxNS8_11use_defaultESA_SA_EEPlZNS1_13binary_searchIS3_S5_PxSB_SC_NS1_21lower_bound_search_opENS8_6detail16wrapped_functionI11custom_lessbEEEE10hipError_tPvRmT1_T2_T3_mmT4_T5_P12ihipStream_tbEUlRKxE_EESK_SO_SP_mSQ_ST_bEUlT_E_NS1_11comp_targetILNS1_3genE2ELNS1_11target_archE906ELNS1_3gpuE6ELNS1_3repE0EEENS1_30default_config_static_selectorELNS0_4arch9wavefront6targetE1EEEvSN_,"axG",@progbits,_ZN7rocprim17ROCPRIM_400000_NS6detail17trampoline_kernelINS0_14default_configENS1_27lower_bound_config_selectorIxlEEZNS1_14transform_implILb0ES3_S5_N6thrust23THRUST_200600_302600_NS17counting_iteratorIxNS8_11use_defaultESA_SA_EEPlZNS1_13binary_searchIS3_S5_PxSB_SC_NS1_21lower_bound_search_opENS8_6detail16wrapped_functionI11custom_lessbEEEE10hipError_tPvRmT1_T2_T3_mmT4_T5_P12ihipStream_tbEUlRKxE_EESK_SO_SP_mSQ_ST_bEUlT_E_NS1_11comp_targetILNS1_3genE2ELNS1_11target_archE906ELNS1_3gpuE6ELNS1_3repE0EEENS1_30default_config_static_selectorELNS0_4arch9wavefront6targetE1EEEvSN_,comdat
.Lfunc_end62:
	.size	_ZN7rocprim17ROCPRIM_400000_NS6detail17trampoline_kernelINS0_14default_configENS1_27lower_bound_config_selectorIxlEEZNS1_14transform_implILb0ES3_S5_N6thrust23THRUST_200600_302600_NS17counting_iteratorIxNS8_11use_defaultESA_SA_EEPlZNS1_13binary_searchIS3_S5_PxSB_SC_NS1_21lower_bound_search_opENS8_6detail16wrapped_functionI11custom_lessbEEEE10hipError_tPvRmT1_T2_T3_mmT4_T5_P12ihipStream_tbEUlRKxE_EESK_SO_SP_mSQ_ST_bEUlT_E_NS1_11comp_targetILNS1_3genE2ELNS1_11target_archE906ELNS1_3gpuE6ELNS1_3repE0EEENS1_30default_config_static_selectorELNS0_4arch9wavefront6targetE1EEEvSN_, .Lfunc_end62-_ZN7rocprim17ROCPRIM_400000_NS6detail17trampoline_kernelINS0_14default_configENS1_27lower_bound_config_selectorIxlEEZNS1_14transform_implILb0ES3_S5_N6thrust23THRUST_200600_302600_NS17counting_iteratorIxNS8_11use_defaultESA_SA_EEPlZNS1_13binary_searchIS3_S5_PxSB_SC_NS1_21lower_bound_search_opENS8_6detail16wrapped_functionI11custom_lessbEEEE10hipError_tPvRmT1_T2_T3_mmT4_T5_P12ihipStream_tbEUlRKxE_EESK_SO_SP_mSQ_ST_bEUlT_E_NS1_11comp_targetILNS1_3genE2ELNS1_11target_archE906ELNS1_3gpuE6ELNS1_3repE0EEENS1_30default_config_static_selectorELNS0_4arch9wavefront6targetE1EEEvSN_
                                        ; -- End function
	.section	.AMDGPU.csdata,"",@progbits
; Kernel info:
; codeLenInByte = 0
; NumSgprs: 4
; NumVgprs: 0
; NumAgprs: 0
; TotalNumVgprs: 0
; ScratchSize: 0
; MemoryBound: 0
; FloatMode: 240
; IeeeMode: 1
; LDSByteSize: 0 bytes/workgroup (compile time only)
; SGPRBlocks: 0
; VGPRBlocks: 0
; NumSGPRsForWavesPerEU: 4
; NumVGPRsForWavesPerEU: 1
; AccumOffset: 4
; Occupancy: 8
; WaveLimiterHint : 0
; COMPUTE_PGM_RSRC2:SCRATCH_EN: 0
; COMPUTE_PGM_RSRC2:USER_SGPR: 6
; COMPUTE_PGM_RSRC2:TRAP_HANDLER: 0
; COMPUTE_PGM_RSRC2:TGID_X_EN: 1
; COMPUTE_PGM_RSRC2:TGID_Y_EN: 0
; COMPUTE_PGM_RSRC2:TGID_Z_EN: 0
; COMPUTE_PGM_RSRC2:TIDIG_COMP_CNT: 0
; COMPUTE_PGM_RSRC3_GFX90A:ACCUM_OFFSET: 0
; COMPUTE_PGM_RSRC3_GFX90A:TG_SPLIT: 0
	.section	.text._ZN7rocprim17ROCPRIM_400000_NS6detail17trampoline_kernelINS0_14default_configENS1_27lower_bound_config_selectorIxlEEZNS1_14transform_implILb0ES3_S5_N6thrust23THRUST_200600_302600_NS17counting_iteratorIxNS8_11use_defaultESA_SA_EEPlZNS1_13binary_searchIS3_S5_PxSB_SC_NS1_21lower_bound_search_opENS8_6detail16wrapped_functionI11custom_lessbEEEE10hipError_tPvRmT1_T2_T3_mmT4_T5_P12ihipStream_tbEUlRKxE_EESK_SO_SP_mSQ_ST_bEUlT_E_NS1_11comp_targetILNS1_3genE10ELNS1_11target_archE1201ELNS1_3gpuE5ELNS1_3repE0EEENS1_30default_config_static_selectorELNS0_4arch9wavefront6targetE1EEEvSN_,"axG",@progbits,_ZN7rocprim17ROCPRIM_400000_NS6detail17trampoline_kernelINS0_14default_configENS1_27lower_bound_config_selectorIxlEEZNS1_14transform_implILb0ES3_S5_N6thrust23THRUST_200600_302600_NS17counting_iteratorIxNS8_11use_defaultESA_SA_EEPlZNS1_13binary_searchIS3_S5_PxSB_SC_NS1_21lower_bound_search_opENS8_6detail16wrapped_functionI11custom_lessbEEEE10hipError_tPvRmT1_T2_T3_mmT4_T5_P12ihipStream_tbEUlRKxE_EESK_SO_SP_mSQ_ST_bEUlT_E_NS1_11comp_targetILNS1_3genE10ELNS1_11target_archE1201ELNS1_3gpuE5ELNS1_3repE0EEENS1_30default_config_static_selectorELNS0_4arch9wavefront6targetE1EEEvSN_,comdat
	.protected	_ZN7rocprim17ROCPRIM_400000_NS6detail17trampoline_kernelINS0_14default_configENS1_27lower_bound_config_selectorIxlEEZNS1_14transform_implILb0ES3_S5_N6thrust23THRUST_200600_302600_NS17counting_iteratorIxNS8_11use_defaultESA_SA_EEPlZNS1_13binary_searchIS3_S5_PxSB_SC_NS1_21lower_bound_search_opENS8_6detail16wrapped_functionI11custom_lessbEEEE10hipError_tPvRmT1_T2_T3_mmT4_T5_P12ihipStream_tbEUlRKxE_EESK_SO_SP_mSQ_ST_bEUlT_E_NS1_11comp_targetILNS1_3genE10ELNS1_11target_archE1201ELNS1_3gpuE5ELNS1_3repE0EEENS1_30default_config_static_selectorELNS0_4arch9wavefront6targetE1EEEvSN_ ; -- Begin function _ZN7rocprim17ROCPRIM_400000_NS6detail17trampoline_kernelINS0_14default_configENS1_27lower_bound_config_selectorIxlEEZNS1_14transform_implILb0ES3_S5_N6thrust23THRUST_200600_302600_NS17counting_iteratorIxNS8_11use_defaultESA_SA_EEPlZNS1_13binary_searchIS3_S5_PxSB_SC_NS1_21lower_bound_search_opENS8_6detail16wrapped_functionI11custom_lessbEEEE10hipError_tPvRmT1_T2_T3_mmT4_T5_P12ihipStream_tbEUlRKxE_EESK_SO_SP_mSQ_ST_bEUlT_E_NS1_11comp_targetILNS1_3genE10ELNS1_11target_archE1201ELNS1_3gpuE5ELNS1_3repE0EEENS1_30default_config_static_selectorELNS0_4arch9wavefront6targetE1EEEvSN_
	.globl	_ZN7rocprim17ROCPRIM_400000_NS6detail17trampoline_kernelINS0_14default_configENS1_27lower_bound_config_selectorIxlEEZNS1_14transform_implILb0ES3_S5_N6thrust23THRUST_200600_302600_NS17counting_iteratorIxNS8_11use_defaultESA_SA_EEPlZNS1_13binary_searchIS3_S5_PxSB_SC_NS1_21lower_bound_search_opENS8_6detail16wrapped_functionI11custom_lessbEEEE10hipError_tPvRmT1_T2_T3_mmT4_T5_P12ihipStream_tbEUlRKxE_EESK_SO_SP_mSQ_ST_bEUlT_E_NS1_11comp_targetILNS1_3genE10ELNS1_11target_archE1201ELNS1_3gpuE5ELNS1_3repE0EEENS1_30default_config_static_selectorELNS0_4arch9wavefront6targetE1EEEvSN_
	.p2align	8
	.type	_ZN7rocprim17ROCPRIM_400000_NS6detail17trampoline_kernelINS0_14default_configENS1_27lower_bound_config_selectorIxlEEZNS1_14transform_implILb0ES3_S5_N6thrust23THRUST_200600_302600_NS17counting_iteratorIxNS8_11use_defaultESA_SA_EEPlZNS1_13binary_searchIS3_S5_PxSB_SC_NS1_21lower_bound_search_opENS8_6detail16wrapped_functionI11custom_lessbEEEE10hipError_tPvRmT1_T2_T3_mmT4_T5_P12ihipStream_tbEUlRKxE_EESK_SO_SP_mSQ_ST_bEUlT_E_NS1_11comp_targetILNS1_3genE10ELNS1_11target_archE1201ELNS1_3gpuE5ELNS1_3repE0EEENS1_30default_config_static_selectorELNS0_4arch9wavefront6targetE1EEEvSN_,@function
_ZN7rocprim17ROCPRIM_400000_NS6detail17trampoline_kernelINS0_14default_configENS1_27lower_bound_config_selectorIxlEEZNS1_14transform_implILb0ES3_S5_N6thrust23THRUST_200600_302600_NS17counting_iteratorIxNS8_11use_defaultESA_SA_EEPlZNS1_13binary_searchIS3_S5_PxSB_SC_NS1_21lower_bound_search_opENS8_6detail16wrapped_functionI11custom_lessbEEEE10hipError_tPvRmT1_T2_T3_mmT4_T5_P12ihipStream_tbEUlRKxE_EESK_SO_SP_mSQ_ST_bEUlT_E_NS1_11comp_targetILNS1_3genE10ELNS1_11target_archE1201ELNS1_3gpuE5ELNS1_3repE0EEENS1_30default_config_static_selectorELNS0_4arch9wavefront6targetE1EEEvSN_: ; @_ZN7rocprim17ROCPRIM_400000_NS6detail17trampoline_kernelINS0_14default_configENS1_27lower_bound_config_selectorIxlEEZNS1_14transform_implILb0ES3_S5_N6thrust23THRUST_200600_302600_NS17counting_iteratorIxNS8_11use_defaultESA_SA_EEPlZNS1_13binary_searchIS3_S5_PxSB_SC_NS1_21lower_bound_search_opENS8_6detail16wrapped_functionI11custom_lessbEEEE10hipError_tPvRmT1_T2_T3_mmT4_T5_P12ihipStream_tbEUlRKxE_EESK_SO_SP_mSQ_ST_bEUlT_E_NS1_11comp_targetILNS1_3genE10ELNS1_11target_archE1201ELNS1_3gpuE5ELNS1_3repE0EEENS1_30default_config_static_selectorELNS0_4arch9wavefront6targetE1EEEvSN_
; %bb.0:
	.section	.rodata,"a",@progbits
	.p2align	6, 0x0
	.amdhsa_kernel _ZN7rocprim17ROCPRIM_400000_NS6detail17trampoline_kernelINS0_14default_configENS1_27lower_bound_config_selectorIxlEEZNS1_14transform_implILb0ES3_S5_N6thrust23THRUST_200600_302600_NS17counting_iteratorIxNS8_11use_defaultESA_SA_EEPlZNS1_13binary_searchIS3_S5_PxSB_SC_NS1_21lower_bound_search_opENS8_6detail16wrapped_functionI11custom_lessbEEEE10hipError_tPvRmT1_T2_T3_mmT4_T5_P12ihipStream_tbEUlRKxE_EESK_SO_SP_mSQ_ST_bEUlT_E_NS1_11comp_targetILNS1_3genE10ELNS1_11target_archE1201ELNS1_3gpuE5ELNS1_3repE0EEENS1_30default_config_static_selectorELNS0_4arch9wavefront6targetE1EEEvSN_
		.amdhsa_group_segment_fixed_size 0
		.amdhsa_private_segment_fixed_size 0
		.amdhsa_kernarg_size 56
		.amdhsa_user_sgpr_count 6
		.amdhsa_user_sgpr_private_segment_buffer 1
		.amdhsa_user_sgpr_dispatch_ptr 0
		.amdhsa_user_sgpr_queue_ptr 0
		.amdhsa_user_sgpr_kernarg_segment_ptr 1
		.amdhsa_user_sgpr_dispatch_id 0
		.amdhsa_user_sgpr_flat_scratch_init 0
		.amdhsa_user_sgpr_kernarg_preload_length 0
		.amdhsa_user_sgpr_kernarg_preload_offset 0
		.amdhsa_user_sgpr_private_segment_size 0
		.amdhsa_uses_dynamic_stack 0
		.amdhsa_system_sgpr_private_segment_wavefront_offset 0
		.amdhsa_system_sgpr_workgroup_id_x 1
		.amdhsa_system_sgpr_workgroup_id_y 0
		.amdhsa_system_sgpr_workgroup_id_z 0
		.amdhsa_system_sgpr_workgroup_info 0
		.amdhsa_system_vgpr_workitem_id 0
		.amdhsa_next_free_vgpr 1
		.amdhsa_next_free_sgpr 0
		.amdhsa_accum_offset 4
		.amdhsa_reserve_vcc 0
		.amdhsa_reserve_flat_scratch 0
		.amdhsa_float_round_mode_32 0
		.amdhsa_float_round_mode_16_64 0
		.amdhsa_float_denorm_mode_32 3
		.amdhsa_float_denorm_mode_16_64 3
		.amdhsa_dx10_clamp 1
		.amdhsa_ieee_mode 1
		.amdhsa_fp16_overflow 0
		.amdhsa_tg_split 0
		.amdhsa_exception_fp_ieee_invalid_op 0
		.amdhsa_exception_fp_denorm_src 0
		.amdhsa_exception_fp_ieee_div_zero 0
		.amdhsa_exception_fp_ieee_overflow 0
		.amdhsa_exception_fp_ieee_underflow 0
		.amdhsa_exception_fp_ieee_inexact 0
		.amdhsa_exception_int_div_zero 0
	.end_amdhsa_kernel
	.section	.text._ZN7rocprim17ROCPRIM_400000_NS6detail17trampoline_kernelINS0_14default_configENS1_27lower_bound_config_selectorIxlEEZNS1_14transform_implILb0ES3_S5_N6thrust23THRUST_200600_302600_NS17counting_iteratorIxNS8_11use_defaultESA_SA_EEPlZNS1_13binary_searchIS3_S5_PxSB_SC_NS1_21lower_bound_search_opENS8_6detail16wrapped_functionI11custom_lessbEEEE10hipError_tPvRmT1_T2_T3_mmT4_T5_P12ihipStream_tbEUlRKxE_EESK_SO_SP_mSQ_ST_bEUlT_E_NS1_11comp_targetILNS1_3genE10ELNS1_11target_archE1201ELNS1_3gpuE5ELNS1_3repE0EEENS1_30default_config_static_selectorELNS0_4arch9wavefront6targetE1EEEvSN_,"axG",@progbits,_ZN7rocprim17ROCPRIM_400000_NS6detail17trampoline_kernelINS0_14default_configENS1_27lower_bound_config_selectorIxlEEZNS1_14transform_implILb0ES3_S5_N6thrust23THRUST_200600_302600_NS17counting_iteratorIxNS8_11use_defaultESA_SA_EEPlZNS1_13binary_searchIS3_S5_PxSB_SC_NS1_21lower_bound_search_opENS8_6detail16wrapped_functionI11custom_lessbEEEE10hipError_tPvRmT1_T2_T3_mmT4_T5_P12ihipStream_tbEUlRKxE_EESK_SO_SP_mSQ_ST_bEUlT_E_NS1_11comp_targetILNS1_3genE10ELNS1_11target_archE1201ELNS1_3gpuE5ELNS1_3repE0EEENS1_30default_config_static_selectorELNS0_4arch9wavefront6targetE1EEEvSN_,comdat
.Lfunc_end63:
	.size	_ZN7rocprim17ROCPRIM_400000_NS6detail17trampoline_kernelINS0_14default_configENS1_27lower_bound_config_selectorIxlEEZNS1_14transform_implILb0ES3_S5_N6thrust23THRUST_200600_302600_NS17counting_iteratorIxNS8_11use_defaultESA_SA_EEPlZNS1_13binary_searchIS3_S5_PxSB_SC_NS1_21lower_bound_search_opENS8_6detail16wrapped_functionI11custom_lessbEEEE10hipError_tPvRmT1_T2_T3_mmT4_T5_P12ihipStream_tbEUlRKxE_EESK_SO_SP_mSQ_ST_bEUlT_E_NS1_11comp_targetILNS1_3genE10ELNS1_11target_archE1201ELNS1_3gpuE5ELNS1_3repE0EEENS1_30default_config_static_selectorELNS0_4arch9wavefront6targetE1EEEvSN_, .Lfunc_end63-_ZN7rocprim17ROCPRIM_400000_NS6detail17trampoline_kernelINS0_14default_configENS1_27lower_bound_config_selectorIxlEEZNS1_14transform_implILb0ES3_S5_N6thrust23THRUST_200600_302600_NS17counting_iteratorIxNS8_11use_defaultESA_SA_EEPlZNS1_13binary_searchIS3_S5_PxSB_SC_NS1_21lower_bound_search_opENS8_6detail16wrapped_functionI11custom_lessbEEEE10hipError_tPvRmT1_T2_T3_mmT4_T5_P12ihipStream_tbEUlRKxE_EESK_SO_SP_mSQ_ST_bEUlT_E_NS1_11comp_targetILNS1_3genE10ELNS1_11target_archE1201ELNS1_3gpuE5ELNS1_3repE0EEENS1_30default_config_static_selectorELNS0_4arch9wavefront6targetE1EEEvSN_
                                        ; -- End function
	.section	.AMDGPU.csdata,"",@progbits
; Kernel info:
; codeLenInByte = 0
; NumSgprs: 4
; NumVgprs: 0
; NumAgprs: 0
; TotalNumVgprs: 0
; ScratchSize: 0
; MemoryBound: 0
; FloatMode: 240
; IeeeMode: 1
; LDSByteSize: 0 bytes/workgroup (compile time only)
; SGPRBlocks: 0
; VGPRBlocks: 0
; NumSGPRsForWavesPerEU: 4
; NumVGPRsForWavesPerEU: 1
; AccumOffset: 4
; Occupancy: 8
; WaveLimiterHint : 0
; COMPUTE_PGM_RSRC2:SCRATCH_EN: 0
; COMPUTE_PGM_RSRC2:USER_SGPR: 6
; COMPUTE_PGM_RSRC2:TRAP_HANDLER: 0
; COMPUTE_PGM_RSRC2:TGID_X_EN: 1
; COMPUTE_PGM_RSRC2:TGID_Y_EN: 0
; COMPUTE_PGM_RSRC2:TGID_Z_EN: 0
; COMPUTE_PGM_RSRC2:TIDIG_COMP_CNT: 0
; COMPUTE_PGM_RSRC3_GFX90A:ACCUM_OFFSET: 0
; COMPUTE_PGM_RSRC3_GFX90A:TG_SPLIT: 0
	.section	.text._ZN7rocprim17ROCPRIM_400000_NS6detail17trampoline_kernelINS0_14default_configENS1_27lower_bound_config_selectorIxlEEZNS1_14transform_implILb0ES3_S5_N6thrust23THRUST_200600_302600_NS17counting_iteratorIxNS8_11use_defaultESA_SA_EEPlZNS1_13binary_searchIS3_S5_PxSB_SC_NS1_21lower_bound_search_opENS8_6detail16wrapped_functionI11custom_lessbEEEE10hipError_tPvRmT1_T2_T3_mmT4_T5_P12ihipStream_tbEUlRKxE_EESK_SO_SP_mSQ_ST_bEUlT_E_NS1_11comp_targetILNS1_3genE10ELNS1_11target_archE1200ELNS1_3gpuE4ELNS1_3repE0EEENS1_30default_config_static_selectorELNS0_4arch9wavefront6targetE1EEEvSN_,"axG",@progbits,_ZN7rocprim17ROCPRIM_400000_NS6detail17trampoline_kernelINS0_14default_configENS1_27lower_bound_config_selectorIxlEEZNS1_14transform_implILb0ES3_S5_N6thrust23THRUST_200600_302600_NS17counting_iteratorIxNS8_11use_defaultESA_SA_EEPlZNS1_13binary_searchIS3_S5_PxSB_SC_NS1_21lower_bound_search_opENS8_6detail16wrapped_functionI11custom_lessbEEEE10hipError_tPvRmT1_T2_T3_mmT4_T5_P12ihipStream_tbEUlRKxE_EESK_SO_SP_mSQ_ST_bEUlT_E_NS1_11comp_targetILNS1_3genE10ELNS1_11target_archE1200ELNS1_3gpuE4ELNS1_3repE0EEENS1_30default_config_static_selectorELNS0_4arch9wavefront6targetE1EEEvSN_,comdat
	.protected	_ZN7rocprim17ROCPRIM_400000_NS6detail17trampoline_kernelINS0_14default_configENS1_27lower_bound_config_selectorIxlEEZNS1_14transform_implILb0ES3_S5_N6thrust23THRUST_200600_302600_NS17counting_iteratorIxNS8_11use_defaultESA_SA_EEPlZNS1_13binary_searchIS3_S5_PxSB_SC_NS1_21lower_bound_search_opENS8_6detail16wrapped_functionI11custom_lessbEEEE10hipError_tPvRmT1_T2_T3_mmT4_T5_P12ihipStream_tbEUlRKxE_EESK_SO_SP_mSQ_ST_bEUlT_E_NS1_11comp_targetILNS1_3genE10ELNS1_11target_archE1200ELNS1_3gpuE4ELNS1_3repE0EEENS1_30default_config_static_selectorELNS0_4arch9wavefront6targetE1EEEvSN_ ; -- Begin function _ZN7rocprim17ROCPRIM_400000_NS6detail17trampoline_kernelINS0_14default_configENS1_27lower_bound_config_selectorIxlEEZNS1_14transform_implILb0ES3_S5_N6thrust23THRUST_200600_302600_NS17counting_iteratorIxNS8_11use_defaultESA_SA_EEPlZNS1_13binary_searchIS3_S5_PxSB_SC_NS1_21lower_bound_search_opENS8_6detail16wrapped_functionI11custom_lessbEEEE10hipError_tPvRmT1_T2_T3_mmT4_T5_P12ihipStream_tbEUlRKxE_EESK_SO_SP_mSQ_ST_bEUlT_E_NS1_11comp_targetILNS1_3genE10ELNS1_11target_archE1200ELNS1_3gpuE4ELNS1_3repE0EEENS1_30default_config_static_selectorELNS0_4arch9wavefront6targetE1EEEvSN_
	.globl	_ZN7rocprim17ROCPRIM_400000_NS6detail17trampoline_kernelINS0_14default_configENS1_27lower_bound_config_selectorIxlEEZNS1_14transform_implILb0ES3_S5_N6thrust23THRUST_200600_302600_NS17counting_iteratorIxNS8_11use_defaultESA_SA_EEPlZNS1_13binary_searchIS3_S5_PxSB_SC_NS1_21lower_bound_search_opENS8_6detail16wrapped_functionI11custom_lessbEEEE10hipError_tPvRmT1_T2_T3_mmT4_T5_P12ihipStream_tbEUlRKxE_EESK_SO_SP_mSQ_ST_bEUlT_E_NS1_11comp_targetILNS1_3genE10ELNS1_11target_archE1200ELNS1_3gpuE4ELNS1_3repE0EEENS1_30default_config_static_selectorELNS0_4arch9wavefront6targetE1EEEvSN_
	.p2align	8
	.type	_ZN7rocprim17ROCPRIM_400000_NS6detail17trampoline_kernelINS0_14default_configENS1_27lower_bound_config_selectorIxlEEZNS1_14transform_implILb0ES3_S5_N6thrust23THRUST_200600_302600_NS17counting_iteratorIxNS8_11use_defaultESA_SA_EEPlZNS1_13binary_searchIS3_S5_PxSB_SC_NS1_21lower_bound_search_opENS8_6detail16wrapped_functionI11custom_lessbEEEE10hipError_tPvRmT1_T2_T3_mmT4_T5_P12ihipStream_tbEUlRKxE_EESK_SO_SP_mSQ_ST_bEUlT_E_NS1_11comp_targetILNS1_3genE10ELNS1_11target_archE1200ELNS1_3gpuE4ELNS1_3repE0EEENS1_30default_config_static_selectorELNS0_4arch9wavefront6targetE1EEEvSN_,@function
_ZN7rocprim17ROCPRIM_400000_NS6detail17trampoline_kernelINS0_14default_configENS1_27lower_bound_config_selectorIxlEEZNS1_14transform_implILb0ES3_S5_N6thrust23THRUST_200600_302600_NS17counting_iteratorIxNS8_11use_defaultESA_SA_EEPlZNS1_13binary_searchIS3_S5_PxSB_SC_NS1_21lower_bound_search_opENS8_6detail16wrapped_functionI11custom_lessbEEEE10hipError_tPvRmT1_T2_T3_mmT4_T5_P12ihipStream_tbEUlRKxE_EESK_SO_SP_mSQ_ST_bEUlT_E_NS1_11comp_targetILNS1_3genE10ELNS1_11target_archE1200ELNS1_3gpuE4ELNS1_3repE0EEENS1_30default_config_static_selectorELNS0_4arch9wavefront6targetE1EEEvSN_: ; @_ZN7rocprim17ROCPRIM_400000_NS6detail17trampoline_kernelINS0_14default_configENS1_27lower_bound_config_selectorIxlEEZNS1_14transform_implILb0ES3_S5_N6thrust23THRUST_200600_302600_NS17counting_iteratorIxNS8_11use_defaultESA_SA_EEPlZNS1_13binary_searchIS3_S5_PxSB_SC_NS1_21lower_bound_search_opENS8_6detail16wrapped_functionI11custom_lessbEEEE10hipError_tPvRmT1_T2_T3_mmT4_T5_P12ihipStream_tbEUlRKxE_EESK_SO_SP_mSQ_ST_bEUlT_E_NS1_11comp_targetILNS1_3genE10ELNS1_11target_archE1200ELNS1_3gpuE4ELNS1_3repE0EEENS1_30default_config_static_selectorELNS0_4arch9wavefront6targetE1EEEvSN_
; %bb.0:
	.section	.rodata,"a",@progbits
	.p2align	6, 0x0
	.amdhsa_kernel _ZN7rocprim17ROCPRIM_400000_NS6detail17trampoline_kernelINS0_14default_configENS1_27lower_bound_config_selectorIxlEEZNS1_14transform_implILb0ES3_S5_N6thrust23THRUST_200600_302600_NS17counting_iteratorIxNS8_11use_defaultESA_SA_EEPlZNS1_13binary_searchIS3_S5_PxSB_SC_NS1_21lower_bound_search_opENS8_6detail16wrapped_functionI11custom_lessbEEEE10hipError_tPvRmT1_T2_T3_mmT4_T5_P12ihipStream_tbEUlRKxE_EESK_SO_SP_mSQ_ST_bEUlT_E_NS1_11comp_targetILNS1_3genE10ELNS1_11target_archE1200ELNS1_3gpuE4ELNS1_3repE0EEENS1_30default_config_static_selectorELNS0_4arch9wavefront6targetE1EEEvSN_
		.amdhsa_group_segment_fixed_size 0
		.amdhsa_private_segment_fixed_size 0
		.amdhsa_kernarg_size 56
		.amdhsa_user_sgpr_count 6
		.amdhsa_user_sgpr_private_segment_buffer 1
		.amdhsa_user_sgpr_dispatch_ptr 0
		.amdhsa_user_sgpr_queue_ptr 0
		.amdhsa_user_sgpr_kernarg_segment_ptr 1
		.amdhsa_user_sgpr_dispatch_id 0
		.amdhsa_user_sgpr_flat_scratch_init 0
		.amdhsa_user_sgpr_kernarg_preload_length 0
		.amdhsa_user_sgpr_kernarg_preload_offset 0
		.amdhsa_user_sgpr_private_segment_size 0
		.amdhsa_uses_dynamic_stack 0
		.amdhsa_system_sgpr_private_segment_wavefront_offset 0
		.amdhsa_system_sgpr_workgroup_id_x 1
		.amdhsa_system_sgpr_workgroup_id_y 0
		.amdhsa_system_sgpr_workgroup_id_z 0
		.amdhsa_system_sgpr_workgroup_info 0
		.amdhsa_system_vgpr_workitem_id 0
		.amdhsa_next_free_vgpr 1
		.amdhsa_next_free_sgpr 0
		.amdhsa_accum_offset 4
		.amdhsa_reserve_vcc 0
		.amdhsa_reserve_flat_scratch 0
		.amdhsa_float_round_mode_32 0
		.amdhsa_float_round_mode_16_64 0
		.amdhsa_float_denorm_mode_32 3
		.amdhsa_float_denorm_mode_16_64 3
		.amdhsa_dx10_clamp 1
		.amdhsa_ieee_mode 1
		.amdhsa_fp16_overflow 0
		.amdhsa_tg_split 0
		.amdhsa_exception_fp_ieee_invalid_op 0
		.amdhsa_exception_fp_denorm_src 0
		.amdhsa_exception_fp_ieee_div_zero 0
		.amdhsa_exception_fp_ieee_overflow 0
		.amdhsa_exception_fp_ieee_underflow 0
		.amdhsa_exception_fp_ieee_inexact 0
		.amdhsa_exception_int_div_zero 0
	.end_amdhsa_kernel
	.section	.text._ZN7rocprim17ROCPRIM_400000_NS6detail17trampoline_kernelINS0_14default_configENS1_27lower_bound_config_selectorIxlEEZNS1_14transform_implILb0ES3_S5_N6thrust23THRUST_200600_302600_NS17counting_iteratorIxNS8_11use_defaultESA_SA_EEPlZNS1_13binary_searchIS3_S5_PxSB_SC_NS1_21lower_bound_search_opENS8_6detail16wrapped_functionI11custom_lessbEEEE10hipError_tPvRmT1_T2_T3_mmT4_T5_P12ihipStream_tbEUlRKxE_EESK_SO_SP_mSQ_ST_bEUlT_E_NS1_11comp_targetILNS1_3genE10ELNS1_11target_archE1200ELNS1_3gpuE4ELNS1_3repE0EEENS1_30default_config_static_selectorELNS0_4arch9wavefront6targetE1EEEvSN_,"axG",@progbits,_ZN7rocprim17ROCPRIM_400000_NS6detail17trampoline_kernelINS0_14default_configENS1_27lower_bound_config_selectorIxlEEZNS1_14transform_implILb0ES3_S5_N6thrust23THRUST_200600_302600_NS17counting_iteratorIxNS8_11use_defaultESA_SA_EEPlZNS1_13binary_searchIS3_S5_PxSB_SC_NS1_21lower_bound_search_opENS8_6detail16wrapped_functionI11custom_lessbEEEE10hipError_tPvRmT1_T2_T3_mmT4_T5_P12ihipStream_tbEUlRKxE_EESK_SO_SP_mSQ_ST_bEUlT_E_NS1_11comp_targetILNS1_3genE10ELNS1_11target_archE1200ELNS1_3gpuE4ELNS1_3repE0EEENS1_30default_config_static_selectorELNS0_4arch9wavefront6targetE1EEEvSN_,comdat
.Lfunc_end64:
	.size	_ZN7rocprim17ROCPRIM_400000_NS6detail17trampoline_kernelINS0_14default_configENS1_27lower_bound_config_selectorIxlEEZNS1_14transform_implILb0ES3_S5_N6thrust23THRUST_200600_302600_NS17counting_iteratorIxNS8_11use_defaultESA_SA_EEPlZNS1_13binary_searchIS3_S5_PxSB_SC_NS1_21lower_bound_search_opENS8_6detail16wrapped_functionI11custom_lessbEEEE10hipError_tPvRmT1_T2_T3_mmT4_T5_P12ihipStream_tbEUlRKxE_EESK_SO_SP_mSQ_ST_bEUlT_E_NS1_11comp_targetILNS1_3genE10ELNS1_11target_archE1200ELNS1_3gpuE4ELNS1_3repE0EEENS1_30default_config_static_selectorELNS0_4arch9wavefront6targetE1EEEvSN_, .Lfunc_end64-_ZN7rocprim17ROCPRIM_400000_NS6detail17trampoline_kernelINS0_14default_configENS1_27lower_bound_config_selectorIxlEEZNS1_14transform_implILb0ES3_S5_N6thrust23THRUST_200600_302600_NS17counting_iteratorIxNS8_11use_defaultESA_SA_EEPlZNS1_13binary_searchIS3_S5_PxSB_SC_NS1_21lower_bound_search_opENS8_6detail16wrapped_functionI11custom_lessbEEEE10hipError_tPvRmT1_T2_T3_mmT4_T5_P12ihipStream_tbEUlRKxE_EESK_SO_SP_mSQ_ST_bEUlT_E_NS1_11comp_targetILNS1_3genE10ELNS1_11target_archE1200ELNS1_3gpuE4ELNS1_3repE0EEENS1_30default_config_static_selectorELNS0_4arch9wavefront6targetE1EEEvSN_
                                        ; -- End function
	.section	.AMDGPU.csdata,"",@progbits
; Kernel info:
; codeLenInByte = 0
; NumSgprs: 4
; NumVgprs: 0
; NumAgprs: 0
; TotalNumVgprs: 0
; ScratchSize: 0
; MemoryBound: 0
; FloatMode: 240
; IeeeMode: 1
; LDSByteSize: 0 bytes/workgroup (compile time only)
; SGPRBlocks: 0
; VGPRBlocks: 0
; NumSGPRsForWavesPerEU: 4
; NumVGPRsForWavesPerEU: 1
; AccumOffset: 4
; Occupancy: 8
; WaveLimiterHint : 0
; COMPUTE_PGM_RSRC2:SCRATCH_EN: 0
; COMPUTE_PGM_RSRC2:USER_SGPR: 6
; COMPUTE_PGM_RSRC2:TRAP_HANDLER: 0
; COMPUTE_PGM_RSRC2:TGID_X_EN: 1
; COMPUTE_PGM_RSRC2:TGID_Y_EN: 0
; COMPUTE_PGM_RSRC2:TGID_Z_EN: 0
; COMPUTE_PGM_RSRC2:TIDIG_COMP_CNT: 0
; COMPUTE_PGM_RSRC3_GFX90A:ACCUM_OFFSET: 0
; COMPUTE_PGM_RSRC3_GFX90A:TG_SPLIT: 0
	.section	.text._ZN7rocprim17ROCPRIM_400000_NS6detail17trampoline_kernelINS0_14default_configENS1_27lower_bound_config_selectorIxlEEZNS1_14transform_implILb0ES3_S5_N6thrust23THRUST_200600_302600_NS17counting_iteratorIxNS8_11use_defaultESA_SA_EEPlZNS1_13binary_searchIS3_S5_PxSB_SC_NS1_21lower_bound_search_opENS8_6detail16wrapped_functionI11custom_lessbEEEE10hipError_tPvRmT1_T2_T3_mmT4_T5_P12ihipStream_tbEUlRKxE_EESK_SO_SP_mSQ_ST_bEUlT_E_NS1_11comp_targetILNS1_3genE9ELNS1_11target_archE1100ELNS1_3gpuE3ELNS1_3repE0EEENS1_30default_config_static_selectorELNS0_4arch9wavefront6targetE1EEEvSN_,"axG",@progbits,_ZN7rocprim17ROCPRIM_400000_NS6detail17trampoline_kernelINS0_14default_configENS1_27lower_bound_config_selectorIxlEEZNS1_14transform_implILb0ES3_S5_N6thrust23THRUST_200600_302600_NS17counting_iteratorIxNS8_11use_defaultESA_SA_EEPlZNS1_13binary_searchIS3_S5_PxSB_SC_NS1_21lower_bound_search_opENS8_6detail16wrapped_functionI11custom_lessbEEEE10hipError_tPvRmT1_T2_T3_mmT4_T5_P12ihipStream_tbEUlRKxE_EESK_SO_SP_mSQ_ST_bEUlT_E_NS1_11comp_targetILNS1_3genE9ELNS1_11target_archE1100ELNS1_3gpuE3ELNS1_3repE0EEENS1_30default_config_static_selectorELNS0_4arch9wavefront6targetE1EEEvSN_,comdat
	.protected	_ZN7rocprim17ROCPRIM_400000_NS6detail17trampoline_kernelINS0_14default_configENS1_27lower_bound_config_selectorIxlEEZNS1_14transform_implILb0ES3_S5_N6thrust23THRUST_200600_302600_NS17counting_iteratorIxNS8_11use_defaultESA_SA_EEPlZNS1_13binary_searchIS3_S5_PxSB_SC_NS1_21lower_bound_search_opENS8_6detail16wrapped_functionI11custom_lessbEEEE10hipError_tPvRmT1_T2_T3_mmT4_T5_P12ihipStream_tbEUlRKxE_EESK_SO_SP_mSQ_ST_bEUlT_E_NS1_11comp_targetILNS1_3genE9ELNS1_11target_archE1100ELNS1_3gpuE3ELNS1_3repE0EEENS1_30default_config_static_selectorELNS0_4arch9wavefront6targetE1EEEvSN_ ; -- Begin function _ZN7rocprim17ROCPRIM_400000_NS6detail17trampoline_kernelINS0_14default_configENS1_27lower_bound_config_selectorIxlEEZNS1_14transform_implILb0ES3_S5_N6thrust23THRUST_200600_302600_NS17counting_iteratorIxNS8_11use_defaultESA_SA_EEPlZNS1_13binary_searchIS3_S5_PxSB_SC_NS1_21lower_bound_search_opENS8_6detail16wrapped_functionI11custom_lessbEEEE10hipError_tPvRmT1_T2_T3_mmT4_T5_P12ihipStream_tbEUlRKxE_EESK_SO_SP_mSQ_ST_bEUlT_E_NS1_11comp_targetILNS1_3genE9ELNS1_11target_archE1100ELNS1_3gpuE3ELNS1_3repE0EEENS1_30default_config_static_selectorELNS0_4arch9wavefront6targetE1EEEvSN_
	.globl	_ZN7rocprim17ROCPRIM_400000_NS6detail17trampoline_kernelINS0_14default_configENS1_27lower_bound_config_selectorIxlEEZNS1_14transform_implILb0ES3_S5_N6thrust23THRUST_200600_302600_NS17counting_iteratorIxNS8_11use_defaultESA_SA_EEPlZNS1_13binary_searchIS3_S5_PxSB_SC_NS1_21lower_bound_search_opENS8_6detail16wrapped_functionI11custom_lessbEEEE10hipError_tPvRmT1_T2_T3_mmT4_T5_P12ihipStream_tbEUlRKxE_EESK_SO_SP_mSQ_ST_bEUlT_E_NS1_11comp_targetILNS1_3genE9ELNS1_11target_archE1100ELNS1_3gpuE3ELNS1_3repE0EEENS1_30default_config_static_selectorELNS0_4arch9wavefront6targetE1EEEvSN_
	.p2align	8
	.type	_ZN7rocprim17ROCPRIM_400000_NS6detail17trampoline_kernelINS0_14default_configENS1_27lower_bound_config_selectorIxlEEZNS1_14transform_implILb0ES3_S5_N6thrust23THRUST_200600_302600_NS17counting_iteratorIxNS8_11use_defaultESA_SA_EEPlZNS1_13binary_searchIS3_S5_PxSB_SC_NS1_21lower_bound_search_opENS8_6detail16wrapped_functionI11custom_lessbEEEE10hipError_tPvRmT1_T2_T3_mmT4_T5_P12ihipStream_tbEUlRKxE_EESK_SO_SP_mSQ_ST_bEUlT_E_NS1_11comp_targetILNS1_3genE9ELNS1_11target_archE1100ELNS1_3gpuE3ELNS1_3repE0EEENS1_30default_config_static_selectorELNS0_4arch9wavefront6targetE1EEEvSN_,@function
_ZN7rocprim17ROCPRIM_400000_NS6detail17trampoline_kernelINS0_14default_configENS1_27lower_bound_config_selectorIxlEEZNS1_14transform_implILb0ES3_S5_N6thrust23THRUST_200600_302600_NS17counting_iteratorIxNS8_11use_defaultESA_SA_EEPlZNS1_13binary_searchIS3_S5_PxSB_SC_NS1_21lower_bound_search_opENS8_6detail16wrapped_functionI11custom_lessbEEEE10hipError_tPvRmT1_T2_T3_mmT4_T5_P12ihipStream_tbEUlRKxE_EESK_SO_SP_mSQ_ST_bEUlT_E_NS1_11comp_targetILNS1_3genE9ELNS1_11target_archE1100ELNS1_3gpuE3ELNS1_3repE0EEENS1_30default_config_static_selectorELNS0_4arch9wavefront6targetE1EEEvSN_: ; @_ZN7rocprim17ROCPRIM_400000_NS6detail17trampoline_kernelINS0_14default_configENS1_27lower_bound_config_selectorIxlEEZNS1_14transform_implILb0ES3_S5_N6thrust23THRUST_200600_302600_NS17counting_iteratorIxNS8_11use_defaultESA_SA_EEPlZNS1_13binary_searchIS3_S5_PxSB_SC_NS1_21lower_bound_search_opENS8_6detail16wrapped_functionI11custom_lessbEEEE10hipError_tPvRmT1_T2_T3_mmT4_T5_P12ihipStream_tbEUlRKxE_EESK_SO_SP_mSQ_ST_bEUlT_E_NS1_11comp_targetILNS1_3genE9ELNS1_11target_archE1100ELNS1_3gpuE3ELNS1_3repE0EEENS1_30default_config_static_selectorELNS0_4arch9wavefront6targetE1EEEvSN_
; %bb.0:
	.section	.rodata,"a",@progbits
	.p2align	6, 0x0
	.amdhsa_kernel _ZN7rocprim17ROCPRIM_400000_NS6detail17trampoline_kernelINS0_14default_configENS1_27lower_bound_config_selectorIxlEEZNS1_14transform_implILb0ES3_S5_N6thrust23THRUST_200600_302600_NS17counting_iteratorIxNS8_11use_defaultESA_SA_EEPlZNS1_13binary_searchIS3_S5_PxSB_SC_NS1_21lower_bound_search_opENS8_6detail16wrapped_functionI11custom_lessbEEEE10hipError_tPvRmT1_T2_T3_mmT4_T5_P12ihipStream_tbEUlRKxE_EESK_SO_SP_mSQ_ST_bEUlT_E_NS1_11comp_targetILNS1_3genE9ELNS1_11target_archE1100ELNS1_3gpuE3ELNS1_3repE0EEENS1_30default_config_static_selectorELNS0_4arch9wavefront6targetE1EEEvSN_
		.amdhsa_group_segment_fixed_size 0
		.amdhsa_private_segment_fixed_size 0
		.amdhsa_kernarg_size 56
		.amdhsa_user_sgpr_count 6
		.amdhsa_user_sgpr_private_segment_buffer 1
		.amdhsa_user_sgpr_dispatch_ptr 0
		.amdhsa_user_sgpr_queue_ptr 0
		.amdhsa_user_sgpr_kernarg_segment_ptr 1
		.amdhsa_user_sgpr_dispatch_id 0
		.amdhsa_user_sgpr_flat_scratch_init 0
		.amdhsa_user_sgpr_kernarg_preload_length 0
		.amdhsa_user_sgpr_kernarg_preload_offset 0
		.amdhsa_user_sgpr_private_segment_size 0
		.amdhsa_uses_dynamic_stack 0
		.amdhsa_system_sgpr_private_segment_wavefront_offset 0
		.amdhsa_system_sgpr_workgroup_id_x 1
		.amdhsa_system_sgpr_workgroup_id_y 0
		.amdhsa_system_sgpr_workgroup_id_z 0
		.amdhsa_system_sgpr_workgroup_info 0
		.amdhsa_system_vgpr_workitem_id 0
		.amdhsa_next_free_vgpr 1
		.amdhsa_next_free_sgpr 0
		.amdhsa_accum_offset 4
		.amdhsa_reserve_vcc 0
		.amdhsa_reserve_flat_scratch 0
		.amdhsa_float_round_mode_32 0
		.amdhsa_float_round_mode_16_64 0
		.amdhsa_float_denorm_mode_32 3
		.amdhsa_float_denorm_mode_16_64 3
		.amdhsa_dx10_clamp 1
		.amdhsa_ieee_mode 1
		.amdhsa_fp16_overflow 0
		.amdhsa_tg_split 0
		.amdhsa_exception_fp_ieee_invalid_op 0
		.amdhsa_exception_fp_denorm_src 0
		.amdhsa_exception_fp_ieee_div_zero 0
		.amdhsa_exception_fp_ieee_overflow 0
		.amdhsa_exception_fp_ieee_underflow 0
		.amdhsa_exception_fp_ieee_inexact 0
		.amdhsa_exception_int_div_zero 0
	.end_amdhsa_kernel
	.section	.text._ZN7rocprim17ROCPRIM_400000_NS6detail17trampoline_kernelINS0_14default_configENS1_27lower_bound_config_selectorIxlEEZNS1_14transform_implILb0ES3_S5_N6thrust23THRUST_200600_302600_NS17counting_iteratorIxNS8_11use_defaultESA_SA_EEPlZNS1_13binary_searchIS3_S5_PxSB_SC_NS1_21lower_bound_search_opENS8_6detail16wrapped_functionI11custom_lessbEEEE10hipError_tPvRmT1_T2_T3_mmT4_T5_P12ihipStream_tbEUlRKxE_EESK_SO_SP_mSQ_ST_bEUlT_E_NS1_11comp_targetILNS1_3genE9ELNS1_11target_archE1100ELNS1_3gpuE3ELNS1_3repE0EEENS1_30default_config_static_selectorELNS0_4arch9wavefront6targetE1EEEvSN_,"axG",@progbits,_ZN7rocprim17ROCPRIM_400000_NS6detail17trampoline_kernelINS0_14default_configENS1_27lower_bound_config_selectorIxlEEZNS1_14transform_implILb0ES3_S5_N6thrust23THRUST_200600_302600_NS17counting_iteratorIxNS8_11use_defaultESA_SA_EEPlZNS1_13binary_searchIS3_S5_PxSB_SC_NS1_21lower_bound_search_opENS8_6detail16wrapped_functionI11custom_lessbEEEE10hipError_tPvRmT1_T2_T3_mmT4_T5_P12ihipStream_tbEUlRKxE_EESK_SO_SP_mSQ_ST_bEUlT_E_NS1_11comp_targetILNS1_3genE9ELNS1_11target_archE1100ELNS1_3gpuE3ELNS1_3repE0EEENS1_30default_config_static_selectorELNS0_4arch9wavefront6targetE1EEEvSN_,comdat
.Lfunc_end65:
	.size	_ZN7rocprim17ROCPRIM_400000_NS6detail17trampoline_kernelINS0_14default_configENS1_27lower_bound_config_selectorIxlEEZNS1_14transform_implILb0ES3_S5_N6thrust23THRUST_200600_302600_NS17counting_iteratorIxNS8_11use_defaultESA_SA_EEPlZNS1_13binary_searchIS3_S5_PxSB_SC_NS1_21lower_bound_search_opENS8_6detail16wrapped_functionI11custom_lessbEEEE10hipError_tPvRmT1_T2_T3_mmT4_T5_P12ihipStream_tbEUlRKxE_EESK_SO_SP_mSQ_ST_bEUlT_E_NS1_11comp_targetILNS1_3genE9ELNS1_11target_archE1100ELNS1_3gpuE3ELNS1_3repE0EEENS1_30default_config_static_selectorELNS0_4arch9wavefront6targetE1EEEvSN_, .Lfunc_end65-_ZN7rocprim17ROCPRIM_400000_NS6detail17trampoline_kernelINS0_14default_configENS1_27lower_bound_config_selectorIxlEEZNS1_14transform_implILb0ES3_S5_N6thrust23THRUST_200600_302600_NS17counting_iteratorIxNS8_11use_defaultESA_SA_EEPlZNS1_13binary_searchIS3_S5_PxSB_SC_NS1_21lower_bound_search_opENS8_6detail16wrapped_functionI11custom_lessbEEEE10hipError_tPvRmT1_T2_T3_mmT4_T5_P12ihipStream_tbEUlRKxE_EESK_SO_SP_mSQ_ST_bEUlT_E_NS1_11comp_targetILNS1_3genE9ELNS1_11target_archE1100ELNS1_3gpuE3ELNS1_3repE0EEENS1_30default_config_static_selectorELNS0_4arch9wavefront6targetE1EEEvSN_
                                        ; -- End function
	.section	.AMDGPU.csdata,"",@progbits
; Kernel info:
; codeLenInByte = 0
; NumSgprs: 4
; NumVgprs: 0
; NumAgprs: 0
; TotalNumVgprs: 0
; ScratchSize: 0
; MemoryBound: 0
; FloatMode: 240
; IeeeMode: 1
; LDSByteSize: 0 bytes/workgroup (compile time only)
; SGPRBlocks: 0
; VGPRBlocks: 0
; NumSGPRsForWavesPerEU: 4
; NumVGPRsForWavesPerEU: 1
; AccumOffset: 4
; Occupancy: 8
; WaveLimiterHint : 0
; COMPUTE_PGM_RSRC2:SCRATCH_EN: 0
; COMPUTE_PGM_RSRC2:USER_SGPR: 6
; COMPUTE_PGM_RSRC2:TRAP_HANDLER: 0
; COMPUTE_PGM_RSRC2:TGID_X_EN: 1
; COMPUTE_PGM_RSRC2:TGID_Y_EN: 0
; COMPUTE_PGM_RSRC2:TGID_Z_EN: 0
; COMPUTE_PGM_RSRC2:TIDIG_COMP_CNT: 0
; COMPUTE_PGM_RSRC3_GFX90A:ACCUM_OFFSET: 0
; COMPUTE_PGM_RSRC3_GFX90A:TG_SPLIT: 0
	.section	.text._ZN7rocprim17ROCPRIM_400000_NS6detail17trampoline_kernelINS0_14default_configENS1_27lower_bound_config_selectorIxlEEZNS1_14transform_implILb0ES3_S5_N6thrust23THRUST_200600_302600_NS17counting_iteratorIxNS8_11use_defaultESA_SA_EEPlZNS1_13binary_searchIS3_S5_PxSB_SC_NS1_21lower_bound_search_opENS8_6detail16wrapped_functionI11custom_lessbEEEE10hipError_tPvRmT1_T2_T3_mmT4_T5_P12ihipStream_tbEUlRKxE_EESK_SO_SP_mSQ_ST_bEUlT_E_NS1_11comp_targetILNS1_3genE8ELNS1_11target_archE1030ELNS1_3gpuE2ELNS1_3repE0EEENS1_30default_config_static_selectorELNS0_4arch9wavefront6targetE1EEEvSN_,"axG",@progbits,_ZN7rocprim17ROCPRIM_400000_NS6detail17trampoline_kernelINS0_14default_configENS1_27lower_bound_config_selectorIxlEEZNS1_14transform_implILb0ES3_S5_N6thrust23THRUST_200600_302600_NS17counting_iteratorIxNS8_11use_defaultESA_SA_EEPlZNS1_13binary_searchIS3_S5_PxSB_SC_NS1_21lower_bound_search_opENS8_6detail16wrapped_functionI11custom_lessbEEEE10hipError_tPvRmT1_T2_T3_mmT4_T5_P12ihipStream_tbEUlRKxE_EESK_SO_SP_mSQ_ST_bEUlT_E_NS1_11comp_targetILNS1_3genE8ELNS1_11target_archE1030ELNS1_3gpuE2ELNS1_3repE0EEENS1_30default_config_static_selectorELNS0_4arch9wavefront6targetE1EEEvSN_,comdat
	.protected	_ZN7rocprim17ROCPRIM_400000_NS6detail17trampoline_kernelINS0_14default_configENS1_27lower_bound_config_selectorIxlEEZNS1_14transform_implILb0ES3_S5_N6thrust23THRUST_200600_302600_NS17counting_iteratorIxNS8_11use_defaultESA_SA_EEPlZNS1_13binary_searchIS3_S5_PxSB_SC_NS1_21lower_bound_search_opENS8_6detail16wrapped_functionI11custom_lessbEEEE10hipError_tPvRmT1_T2_T3_mmT4_T5_P12ihipStream_tbEUlRKxE_EESK_SO_SP_mSQ_ST_bEUlT_E_NS1_11comp_targetILNS1_3genE8ELNS1_11target_archE1030ELNS1_3gpuE2ELNS1_3repE0EEENS1_30default_config_static_selectorELNS0_4arch9wavefront6targetE1EEEvSN_ ; -- Begin function _ZN7rocprim17ROCPRIM_400000_NS6detail17trampoline_kernelINS0_14default_configENS1_27lower_bound_config_selectorIxlEEZNS1_14transform_implILb0ES3_S5_N6thrust23THRUST_200600_302600_NS17counting_iteratorIxNS8_11use_defaultESA_SA_EEPlZNS1_13binary_searchIS3_S5_PxSB_SC_NS1_21lower_bound_search_opENS8_6detail16wrapped_functionI11custom_lessbEEEE10hipError_tPvRmT1_T2_T3_mmT4_T5_P12ihipStream_tbEUlRKxE_EESK_SO_SP_mSQ_ST_bEUlT_E_NS1_11comp_targetILNS1_3genE8ELNS1_11target_archE1030ELNS1_3gpuE2ELNS1_3repE0EEENS1_30default_config_static_selectorELNS0_4arch9wavefront6targetE1EEEvSN_
	.globl	_ZN7rocprim17ROCPRIM_400000_NS6detail17trampoline_kernelINS0_14default_configENS1_27lower_bound_config_selectorIxlEEZNS1_14transform_implILb0ES3_S5_N6thrust23THRUST_200600_302600_NS17counting_iteratorIxNS8_11use_defaultESA_SA_EEPlZNS1_13binary_searchIS3_S5_PxSB_SC_NS1_21lower_bound_search_opENS8_6detail16wrapped_functionI11custom_lessbEEEE10hipError_tPvRmT1_T2_T3_mmT4_T5_P12ihipStream_tbEUlRKxE_EESK_SO_SP_mSQ_ST_bEUlT_E_NS1_11comp_targetILNS1_3genE8ELNS1_11target_archE1030ELNS1_3gpuE2ELNS1_3repE0EEENS1_30default_config_static_selectorELNS0_4arch9wavefront6targetE1EEEvSN_
	.p2align	8
	.type	_ZN7rocprim17ROCPRIM_400000_NS6detail17trampoline_kernelINS0_14default_configENS1_27lower_bound_config_selectorIxlEEZNS1_14transform_implILb0ES3_S5_N6thrust23THRUST_200600_302600_NS17counting_iteratorIxNS8_11use_defaultESA_SA_EEPlZNS1_13binary_searchIS3_S5_PxSB_SC_NS1_21lower_bound_search_opENS8_6detail16wrapped_functionI11custom_lessbEEEE10hipError_tPvRmT1_T2_T3_mmT4_T5_P12ihipStream_tbEUlRKxE_EESK_SO_SP_mSQ_ST_bEUlT_E_NS1_11comp_targetILNS1_3genE8ELNS1_11target_archE1030ELNS1_3gpuE2ELNS1_3repE0EEENS1_30default_config_static_selectorELNS0_4arch9wavefront6targetE1EEEvSN_,@function
_ZN7rocprim17ROCPRIM_400000_NS6detail17trampoline_kernelINS0_14default_configENS1_27lower_bound_config_selectorIxlEEZNS1_14transform_implILb0ES3_S5_N6thrust23THRUST_200600_302600_NS17counting_iteratorIxNS8_11use_defaultESA_SA_EEPlZNS1_13binary_searchIS3_S5_PxSB_SC_NS1_21lower_bound_search_opENS8_6detail16wrapped_functionI11custom_lessbEEEE10hipError_tPvRmT1_T2_T3_mmT4_T5_P12ihipStream_tbEUlRKxE_EESK_SO_SP_mSQ_ST_bEUlT_E_NS1_11comp_targetILNS1_3genE8ELNS1_11target_archE1030ELNS1_3gpuE2ELNS1_3repE0EEENS1_30default_config_static_selectorELNS0_4arch9wavefront6targetE1EEEvSN_: ; @_ZN7rocprim17ROCPRIM_400000_NS6detail17trampoline_kernelINS0_14default_configENS1_27lower_bound_config_selectorIxlEEZNS1_14transform_implILb0ES3_S5_N6thrust23THRUST_200600_302600_NS17counting_iteratorIxNS8_11use_defaultESA_SA_EEPlZNS1_13binary_searchIS3_S5_PxSB_SC_NS1_21lower_bound_search_opENS8_6detail16wrapped_functionI11custom_lessbEEEE10hipError_tPvRmT1_T2_T3_mmT4_T5_P12ihipStream_tbEUlRKxE_EESK_SO_SP_mSQ_ST_bEUlT_E_NS1_11comp_targetILNS1_3genE8ELNS1_11target_archE1030ELNS1_3gpuE2ELNS1_3repE0EEENS1_30default_config_static_selectorELNS0_4arch9wavefront6targetE1EEEvSN_
; %bb.0:
	.section	.rodata,"a",@progbits
	.p2align	6, 0x0
	.amdhsa_kernel _ZN7rocprim17ROCPRIM_400000_NS6detail17trampoline_kernelINS0_14default_configENS1_27lower_bound_config_selectorIxlEEZNS1_14transform_implILb0ES3_S5_N6thrust23THRUST_200600_302600_NS17counting_iteratorIxNS8_11use_defaultESA_SA_EEPlZNS1_13binary_searchIS3_S5_PxSB_SC_NS1_21lower_bound_search_opENS8_6detail16wrapped_functionI11custom_lessbEEEE10hipError_tPvRmT1_T2_T3_mmT4_T5_P12ihipStream_tbEUlRKxE_EESK_SO_SP_mSQ_ST_bEUlT_E_NS1_11comp_targetILNS1_3genE8ELNS1_11target_archE1030ELNS1_3gpuE2ELNS1_3repE0EEENS1_30default_config_static_selectorELNS0_4arch9wavefront6targetE1EEEvSN_
		.amdhsa_group_segment_fixed_size 0
		.amdhsa_private_segment_fixed_size 0
		.amdhsa_kernarg_size 56
		.amdhsa_user_sgpr_count 6
		.amdhsa_user_sgpr_private_segment_buffer 1
		.amdhsa_user_sgpr_dispatch_ptr 0
		.amdhsa_user_sgpr_queue_ptr 0
		.amdhsa_user_sgpr_kernarg_segment_ptr 1
		.amdhsa_user_sgpr_dispatch_id 0
		.amdhsa_user_sgpr_flat_scratch_init 0
		.amdhsa_user_sgpr_kernarg_preload_length 0
		.amdhsa_user_sgpr_kernarg_preload_offset 0
		.amdhsa_user_sgpr_private_segment_size 0
		.amdhsa_uses_dynamic_stack 0
		.amdhsa_system_sgpr_private_segment_wavefront_offset 0
		.amdhsa_system_sgpr_workgroup_id_x 1
		.amdhsa_system_sgpr_workgroup_id_y 0
		.amdhsa_system_sgpr_workgroup_id_z 0
		.amdhsa_system_sgpr_workgroup_info 0
		.amdhsa_system_vgpr_workitem_id 0
		.amdhsa_next_free_vgpr 1
		.amdhsa_next_free_sgpr 0
		.amdhsa_accum_offset 4
		.amdhsa_reserve_vcc 0
		.amdhsa_reserve_flat_scratch 0
		.amdhsa_float_round_mode_32 0
		.amdhsa_float_round_mode_16_64 0
		.amdhsa_float_denorm_mode_32 3
		.amdhsa_float_denorm_mode_16_64 3
		.amdhsa_dx10_clamp 1
		.amdhsa_ieee_mode 1
		.amdhsa_fp16_overflow 0
		.amdhsa_tg_split 0
		.amdhsa_exception_fp_ieee_invalid_op 0
		.amdhsa_exception_fp_denorm_src 0
		.amdhsa_exception_fp_ieee_div_zero 0
		.amdhsa_exception_fp_ieee_overflow 0
		.amdhsa_exception_fp_ieee_underflow 0
		.amdhsa_exception_fp_ieee_inexact 0
		.amdhsa_exception_int_div_zero 0
	.end_amdhsa_kernel
	.section	.text._ZN7rocprim17ROCPRIM_400000_NS6detail17trampoline_kernelINS0_14default_configENS1_27lower_bound_config_selectorIxlEEZNS1_14transform_implILb0ES3_S5_N6thrust23THRUST_200600_302600_NS17counting_iteratorIxNS8_11use_defaultESA_SA_EEPlZNS1_13binary_searchIS3_S5_PxSB_SC_NS1_21lower_bound_search_opENS8_6detail16wrapped_functionI11custom_lessbEEEE10hipError_tPvRmT1_T2_T3_mmT4_T5_P12ihipStream_tbEUlRKxE_EESK_SO_SP_mSQ_ST_bEUlT_E_NS1_11comp_targetILNS1_3genE8ELNS1_11target_archE1030ELNS1_3gpuE2ELNS1_3repE0EEENS1_30default_config_static_selectorELNS0_4arch9wavefront6targetE1EEEvSN_,"axG",@progbits,_ZN7rocprim17ROCPRIM_400000_NS6detail17trampoline_kernelINS0_14default_configENS1_27lower_bound_config_selectorIxlEEZNS1_14transform_implILb0ES3_S5_N6thrust23THRUST_200600_302600_NS17counting_iteratorIxNS8_11use_defaultESA_SA_EEPlZNS1_13binary_searchIS3_S5_PxSB_SC_NS1_21lower_bound_search_opENS8_6detail16wrapped_functionI11custom_lessbEEEE10hipError_tPvRmT1_T2_T3_mmT4_T5_P12ihipStream_tbEUlRKxE_EESK_SO_SP_mSQ_ST_bEUlT_E_NS1_11comp_targetILNS1_3genE8ELNS1_11target_archE1030ELNS1_3gpuE2ELNS1_3repE0EEENS1_30default_config_static_selectorELNS0_4arch9wavefront6targetE1EEEvSN_,comdat
.Lfunc_end66:
	.size	_ZN7rocprim17ROCPRIM_400000_NS6detail17trampoline_kernelINS0_14default_configENS1_27lower_bound_config_selectorIxlEEZNS1_14transform_implILb0ES3_S5_N6thrust23THRUST_200600_302600_NS17counting_iteratorIxNS8_11use_defaultESA_SA_EEPlZNS1_13binary_searchIS3_S5_PxSB_SC_NS1_21lower_bound_search_opENS8_6detail16wrapped_functionI11custom_lessbEEEE10hipError_tPvRmT1_T2_T3_mmT4_T5_P12ihipStream_tbEUlRKxE_EESK_SO_SP_mSQ_ST_bEUlT_E_NS1_11comp_targetILNS1_3genE8ELNS1_11target_archE1030ELNS1_3gpuE2ELNS1_3repE0EEENS1_30default_config_static_selectorELNS0_4arch9wavefront6targetE1EEEvSN_, .Lfunc_end66-_ZN7rocprim17ROCPRIM_400000_NS6detail17trampoline_kernelINS0_14default_configENS1_27lower_bound_config_selectorIxlEEZNS1_14transform_implILb0ES3_S5_N6thrust23THRUST_200600_302600_NS17counting_iteratorIxNS8_11use_defaultESA_SA_EEPlZNS1_13binary_searchIS3_S5_PxSB_SC_NS1_21lower_bound_search_opENS8_6detail16wrapped_functionI11custom_lessbEEEE10hipError_tPvRmT1_T2_T3_mmT4_T5_P12ihipStream_tbEUlRKxE_EESK_SO_SP_mSQ_ST_bEUlT_E_NS1_11comp_targetILNS1_3genE8ELNS1_11target_archE1030ELNS1_3gpuE2ELNS1_3repE0EEENS1_30default_config_static_selectorELNS0_4arch9wavefront6targetE1EEEvSN_
                                        ; -- End function
	.section	.AMDGPU.csdata,"",@progbits
; Kernel info:
; codeLenInByte = 0
; NumSgprs: 4
; NumVgprs: 0
; NumAgprs: 0
; TotalNumVgprs: 0
; ScratchSize: 0
; MemoryBound: 0
; FloatMode: 240
; IeeeMode: 1
; LDSByteSize: 0 bytes/workgroup (compile time only)
; SGPRBlocks: 0
; VGPRBlocks: 0
; NumSGPRsForWavesPerEU: 4
; NumVGPRsForWavesPerEU: 1
; AccumOffset: 4
; Occupancy: 8
; WaveLimiterHint : 0
; COMPUTE_PGM_RSRC2:SCRATCH_EN: 0
; COMPUTE_PGM_RSRC2:USER_SGPR: 6
; COMPUTE_PGM_RSRC2:TRAP_HANDLER: 0
; COMPUTE_PGM_RSRC2:TGID_X_EN: 1
; COMPUTE_PGM_RSRC2:TGID_Y_EN: 0
; COMPUTE_PGM_RSRC2:TGID_Z_EN: 0
; COMPUTE_PGM_RSRC2:TIDIG_COMP_CNT: 0
; COMPUTE_PGM_RSRC3_GFX90A:ACCUM_OFFSET: 0
; COMPUTE_PGM_RSRC3_GFX90A:TG_SPLIT: 0
	.section	.text._Z18lower_bound_kernelIiEvmPT_Pl,"axG",@progbits,_Z18lower_bound_kernelIiEvmPT_Pl,comdat
	.protected	_Z18lower_bound_kernelIiEvmPT_Pl ; -- Begin function _Z18lower_bound_kernelIiEvmPT_Pl
	.globl	_Z18lower_bound_kernelIiEvmPT_Pl
	.p2align	8
	.type	_Z18lower_bound_kernelIiEvmPT_Pl,@function
_Z18lower_bound_kernelIiEvmPT_Pl:       ; @_Z18lower_bound_kernelIiEvmPT_Pl
; %bb.0:
	s_load_dwordx4 s[8:11], s[4:5], 0x0
	s_load_dwordx2 s[6:7], s[4:5], 0x10
	s_mov_b64 s[2:3], 0
	s_waitcnt lgkmcnt(0)
	v_cmp_lt_i64_e64 s[0:1], s[8:9], 1
	s_and_b64 s[0:1], exec, s[0:1]
	s_mov_b64 vcc, s[0:1]
	s_cbranch_vccnz .LBB67_3
; %bb.1:
	s_mov_b64 s[4:5], s[8:9]
.LBB67_2:                               ; =>This Inner Loop Header: Depth=1
	s_sub_u32 s12, s4, s2
	s_subb_u32 s13, s5, s3
	s_lshr_b32 s14, s13, 31
	s_add_u32 s12, s12, s14
	s_addc_u32 s13, s13, 0
	s_ashr_i64 s[12:13], s[12:13], 1
	s_add_u32 s12, s12, s2
	s_addc_u32 s13, s13, s3
	s_lshl_b64 s[14:15], s[12:13], 2
	s_add_u32 s14, s10, s14
	s_addc_u32 s15, s11, s15
	s_load_dword s14, s[14:15], 0x0
	s_add_u32 s15, s12, 1
	s_addc_u32 s16, s13, 0
	s_waitcnt lgkmcnt(0)
	s_cmp_lt_i32 s14, 0
	s_cselect_b32 s5, s5, s13
	s_cselect_b32 s4, s4, s12
	;; [unrolled: 1-line block ×4, first 2 shown]
	v_pk_mov_b32 v[0:1], s[4:5], s[4:5] op_sel:[0,1]
	v_cmp_lt_i64_e32 vcc, s[2:3], v[0:1]
	s_cbranch_vccnz .LBB67_2
.LBB67_3:
	v_cmp_gt_i64_e64 s[4:5], s[8:9], 0
	v_cndmask_b32_e64 v3, 0, 1, s[4:5]
	v_mov_b32_e32 v2, 0
	v_pk_mov_b32 v[0:1], s[2:3], s[2:3] op_sel:[0,1]
	v_cmp_ne_u32_e64 s[2:3], 1, v3
	s_andn2_b64 vcc, exec, s[4:5]
	s_mov_b64 s[4:5], 0
	global_store_dwordx2 v2, v[0:1], s[6:7]
	s_cbranch_vccnz .LBB67_6
; %bb.4:
	s_mov_b64 s[12:13], s[8:9]
.LBB67_5:                               ; =>This Inner Loop Header: Depth=1
	s_sub_u32 s14, s12, s4
	s_subb_u32 s15, s13, s5
	s_lshr_b32 s16, s15, 31
	s_add_u32 s14, s14, s16
	s_addc_u32 s15, s15, 0
	s_ashr_i64 s[14:15], s[14:15], 1
	s_add_u32 s14, s14, s4
	s_addc_u32 s15, s15, s5
	s_lshl_b64 s[16:17], s[14:15], 2
	s_add_u32 s16, s10, s16
	s_addc_u32 s17, s11, s17
	s_load_dword s16, s[16:17], 0x0
	s_add_u32 s17, s14, 1
	s_addc_u32 s18, s15, 0
	s_waitcnt lgkmcnt(0)
	s_cmp_lt_i32 s16, 1
	s_cselect_b32 s13, s13, s15
	s_cselect_b32 s12, s12, s14
	;; [unrolled: 1-line block ×4, first 2 shown]
	v_pk_mov_b32 v[0:1], s[12:13], s[12:13] op_sel:[0,1]
	v_cmp_lt_i64_e32 vcc, s[4:5], v[0:1]
	s_cbranch_vccnz .LBB67_5
.LBB67_6:
	v_mov_b32_e32 v2, 0
	v_pk_mov_b32 v[0:1], s[4:5], s[4:5] op_sel:[0,1]
	s_and_b64 vcc, exec, s[2:3]
	s_mov_b64 s[4:5], 0
	global_store_dwordx2 v2, v[0:1], s[6:7] offset:8
	s_cbranch_vccnz .LBB67_9
; %bb.7:
	s_mov_b64 s[12:13], s[8:9]
.LBB67_8:                               ; =>This Inner Loop Header: Depth=1
	s_sub_u32 s14, s12, s4
	s_subb_u32 s15, s13, s5
	s_lshr_b32 s16, s15, 31
	s_add_u32 s14, s14, s16
	s_addc_u32 s15, s15, 0
	s_ashr_i64 s[14:15], s[14:15], 1
	s_add_u32 s14, s14, s4
	s_addc_u32 s15, s15, s5
	s_lshl_b64 s[16:17], s[14:15], 2
	s_add_u32 s16, s10, s16
	s_addc_u32 s17, s11, s17
	s_load_dword s16, s[16:17], 0x0
	s_add_u32 s17, s14, 1
	s_addc_u32 s18, s15, 0
	s_waitcnt lgkmcnt(0)
	s_cmp_lt_i32 s16, 2
	s_cselect_b32 s13, s13, s15
	s_cselect_b32 s12, s12, s14
	;; [unrolled: 1-line block ×4, first 2 shown]
	v_pk_mov_b32 v[0:1], s[12:13], s[12:13] op_sel:[0,1]
	v_cmp_lt_i64_e32 vcc, s[4:5], v[0:1]
	s_cbranch_vccnz .LBB67_8
.LBB67_9:
	v_mov_b32_e32 v2, 0
	v_pk_mov_b32 v[0:1], s[4:5], s[4:5] op_sel:[0,1]
	s_and_b64 vcc, exec, s[2:3]
	s_mov_b64 s[4:5], 0
	global_store_dwordx2 v2, v[0:1], s[6:7] offset:16
	s_cbranch_vccnz .LBB67_12
; %bb.10:
	s_mov_b64 s[12:13], s[8:9]
.LBB67_11:                              ; =>This Inner Loop Header: Depth=1
	s_sub_u32 s14, s12, s4
	s_subb_u32 s15, s13, s5
	s_lshr_b32 s16, s15, 31
	s_add_u32 s14, s14, s16
	s_addc_u32 s15, s15, 0
	s_ashr_i64 s[14:15], s[14:15], 1
	s_add_u32 s14, s14, s4
	s_addc_u32 s15, s15, s5
	s_lshl_b64 s[16:17], s[14:15], 2
	s_add_u32 s16, s10, s16
	s_addc_u32 s17, s11, s17
	s_load_dword s16, s[16:17], 0x0
	s_add_u32 s17, s14, 1
	s_addc_u32 s18, s15, 0
	s_waitcnt lgkmcnt(0)
	s_cmp_lt_i32 s16, 3
	s_cselect_b32 s13, s13, s15
	s_cselect_b32 s12, s12, s14
	s_cselect_b32 s5, s18, s5
	s_cselect_b32 s4, s17, s4
	v_pk_mov_b32 v[0:1], s[12:13], s[12:13] op_sel:[0,1]
	v_cmp_lt_i64_e32 vcc, s[4:5], v[0:1]
	s_cbranch_vccnz .LBB67_11
.LBB67_12:
	v_mov_b32_e32 v2, 0
	v_pk_mov_b32 v[0:1], s[4:5], s[4:5] op_sel:[0,1]
	s_and_b64 vcc, exec, s[2:3]
	s_mov_b64 s[4:5], 0
	global_store_dwordx2 v2, v[0:1], s[6:7] offset:24
	s_cbranch_vccnz .LBB67_15
; %bb.13:
	s_mov_b64 s[12:13], s[8:9]
.LBB67_14:                              ; =>This Inner Loop Header: Depth=1
	s_sub_u32 s14, s12, s4
	s_subb_u32 s15, s13, s5
	s_lshr_b32 s16, s15, 31
	s_add_u32 s14, s14, s16
	s_addc_u32 s15, s15, 0
	s_ashr_i64 s[14:15], s[14:15], 1
	s_add_u32 s14, s14, s4
	s_addc_u32 s15, s15, s5
	s_lshl_b64 s[16:17], s[14:15], 2
	s_add_u32 s16, s10, s16
	s_addc_u32 s17, s11, s17
	s_load_dword s16, s[16:17], 0x0
	s_add_u32 s17, s14, 1
	s_addc_u32 s18, s15, 0
	s_waitcnt lgkmcnt(0)
	s_cmp_lt_i32 s16, 4
	s_cselect_b32 s13, s13, s15
	s_cselect_b32 s12, s12, s14
	s_cselect_b32 s5, s18, s5
	s_cselect_b32 s4, s17, s4
	v_pk_mov_b32 v[0:1], s[12:13], s[12:13] op_sel:[0,1]
	v_cmp_lt_i64_e32 vcc, s[4:5], v[0:1]
	s_cbranch_vccnz .LBB67_14
.LBB67_15:
	;; [unrolled: 33-line block ×5, first 2 shown]
	v_mov_b32_e32 v0, 0
	v_pk_mov_b32 v[2:3], s[2:3], s[2:3] op_sel:[0,1]
	s_mov_b64 vcc, s[0:1]
	global_store_dwordx2 v0, v[2:3], s[6:7] offset:56
	s_cbranch_vccz .LBB67_26
; %bb.25:
	v_mov_b32_e32 v1, v0
	global_store_dwordx2 v0, v[0:1], s[6:7] offset:64
	s_mov_b64 s[0:1], 0
	s_cbranch_execz .LBB67_27
	s_branch .LBB67_31
.LBB67_26:
                                        ; implicit-def: $sgpr0_sgpr1
.LBB67_27:
	s_mov_b64 s[0:1], 0
	s_mov_b64 s[2:3], s[8:9]
.LBB67_28:                              ; =>This Inner Loop Header: Depth=1
	s_sub_u32 s4, s2, s0
	s_subb_u32 s5, s3, s1
	s_lshr_b32 s12, s5, 31
	s_add_u32 s4, s4, s12
	s_addc_u32 s5, s5, 0
	s_ashr_i64 s[4:5], s[4:5], 1
	s_add_u32 s4, s4, s0
	s_addc_u32 s5, s5, s1
	s_lshl_b64 s[12:13], s[4:5], 2
	s_add_u32 s12, s10, s12
	s_addc_u32 s13, s11, s13
	s_load_dword s12, s[12:13], 0x0
	s_add_u32 s13, s4, 1
	s_addc_u32 s14, s5, 0
	s_waitcnt lgkmcnt(0)
	s_cmp_lt_i32 s12, 8
	s_cselect_b32 s3, s3, s5
	s_cselect_b32 s2, s2, s4
	;; [unrolled: 1-line block ×4, first 2 shown]
	v_pk_mov_b32 v[0:1], s[2:3], s[2:3] op_sel:[0,1]
	v_cmp_lt_i64_e32 vcc, s[0:1], v[0:1]
	s_cbranch_vccnz .LBB67_28
; %bb.29:
	v_mov_b32_e32 v2, 0
	v_pk_mov_b32 v[0:1], s[0:1], s[0:1] op_sel:[0,1]
	s_mov_b64 s[0:1], 0
	global_store_dwordx2 v2, v[0:1], s[6:7] offset:64
.LBB67_30:                              ; =>This Inner Loop Header: Depth=1
	s_sub_u32 s2, s8, s0
	s_subb_u32 s3, s9, s1
	s_lshr_b32 s4, s3, 31
	s_add_u32 s2, s2, s4
	s_addc_u32 s3, s3, 0
	s_ashr_i64 s[2:3], s[2:3], 1
	s_add_u32 s2, s2, s0
	s_addc_u32 s3, s3, s1
	s_lshl_b64 s[4:5], s[2:3], 2
	s_add_u32 s4, s10, s4
	s_addc_u32 s5, s11, s5
	s_load_dword s4, s[4:5], 0x0
	s_add_u32 s5, s2, 1
	s_addc_u32 s12, s3, 0
	s_waitcnt lgkmcnt(0)
	s_cmp_lt_i32 s4, 9
	s_cselect_b32 s9, s9, s3
	s_cselect_b32 s8, s8, s2
	;; [unrolled: 1-line block ×4, first 2 shown]
	v_pk_mov_b32 v[0:1], s[8:9], s[8:9] op_sel:[0,1]
	v_cmp_ge_i64_e32 vcc, s[0:1], v[0:1]
	s_cbranch_vccz .LBB67_30
.LBB67_31:
	v_mov_b32_e32 v2, 0
	v_pk_mov_b32 v[0:1], s[0:1], s[0:1] op_sel:[0,1]
	global_store_dwordx2 v2, v[0:1], s[6:7] offset:72
	s_endpgm
	.section	.rodata,"a",@progbits
	.p2align	6, 0x0
	.amdhsa_kernel _Z18lower_bound_kernelIiEvmPT_Pl
		.amdhsa_group_segment_fixed_size 0
		.amdhsa_private_segment_fixed_size 0
		.amdhsa_kernarg_size 24
		.amdhsa_user_sgpr_count 6
		.amdhsa_user_sgpr_private_segment_buffer 1
		.amdhsa_user_sgpr_dispatch_ptr 0
		.amdhsa_user_sgpr_queue_ptr 0
		.amdhsa_user_sgpr_kernarg_segment_ptr 1
		.amdhsa_user_sgpr_dispatch_id 0
		.amdhsa_user_sgpr_flat_scratch_init 0
		.amdhsa_user_sgpr_kernarg_preload_length 0
		.amdhsa_user_sgpr_kernarg_preload_offset 0
		.amdhsa_user_sgpr_private_segment_size 0
		.amdhsa_uses_dynamic_stack 0
		.amdhsa_system_sgpr_private_segment_wavefront_offset 0
		.amdhsa_system_sgpr_workgroup_id_x 1
		.amdhsa_system_sgpr_workgroup_id_y 0
		.amdhsa_system_sgpr_workgroup_id_z 0
		.amdhsa_system_sgpr_workgroup_info 0
		.amdhsa_system_vgpr_workitem_id 0
		.amdhsa_next_free_vgpr 4
		.amdhsa_next_free_sgpr 19
		.amdhsa_accum_offset 4
		.amdhsa_reserve_vcc 1
		.amdhsa_reserve_flat_scratch 0
		.amdhsa_float_round_mode_32 0
		.amdhsa_float_round_mode_16_64 0
		.amdhsa_float_denorm_mode_32 3
		.amdhsa_float_denorm_mode_16_64 3
		.amdhsa_dx10_clamp 1
		.amdhsa_ieee_mode 1
		.amdhsa_fp16_overflow 0
		.amdhsa_tg_split 0
		.amdhsa_exception_fp_ieee_invalid_op 0
		.amdhsa_exception_fp_denorm_src 0
		.amdhsa_exception_fp_ieee_div_zero 0
		.amdhsa_exception_fp_ieee_overflow 0
		.amdhsa_exception_fp_ieee_underflow 0
		.amdhsa_exception_fp_ieee_inexact 0
		.amdhsa_exception_int_div_zero 0
	.end_amdhsa_kernel
	.section	.text._Z18lower_bound_kernelIiEvmPT_Pl,"axG",@progbits,_Z18lower_bound_kernelIiEvmPT_Pl,comdat
.Lfunc_end67:
	.size	_Z18lower_bound_kernelIiEvmPT_Pl, .Lfunc_end67-_Z18lower_bound_kernelIiEvmPT_Pl
                                        ; -- End function
	.section	.AMDGPU.csdata,"",@progbits
; Kernel info:
; codeLenInByte = 1432
; NumSgprs: 23
; NumVgprs: 4
; NumAgprs: 0
; TotalNumVgprs: 4
; ScratchSize: 0
; MemoryBound: 0
; FloatMode: 240
; IeeeMode: 1
; LDSByteSize: 0 bytes/workgroup (compile time only)
; SGPRBlocks: 2
; VGPRBlocks: 0
; NumSGPRsForWavesPerEU: 23
; NumVGPRsForWavesPerEU: 4
; AccumOffset: 4
; Occupancy: 8
; WaveLimiterHint : 0
; COMPUTE_PGM_RSRC2:SCRATCH_EN: 0
; COMPUTE_PGM_RSRC2:USER_SGPR: 6
; COMPUTE_PGM_RSRC2:TRAP_HANDLER: 0
; COMPUTE_PGM_RSRC2:TGID_X_EN: 1
; COMPUTE_PGM_RSRC2:TGID_Y_EN: 0
; COMPUTE_PGM_RSRC2:TGID_Z_EN: 0
; COMPUTE_PGM_RSRC2:TIDIG_COMP_CNT: 0
; COMPUTE_PGM_RSRC3_GFX90A:ACCUM_OFFSET: 0
; COMPUTE_PGM_RSRC3_GFX90A:TG_SPLIT: 0
	.section	.text._ZN7rocprim17ROCPRIM_400000_NS6detail17trampoline_kernelINS0_14default_configENS1_27lower_bound_config_selectorIilEEZNS1_14transform_implILb0ES3_S5_N6thrust23THRUST_200600_302600_NS17counting_iteratorIiNS8_11use_defaultESA_SA_EEPlZNS1_13binary_searchIS3_S5_PiSB_SC_NS1_21lower_bound_search_opENS8_6detail16wrapped_functionI11custom_lessbEEEE10hipError_tPvRmT1_T2_T3_mmT4_T5_P12ihipStream_tbEUlRKiE_EESK_SO_SP_mSQ_ST_bEUlT_E_NS1_11comp_targetILNS1_3genE0ELNS1_11target_archE4294967295ELNS1_3gpuE0ELNS1_3repE0EEENS1_30default_config_static_selectorELNS0_4arch9wavefront6targetE1EEEvSN_,"axG",@progbits,_ZN7rocprim17ROCPRIM_400000_NS6detail17trampoline_kernelINS0_14default_configENS1_27lower_bound_config_selectorIilEEZNS1_14transform_implILb0ES3_S5_N6thrust23THRUST_200600_302600_NS17counting_iteratorIiNS8_11use_defaultESA_SA_EEPlZNS1_13binary_searchIS3_S5_PiSB_SC_NS1_21lower_bound_search_opENS8_6detail16wrapped_functionI11custom_lessbEEEE10hipError_tPvRmT1_T2_T3_mmT4_T5_P12ihipStream_tbEUlRKiE_EESK_SO_SP_mSQ_ST_bEUlT_E_NS1_11comp_targetILNS1_3genE0ELNS1_11target_archE4294967295ELNS1_3gpuE0ELNS1_3repE0EEENS1_30default_config_static_selectorELNS0_4arch9wavefront6targetE1EEEvSN_,comdat
	.protected	_ZN7rocprim17ROCPRIM_400000_NS6detail17trampoline_kernelINS0_14default_configENS1_27lower_bound_config_selectorIilEEZNS1_14transform_implILb0ES3_S5_N6thrust23THRUST_200600_302600_NS17counting_iteratorIiNS8_11use_defaultESA_SA_EEPlZNS1_13binary_searchIS3_S5_PiSB_SC_NS1_21lower_bound_search_opENS8_6detail16wrapped_functionI11custom_lessbEEEE10hipError_tPvRmT1_T2_T3_mmT4_T5_P12ihipStream_tbEUlRKiE_EESK_SO_SP_mSQ_ST_bEUlT_E_NS1_11comp_targetILNS1_3genE0ELNS1_11target_archE4294967295ELNS1_3gpuE0ELNS1_3repE0EEENS1_30default_config_static_selectorELNS0_4arch9wavefront6targetE1EEEvSN_ ; -- Begin function _ZN7rocprim17ROCPRIM_400000_NS6detail17trampoline_kernelINS0_14default_configENS1_27lower_bound_config_selectorIilEEZNS1_14transform_implILb0ES3_S5_N6thrust23THRUST_200600_302600_NS17counting_iteratorIiNS8_11use_defaultESA_SA_EEPlZNS1_13binary_searchIS3_S5_PiSB_SC_NS1_21lower_bound_search_opENS8_6detail16wrapped_functionI11custom_lessbEEEE10hipError_tPvRmT1_T2_T3_mmT4_T5_P12ihipStream_tbEUlRKiE_EESK_SO_SP_mSQ_ST_bEUlT_E_NS1_11comp_targetILNS1_3genE0ELNS1_11target_archE4294967295ELNS1_3gpuE0ELNS1_3repE0EEENS1_30default_config_static_selectorELNS0_4arch9wavefront6targetE1EEEvSN_
	.globl	_ZN7rocprim17ROCPRIM_400000_NS6detail17trampoline_kernelINS0_14default_configENS1_27lower_bound_config_selectorIilEEZNS1_14transform_implILb0ES3_S5_N6thrust23THRUST_200600_302600_NS17counting_iteratorIiNS8_11use_defaultESA_SA_EEPlZNS1_13binary_searchIS3_S5_PiSB_SC_NS1_21lower_bound_search_opENS8_6detail16wrapped_functionI11custom_lessbEEEE10hipError_tPvRmT1_T2_T3_mmT4_T5_P12ihipStream_tbEUlRKiE_EESK_SO_SP_mSQ_ST_bEUlT_E_NS1_11comp_targetILNS1_3genE0ELNS1_11target_archE4294967295ELNS1_3gpuE0ELNS1_3repE0EEENS1_30default_config_static_selectorELNS0_4arch9wavefront6targetE1EEEvSN_
	.p2align	8
	.type	_ZN7rocprim17ROCPRIM_400000_NS6detail17trampoline_kernelINS0_14default_configENS1_27lower_bound_config_selectorIilEEZNS1_14transform_implILb0ES3_S5_N6thrust23THRUST_200600_302600_NS17counting_iteratorIiNS8_11use_defaultESA_SA_EEPlZNS1_13binary_searchIS3_S5_PiSB_SC_NS1_21lower_bound_search_opENS8_6detail16wrapped_functionI11custom_lessbEEEE10hipError_tPvRmT1_T2_T3_mmT4_T5_P12ihipStream_tbEUlRKiE_EESK_SO_SP_mSQ_ST_bEUlT_E_NS1_11comp_targetILNS1_3genE0ELNS1_11target_archE4294967295ELNS1_3gpuE0ELNS1_3repE0EEENS1_30default_config_static_selectorELNS0_4arch9wavefront6targetE1EEEvSN_,@function
_ZN7rocprim17ROCPRIM_400000_NS6detail17trampoline_kernelINS0_14default_configENS1_27lower_bound_config_selectorIilEEZNS1_14transform_implILb0ES3_S5_N6thrust23THRUST_200600_302600_NS17counting_iteratorIiNS8_11use_defaultESA_SA_EEPlZNS1_13binary_searchIS3_S5_PiSB_SC_NS1_21lower_bound_search_opENS8_6detail16wrapped_functionI11custom_lessbEEEE10hipError_tPvRmT1_T2_T3_mmT4_T5_P12ihipStream_tbEUlRKiE_EESK_SO_SP_mSQ_ST_bEUlT_E_NS1_11comp_targetILNS1_3genE0ELNS1_11target_archE4294967295ELNS1_3gpuE0ELNS1_3repE0EEENS1_30default_config_static_selectorELNS0_4arch9wavefront6targetE1EEEvSN_: ; @_ZN7rocprim17ROCPRIM_400000_NS6detail17trampoline_kernelINS0_14default_configENS1_27lower_bound_config_selectorIilEEZNS1_14transform_implILb0ES3_S5_N6thrust23THRUST_200600_302600_NS17counting_iteratorIiNS8_11use_defaultESA_SA_EEPlZNS1_13binary_searchIS3_S5_PiSB_SC_NS1_21lower_bound_search_opENS8_6detail16wrapped_functionI11custom_lessbEEEE10hipError_tPvRmT1_T2_T3_mmT4_T5_P12ihipStream_tbEUlRKiE_EESK_SO_SP_mSQ_ST_bEUlT_E_NS1_11comp_targetILNS1_3genE0ELNS1_11target_archE4294967295ELNS1_3gpuE0ELNS1_3repE0EEENS1_30default_config_static_selectorELNS0_4arch9wavefront6targetE1EEEvSN_
; %bb.0:
	.section	.rodata,"a",@progbits
	.p2align	6, 0x0
	.amdhsa_kernel _ZN7rocprim17ROCPRIM_400000_NS6detail17trampoline_kernelINS0_14default_configENS1_27lower_bound_config_selectorIilEEZNS1_14transform_implILb0ES3_S5_N6thrust23THRUST_200600_302600_NS17counting_iteratorIiNS8_11use_defaultESA_SA_EEPlZNS1_13binary_searchIS3_S5_PiSB_SC_NS1_21lower_bound_search_opENS8_6detail16wrapped_functionI11custom_lessbEEEE10hipError_tPvRmT1_T2_T3_mmT4_T5_P12ihipStream_tbEUlRKiE_EESK_SO_SP_mSQ_ST_bEUlT_E_NS1_11comp_targetILNS1_3genE0ELNS1_11target_archE4294967295ELNS1_3gpuE0ELNS1_3repE0EEENS1_30default_config_static_selectorELNS0_4arch9wavefront6targetE1EEEvSN_
		.amdhsa_group_segment_fixed_size 0
		.amdhsa_private_segment_fixed_size 0
		.amdhsa_kernarg_size 56
		.amdhsa_user_sgpr_count 6
		.amdhsa_user_sgpr_private_segment_buffer 1
		.amdhsa_user_sgpr_dispatch_ptr 0
		.amdhsa_user_sgpr_queue_ptr 0
		.amdhsa_user_sgpr_kernarg_segment_ptr 1
		.amdhsa_user_sgpr_dispatch_id 0
		.amdhsa_user_sgpr_flat_scratch_init 0
		.amdhsa_user_sgpr_kernarg_preload_length 0
		.amdhsa_user_sgpr_kernarg_preload_offset 0
		.amdhsa_user_sgpr_private_segment_size 0
		.amdhsa_uses_dynamic_stack 0
		.amdhsa_system_sgpr_private_segment_wavefront_offset 0
		.amdhsa_system_sgpr_workgroup_id_x 1
		.amdhsa_system_sgpr_workgroup_id_y 0
		.amdhsa_system_sgpr_workgroup_id_z 0
		.amdhsa_system_sgpr_workgroup_info 0
		.amdhsa_system_vgpr_workitem_id 0
		.amdhsa_next_free_vgpr 1
		.amdhsa_next_free_sgpr 0
		.amdhsa_accum_offset 4
		.amdhsa_reserve_vcc 0
		.amdhsa_reserve_flat_scratch 0
		.amdhsa_float_round_mode_32 0
		.amdhsa_float_round_mode_16_64 0
		.amdhsa_float_denorm_mode_32 3
		.amdhsa_float_denorm_mode_16_64 3
		.amdhsa_dx10_clamp 1
		.amdhsa_ieee_mode 1
		.amdhsa_fp16_overflow 0
		.amdhsa_tg_split 0
		.amdhsa_exception_fp_ieee_invalid_op 0
		.amdhsa_exception_fp_denorm_src 0
		.amdhsa_exception_fp_ieee_div_zero 0
		.amdhsa_exception_fp_ieee_overflow 0
		.amdhsa_exception_fp_ieee_underflow 0
		.amdhsa_exception_fp_ieee_inexact 0
		.amdhsa_exception_int_div_zero 0
	.end_amdhsa_kernel
	.section	.text._ZN7rocprim17ROCPRIM_400000_NS6detail17trampoline_kernelINS0_14default_configENS1_27lower_bound_config_selectorIilEEZNS1_14transform_implILb0ES3_S5_N6thrust23THRUST_200600_302600_NS17counting_iteratorIiNS8_11use_defaultESA_SA_EEPlZNS1_13binary_searchIS3_S5_PiSB_SC_NS1_21lower_bound_search_opENS8_6detail16wrapped_functionI11custom_lessbEEEE10hipError_tPvRmT1_T2_T3_mmT4_T5_P12ihipStream_tbEUlRKiE_EESK_SO_SP_mSQ_ST_bEUlT_E_NS1_11comp_targetILNS1_3genE0ELNS1_11target_archE4294967295ELNS1_3gpuE0ELNS1_3repE0EEENS1_30default_config_static_selectorELNS0_4arch9wavefront6targetE1EEEvSN_,"axG",@progbits,_ZN7rocprim17ROCPRIM_400000_NS6detail17trampoline_kernelINS0_14default_configENS1_27lower_bound_config_selectorIilEEZNS1_14transform_implILb0ES3_S5_N6thrust23THRUST_200600_302600_NS17counting_iteratorIiNS8_11use_defaultESA_SA_EEPlZNS1_13binary_searchIS3_S5_PiSB_SC_NS1_21lower_bound_search_opENS8_6detail16wrapped_functionI11custom_lessbEEEE10hipError_tPvRmT1_T2_T3_mmT4_T5_P12ihipStream_tbEUlRKiE_EESK_SO_SP_mSQ_ST_bEUlT_E_NS1_11comp_targetILNS1_3genE0ELNS1_11target_archE4294967295ELNS1_3gpuE0ELNS1_3repE0EEENS1_30default_config_static_selectorELNS0_4arch9wavefront6targetE1EEEvSN_,comdat
.Lfunc_end68:
	.size	_ZN7rocprim17ROCPRIM_400000_NS6detail17trampoline_kernelINS0_14default_configENS1_27lower_bound_config_selectorIilEEZNS1_14transform_implILb0ES3_S5_N6thrust23THRUST_200600_302600_NS17counting_iteratorIiNS8_11use_defaultESA_SA_EEPlZNS1_13binary_searchIS3_S5_PiSB_SC_NS1_21lower_bound_search_opENS8_6detail16wrapped_functionI11custom_lessbEEEE10hipError_tPvRmT1_T2_T3_mmT4_T5_P12ihipStream_tbEUlRKiE_EESK_SO_SP_mSQ_ST_bEUlT_E_NS1_11comp_targetILNS1_3genE0ELNS1_11target_archE4294967295ELNS1_3gpuE0ELNS1_3repE0EEENS1_30default_config_static_selectorELNS0_4arch9wavefront6targetE1EEEvSN_, .Lfunc_end68-_ZN7rocprim17ROCPRIM_400000_NS6detail17trampoline_kernelINS0_14default_configENS1_27lower_bound_config_selectorIilEEZNS1_14transform_implILb0ES3_S5_N6thrust23THRUST_200600_302600_NS17counting_iteratorIiNS8_11use_defaultESA_SA_EEPlZNS1_13binary_searchIS3_S5_PiSB_SC_NS1_21lower_bound_search_opENS8_6detail16wrapped_functionI11custom_lessbEEEE10hipError_tPvRmT1_T2_T3_mmT4_T5_P12ihipStream_tbEUlRKiE_EESK_SO_SP_mSQ_ST_bEUlT_E_NS1_11comp_targetILNS1_3genE0ELNS1_11target_archE4294967295ELNS1_3gpuE0ELNS1_3repE0EEENS1_30default_config_static_selectorELNS0_4arch9wavefront6targetE1EEEvSN_
                                        ; -- End function
	.section	.AMDGPU.csdata,"",@progbits
; Kernel info:
; codeLenInByte = 0
; NumSgprs: 4
; NumVgprs: 0
; NumAgprs: 0
; TotalNumVgprs: 0
; ScratchSize: 0
; MemoryBound: 0
; FloatMode: 240
; IeeeMode: 1
; LDSByteSize: 0 bytes/workgroup (compile time only)
; SGPRBlocks: 0
; VGPRBlocks: 0
; NumSGPRsForWavesPerEU: 4
; NumVGPRsForWavesPerEU: 1
; AccumOffset: 4
; Occupancy: 8
; WaveLimiterHint : 0
; COMPUTE_PGM_RSRC2:SCRATCH_EN: 0
; COMPUTE_PGM_RSRC2:USER_SGPR: 6
; COMPUTE_PGM_RSRC2:TRAP_HANDLER: 0
; COMPUTE_PGM_RSRC2:TGID_X_EN: 1
; COMPUTE_PGM_RSRC2:TGID_Y_EN: 0
; COMPUTE_PGM_RSRC2:TGID_Z_EN: 0
; COMPUTE_PGM_RSRC2:TIDIG_COMP_CNT: 0
; COMPUTE_PGM_RSRC3_GFX90A:ACCUM_OFFSET: 0
; COMPUTE_PGM_RSRC3_GFX90A:TG_SPLIT: 0
	.section	.text._ZN7rocprim17ROCPRIM_400000_NS6detail17trampoline_kernelINS0_14default_configENS1_27lower_bound_config_selectorIilEEZNS1_14transform_implILb0ES3_S5_N6thrust23THRUST_200600_302600_NS17counting_iteratorIiNS8_11use_defaultESA_SA_EEPlZNS1_13binary_searchIS3_S5_PiSB_SC_NS1_21lower_bound_search_opENS8_6detail16wrapped_functionI11custom_lessbEEEE10hipError_tPvRmT1_T2_T3_mmT4_T5_P12ihipStream_tbEUlRKiE_EESK_SO_SP_mSQ_ST_bEUlT_E_NS1_11comp_targetILNS1_3genE5ELNS1_11target_archE942ELNS1_3gpuE9ELNS1_3repE0EEENS1_30default_config_static_selectorELNS0_4arch9wavefront6targetE1EEEvSN_,"axG",@progbits,_ZN7rocprim17ROCPRIM_400000_NS6detail17trampoline_kernelINS0_14default_configENS1_27lower_bound_config_selectorIilEEZNS1_14transform_implILb0ES3_S5_N6thrust23THRUST_200600_302600_NS17counting_iteratorIiNS8_11use_defaultESA_SA_EEPlZNS1_13binary_searchIS3_S5_PiSB_SC_NS1_21lower_bound_search_opENS8_6detail16wrapped_functionI11custom_lessbEEEE10hipError_tPvRmT1_T2_T3_mmT4_T5_P12ihipStream_tbEUlRKiE_EESK_SO_SP_mSQ_ST_bEUlT_E_NS1_11comp_targetILNS1_3genE5ELNS1_11target_archE942ELNS1_3gpuE9ELNS1_3repE0EEENS1_30default_config_static_selectorELNS0_4arch9wavefront6targetE1EEEvSN_,comdat
	.protected	_ZN7rocprim17ROCPRIM_400000_NS6detail17trampoline_kernelINS0_14default_configENS1_27lower_bound_config_selectorIilEEZNS1_14transform_implILb0ES3_S5_N6thrust23THRUST_200600_302600_NS17counting_iteratorIiNS8_11use_defaultESA_SA_EEPlZNS1_13binary_searchIS3_S5_PiSB_SC_NS1_21lower_bound_search_opENS8_6detail16wrapped_functionI11custom_lessbEEEE10hipError_tPvRmT1_T2_T3_mmT4_T5_P12ihipStream_tbEUlRKiE_EESK_SO_SP_mSQ_ST_bEUlT_E_NS1_11comp_targetILNS1_3genE5ELNS1_11target_archE942ELNS1_3gpuE9ELNS1_3repE0EEENS1_30default_config_static_selectorELNS0_4arch9wavefront6targetE1EEEvSN_ ; -- Begin function _ZN7rocprim17ROCPRIM_400000_NS6detail17trampoline_kernelINS0_14default_configENS1_27lower_bound_config_selectorIilEEZNS1_14transform_implILb0ES3_S5_N6thrust23THRUST_200600_302600_NS17counting_iteratorIiNS8_11use_defaultESA_SA_EEPlZNS1_13binary_searchIS3_S5_PiSB_SC_NS1_21lower_bound_search_opENS8_6detail16wrapped_functionI11custom_lessbEEEE10hipError_tPvRmT1_T2_T3_mmT4_T5_P12ihipStream_tbEUlRKiE_EESK_SO_SP_mSQ_ST_bEUlT_E_NS1_11comp_targetILNS1_3genE5ELNS1_11target_archE942ELNS1_3gpuE9ELNS1_3repE0EEENS1_30default_config_static_selectorELNS0_4arch9wavefront6targetE1EEEvSN_
	.globl	_ZN7rocprim17ROCPRIM_400000_NS6detail17trampoline_kernelINS0_14default_configENS1_27lower_bound_config_selectorIilEEZNS1_14transform_implILb0ES3_S5_N6thrust23THRUST_200600_302600_NS17counting_iteratorIiNS8_11use_defaultESA_SA_EEPlZNS1_13binary_searchIS3_S5_PiSB_SC_NS1_21lower_bound_search_opENS8_6detail16wrapped_functionI11custom_lessbEEEE10hipError_tPvRmT1_T2_T3_mmT4_T5_P12ihipStream_tbEUlRKiE_EESK_SO_SP_mSQ_ST_bEUlT_E_NS1_11comp_targetILNS1_3genE5ELNS1_11target_archE942ELNS1_3gpuE9ELNS1_3repE0EEENS1_30default_config_static_selectorELNS0_4arch9wavefront6targetE1EEEvSN_
	.p2align	8
	.type	_ZN7rocprim17ROCPRIM_400000_NS6detail17trampoline_kernelINS0_14default_configENS1_27lower_bound_config_selectorIilEEZNS1_14transform_implILb0ES3_S5_N6thrust23THRUST_200600_302600_NS17counting_iteratorIiNS8_11use_defaultESA_SA_EEPlZNS1_13binary_searchIS3_S5_PiSB_SC_NS1_21lower_bound_search_opENS8_6detail16wrapped_functionI11custom_lessbEEEE10hipError_tPvRmT1_T2_T3_mmT4_T5_P12ihipStream_tbEUlRKiE_EESK_SO_SP_mSQ_ST_bEUlT_E_NS1_11comp_targetILNS1_3genE5ELNS1_11target_archE942ELNS1_3gpuE9ELNS1_3repE0EEENS1_30default_config_static_selectorELNS0_4arch9wavefront6targetE1EEEvSN_,@function
_ZN7rocprim17ROCPRIM_400000_NS6detail17trampoline_kernelINS0_14default_configENS1_27lower_bound_config_selectorIilEEZNS1_14transform_implILb0ES3_S5_N6thrust23THRUST_200600_302600_NS17counting_iteratorIiNS8_11use_defaultESA_SA_EEPlZNS1_13binary_searchIS3_S5_PiSB_SC_NS1_21lower_bound_search_opENS8_6detail16wrapped_functionI11custom_lessbEEEE10hipError_tPvRmT1_T2_T3_mmT4_T5_P12ihipStream_tbEUlRKiE_EESK_SO_SP_mSQ_ST_bEUlT_E_NS1_11comp_targetILNS1_3genE5ELNS1_11target_archE942ELNS1_3gpuE9ELNS1_3repE0EEENS1_30default_config_static_selectorELNS0_4arch9wavefront6targetE1EEEvSN_: ; @_ZN7rocprim17ROCPRIM_400000_NS6detail17trampoline_kernelINS0_14default_configENS1_27lower_bound_config_selectorIilEEZNS1_14transform_implILb0ES3_S5_N6thrust23THRUST_200600_302600_NS17counting_iteratorIiNS8_11use_defaultESA_SA_EEPlZNS1_13binary_searchIS3_S5_PiSB_SC_NS1_21lower_bound_search_opENS8_6detail16wrapped_functionI11custom_lessbEEEE10hipError_tPvRmT1_T2_T3_mmT4_T5_P12ihipStream_tbEUlRKiE_EESK_SO_SP_mSQ_ST_bEUlT_E_NS1_11comp_targetILNS1_3genE5ELNS1_11target_archE942ELNS1_3gpuE9ELNS1_3repE0EEENS1_30default_config_static_selectorELNS0_4arch9wavefront6targetE1EEEvSN_
; %bb.0:
	.section	.rodata,"a",@progbits
	.p2align	6, 0x0
	.amdhsa_kernel _ZN7rocprim17ROCPRIM_400000_NS6detail17trampoline_kernelINS0_14default_configENS1_27lower_bound_config_selectorIilEEZNS1_14transform_implILb0ES3_S5_N6thrust23THRUST_200600_302600_NS17counting_iteratorIiNS8_11use_defaultESA_SA_EEPlZNS1_13binary_searchIS3_S5_PiSB_SC_NS1_21lower_bound_search_opENS8_6detail16wrapped_functionI11custom_lessbEEEE10hipError_tPvRmT1_T2_T3_mmT4_T5_P12ihipStream_tbEUlRKiE_EESK_SO_SP_mSQ_ST_bEUlT_E_NS1_11comp_targetILNS1_3genE5ELNS1_11target_archE942ELNS1_3gpuE9ELNS1_3repE0EEENS1_30default_config_static_selectorELNS0_4arch9wavefront6targetE1EEEvSN_
		.amdhsa_group_segment_fixed_size 0
		.amdhsa_private_segment_fixed_size 0
		.amdhsa_kernarg_size 56
		.amdhsa_user_sgpr_count 6
		.amdhsa_user_sgpr_private_segment_buffer 1
		.amdhsa_user_sgpr_dispatch_ptr 0
		.amdhsa_user_sgpr_queue_ptr 0
		.amdhsa_user_sgpr_kernarg_segment_ptr 1
		.amdhsa_user_sgpr_dispatch_id 0
		.amdhsa_user_sgpr_flat_scratch_init 0
		.amdhsa_user_sgpr_kernarg_preload_length 0
		.amdhsa_user_sgpr_kernarg_preload_offset 0
		.amdhsa_user_sgpr_private_segment_size 0
		.amdhsa_uses_dynamic_stack 0
		.amdhsa_system_sgpr_private_segment_wavefront_offset 0
		.amdhsa_system_sgpr_workgroup_id_x 1
		.amdhsa_system_sgpr_workgroup_id_y 0
		.amdhsa_system_sgpr_workgroup_id_z 0
		.amdhsa_system_sgpr_workgroup_info 0
		.amdhsa_system_vgpr_workitem_id 0
		.amdhsa_next_free_vgpr 1
		.amdhsa_next_free_sgpr 0
		.amdhsa_accum_offset 4
		.amdhsa_reserve_vcc 0
		.amdhsa_reserve_flat_scratch 0
		.amdhsa_float_round_mode_32 0
		.amdhsa_float_round_mode_16_64 0
		.amdhsa_float_denorm_mode_32 3
		.amdhsa_float_denorm_mode_16_64 3
		.amdhsa_dx10_clamp 1
		.amdhsa_ieee_mode 1
		.amdhsa_fp16_overflow 0
		.amdhsa_tg_split 0
		.amdhsa_exception_fp_ieee_invalid_op 0
		.amdhsa_exception_fp_denorm_src 0
		.amdhsa_exception_fp_ieee_div_zero 0
		.amdhsa_exception_fp_ieee_overflow 0
		.amdhsa_exception_fp_ieee_underflow 0
		.amdhsa_exception_fp_ieee_inexact 0
		.amdhsa_exception_int_div_zero 0
	.end_amdhsa_kernel
	.section	.text._ZN7rocprim17ROCPRIM_400000_NS6detail17trampoline_kernelINS0_14default_configENS1_27lower_bound_config_selectorIilEEZNS1_14transform_implILb0ES3_S5_N6thrust23THRUST_200600_302600_NS17counting_iteratorIiNS8_11use_defaultESA_SA_EEPlZNS1_13binary_searchIS3_S5_PiSB_SC_NS1_21lower_bound_search_opENS8_6detail16wrapped_functionI11custom_lessbEEEE10hipError_tPvRmT1_T2_T3_mmT4_T5_P12ihipStream_tbEUlRKiE_EESK_SO_SP_mSQ_ST_bEUlT_E_NS1_11comp_targetILNS1_3genE5ELNS1_11target_archE942ELNS1_3gpuE9ELNS1_3repE0EEENS1_30default_config_static_selectorELNS0_4arch9wavefront6targetE1EEEvSN_,"axG",@progbits,_ZN7rocprim17ROCPRIM_400000_NS6detail17trampoline_kernelINS0_14default_configENS1_27lower_bound_config_selectorIilEEZNS1_14transform_implILb0ES3_S5_N6thrust23THRUST_200600_302600_NS17counting_iteratorIiNS8_11use_defaultESA_SA_EEPlZNS1_13binary_searchIS3_S5_PiSB_SC_NS1_21lower_bound_search_opENS8_6detail16wrapped_functionI11custom_lessbEEEE10hipError_tPvRmT1_T2_T3_mmT4_T5_P12ihipStream_tbEUlRKiE_EESK_SO_SP_mSQ_ST_bEUlT_E_NS1_11comp_targetILNS1_3genE5ELNS1_11target_archE942ELNS1_3gpuE9ELNS1_3repE0EEENS1_30default_config_static_selectorELNS0_4arch9wavefront6targetE1EEEvSN_,comdat
.Lfunc_end69:
	.size	_ZN7rocprim17ROCPRIM_400000_NS6detail17trampoline_kernelINS0_14default_configENS1_27lower_bound_config_selectorIilEEZNS1_14transform_implILb0ES3_S5_N6thrust23THRUST_200600_302600_NS17counting_iteratorIiNS8_11use_defaultESA_SA_EEPlZNS1_13binary_searchIS3_S5_PiSB_SC_NS1_21lower_bound_search_opENS8_6detail16wrapped_functionI11custom_lessbEEEE10hipError_tPvRmT1_T2_T3_mmT4_T5_P12ihipStream_tbEUlRKiE_EESK_SO_SP_mSQ_ST_bEUlT_E_NS1_11comp_targetILNS1_3genE5ELNS1_11target_archE942ELNS1_3gpuE9ELNS1_3repE0EEENS1_30default_config_static_selectorELNS0_4arch9wavefront6targetE1EEEvSN_, .Lfunc_end69-_ZN7rocprim17ROCPRIM_400000_NS6detail17trampoline_kernelINS0_14default_configENS1_27lower_bound_config_selectorIilEEZNS1_14transform_implILb0ES3_S5_N6thrust23THRUST_200600_302600_NS17counting_iteratorIiNS8_11use_defaultESA_SA_EEPlZNS1_13binary_searchIS3_S5_PiSB_SC_NS1_21lower_bound_search_opENS8_6detail16wrapped_functionI11custom_lessbEEEE10hipError_tPvRmT1_T2_T3_mmT4_T5_P12ihipStream_tbEUlRKiE_EESK_SO_SP_mSQ_ST_bEUlT_E_NS1_11comp_targetILNS1_3genE5ELNS1_11target_archE942ELNS1_3gpuE9ELNS1_3repE0EEENS1_30default_config_static_selectorELNS0_4arch9wavefront6targetE1EEEvSN_
                                        ; -- End function
	.section	.AMDGPU.csdata,"",@progbits
; Kernel info:
; codeLenInByte = 0
; NumSgprs: 4
; NumVgprs: 0
; NumAgprs: 0
; TotalNumVgprs: 0
; ScratchSize: 0
; MemoryBound: 0
; FloatMode: 240
; IeeeMode: 1
; LDSByteSize: 0 bytes/workgroup (compile time only)
; SGPRBlocks: 0
; VGPRBlocks: 0
; NumSGPRsForWavesPerEU: 4
; NumVGPRsForWavesPerEU: 1
; AccumOffset: 4
; Occupancy: 8
; WaveLimiterHint : 0
; COMPUTE_PGM_RSRC2:SCRATCH_EN: 0
; COMPUTE_PGM_RSRC2:USER_SGPR: 6
; COMPUTE_PGM_RSRC2:TRAP_HANDLER: 0
; COMPUTE_PGM_RSRC2:TGID_X_EN: 1
; COMPUTE_PGM_RSRC2:TGID_Y_EN: 0
; COMPUTE_PGM_RSRC2:TGID_Z_EN: 0
; COMPUTE_PGM_RSRC2:TIDIG_COMP_CNT: 0
; COMPUTE_PGM_RSRC3_GFX90A:ACCUM_OFFSET: 0
; COMPUTE_PGM_RSRC3_GFX90A:TG_SPLIT: 0
	.section	.text._ZN7rocprim17ROCPRIM_400000_NS6detail17trampoline_kernelINS0_14default_configENS1_27lower_bound_config_selectorIilEEZNS1_14transform_implILb0ES3_S5_N6thrust23THRUST_200600_302600_NS17counting_iteratorIiNS8_11use_defaultESA_SA_EEPlZNS1_13binary_searchIS3_S5_PiSB_SC_NS1_21lower_bound_search_opENS8_6detail16wrapped_functionI11custom_lessbEEEE10hipError_tPvRmT1_T2_T3_mmT4_T5_P12ihipStream_tbEUlRKiE_EESK_SO_SP_mSQ_ST_bEUlT_E_NS1_11comp_targetILNS1_3genE4ELNS1_11target_archE910ELNS1_3gpuE8ELNS1_3repE0EEENS1_30default_config_static_selectorELNS0_4arch9wavefront6targetE1EEEvSN_,"axG",@progbits,_ZN7rocprim17ROCPRIM_400000_NS6detail17trampoline_kernelINS0_14default_configENS1_27lower_bound_config_selectorIilEEZNS1_14transform_implILb0ES3_S5_N6thrust23THRUST_200600_302600_NS17counting_iteratorIiNS8_11use_defaultESA_SA_EEPlZNS1_13binary_searchIS3_S5_PiSB_SC_NS1_21lower_bound_search_opENS8_6detail16wrapped_functionI11custom_lessbEEEE10hipError_tPvRmT1_T2_T3_mmT4_T5_P12ihipStream_tbEUlRKiE_EESK_SO_SP_mSQ_ST_bEUlT_E_NS1_11comp_targetILNS1_3genE4ELNS1_11target_archE910ELNS1_3gpuE8ELNS1_3repE0EEENS1_30default_config_static_selectorELNS0_4arch9wavefront6targetE1EEEvSN_,comdat
	.protected	_ZN7rocprim17ROCPRIM_400000_NS6detail17trampoline_kernelINS0_14default_configENS1_27lower_bound_config_selectorIilEEZNS1_14transform_implILb0ES3_S5_N6thrust23THRUST_200600_302600_NS17counting_iteratorIiNS8_11use_defaultESA_SA_EEPlZNS1_13binary_searchIS3_S5_PiSB_SC_NS1_21lower_bound_search_opENS8_6detail16wrapped_functionI11custom_lessbEEEE10hipError_tPvRmT1_T2_T3_mmT4_T5_P12ihipStream_tbEUlRKiE_EESK_SO_SP_mSQ_ST_bEUlT_E_NS1_11comp_targetILNS1_3genE4ELNS1_11target_archE910ELNS1_3gpuE8ELNS1_3repE0EEENS1_30default_config_static_selectorELNS0_4arch9wavefront6targetE1EEEvSN_ ; -- Begin function _ZN7rocprim17ROCPRIM_400000_NS6detail17trampoline_kernelINS0_14default_configENS1_27lower_bound_config_selectorIilEEZNS1_14transform_implILb0ES3_S5_N6thrust23THRUST_200600_302600_NS17counting_iteratorIiNS8_11use_defaultESA_SA_EEPlZNS1_13binary_searchIS3_S5_PiSB_SC_NS1_21lower_bound_search_opENS8_6detail16wrapped_functionI11custom_lessbEEEE10hipError_tPvRmT1_T2_T3_mmT4_T5_P12ihipStream_tbEUlRKiE_EESK_SO_SP_mSQ_ST_bEUlT_E_NS1_11comp_targetILNS1_3genE4ELNS1_11target_archE910ELNS1_3gpuE8ELNS1_3repE0EEENS1_30default_config_static_selectorELNS0_4arch9wavefront6targetE1EEEvSN_
	.globl	_ZN7rocprim17ROCPRIM_400000_NS6detail17trampoline_kernelINS0_14default_configENS1_27lower_bound_config_selectorIilEEZNS1_14transform_implILb0ES3_S5_N6thrust23THRUST_200600_302600_NS17counting_iteratorIiNS8_11use_defaultESA_SA_EEPlZNS1_13binary_searchIS3_S5_PiSB_SC_NS1_21lower_bound_search_opENS8_6detail16wrapped_functionI11custom_lessbEEEE10hipError_tPvRmT1_T2_T3_mmT4_T5_P12ihipStream_tbEUlRKiE_EESK_SO_SP_mSQ_ST_bEUlT_E_NS1_11comp_targetILNS1_3genE4ELNS1_11target_archE910ELNS1_3gpuE8ELNS1_3repE0EEENS1_30default_config_static_selectorELNS0_4arch9wavefront6targetE1EEEvSN_
	.p2align	8
	.type	_ZN7rocprim17ROCPRIM_400000_NS6detail17trampoline_kernelINS0_14default_configENS1_27lower_bound_config_selectorIilEEZNS1_14transform_implILb0ES3_S5_N6thrust23THRUST_200600_302600_NS17counting_iteratorIiNS8_11use_defaultESA_SA_EEPlZNS1_13binary_searchIS3_S5_PiSB_SC_NS1_21lower_bound_search_opENS8_6detail16wrapped_functionI11custom_lessbEEEE10hipError_tPvRmT1_T2_T3_mmT4_T5_P12ihipStream_tbEUlRKiE_EESK_SO_SP_mSQ_ST_bEUlT_E_NS1_11comp_targetILNS1_3genE4ELNS1_11target_archE910ELNS1_3gpuE8ELNS1_3repE0EEENS1_30default_config_static_selectorELNS0_4arch9wavefront6targetE1EEEvSN_,@function
_ZN7rocprim17ROCPRIM_400000_NS6detail17trampoline_kernelINS0_14default_configENS1_27lower_bound_config_selectorIilEEZNS1_14transform_implILb0ES3_S5_N6thrust23THRUST_200600_302600_NS17counting_iteratorIiNS8_11use_defaultESA_SA_EEPlZNS1_13binary_searchIS3_S5_PiSB_SC_NS1_21lower_bound_search_opENS8_6detail16wrapped_functionI11custom_lessbEEEE10hipError_tPvRmT1_T2_T3_mmT4_T5_P12ihipStream_tbEUlRKiE_EESK_SO_SP_mSQ_ST_bEUlT_E_NS1_11comp_targetILNS1_3genE4ELNS1_11target_archE910ELNS1_3gpuE8ELNS1_3repE0EEENS1_30default_config_static_selectorELNS0_4arch9wavefront6targetE1EEEvSN_: ; @_ZN7rocprim17ROCPRIM_400000_NS6detail17trampoline_kernelINS0_14default_configENS1_27lower_bound_config_selectorIilEEZNS1_14transform_implILb0ES3_S5_N6thrust23THRUST_200600_302600_NS17counting_iteratorIiNS8_11use_defaultESA_SA_EEPlZNS1_13binary_searchIS3_S5_PiSB_SC_NS1_21lower_bound_search_opENS8_6detail16wrapped_functionI11custom_lessbEEEE10hipError_tPvRmT1_T2_T3_mmT4_T5_P12ihipStream_tbEUlRKiE_EESK_SO_SP_mSQ_ST_bEUlT_E_NS1_11comp_targetILNS1_3genE4ELNS1_11target_archE910ELNS1_3gpuE8ELNS1_3repE0EEENS1_30default_config_static_selectorELNS0_4arch9wavefront6targetE1EEEvSN_
; %bb.0:
	s_load_dword s16, s[4:5], 0x0
	s_load_dwordx2 s[8:9], s[4:5], 0x8
	s_load_dword s7, s[4:5], 0x38
	s_load_dwordx4 s[0:3], s[4:5], 0x18
	s_load_dwordx2 s[12:13], s[4:5], 0x28
	s_lshl_b32 s10, s6, 8
	s_waitcnt lgkmcnt(0)
	s_add_i32 s16, s16, s8
	s_add_i32 s7, s7, -1
	s_cmp_lg_u32 s6, s7
	s_mov_b32 s11, 0
	s_cbranch_scc0 .LBB70_6
; %bb.1:
	s_mov_b64 s[14:15], 0
	s_cmp_eq_u64 s[12:13], 0
	v_pk_mov_b32 v[2:3], 0, 0
	s_cbranch_scc1 .LBB70_5
; %bb.2:
	s_add_i32 s6, s16, s10
	v_add_u32_e32 v1, s6, v0
	s_mov_b64 s[6:7], 0
	v_pk_mov_b32 v[2:3], 0, 0
	v_pk_mov_b32 v[4:5], s[12:13], s[12:13] op_sel:[0,1]
	v_mov_b32_e32 v6, s3
.LBB70_3:                               ; =>This Inner Loop Header: Depth=1
	v_sub_co_u32_e32 v8, vcc, v4, v2
	v_subb_co_u32_e32 v9, vcc, v5, v3, vcc
	v_lshrrev_b64 v[10:11], 1, v[8:9]
	v_add_co_u32_e32 v7, vcc, v10, v2
	v_lshrrev_b64 v[8:9], 6, v[8:9]
	v_addc_co_u32_e32 v10, vcc, v11, v3, vcc
	v_add_co_u32_e32 v8, vcc, v7, v8
	v_addc_co_u32_e32 v9, vcc, v10, v9, vcc
	v_lshlrev_b64 v[10:11], 2, v[8:9]
	v_add_co_u32_e32 v10, vcc, s2, v10
	v_addc_co_u32_e32 v11, vcc, v6, v11, vcc
	global_load_dword v7, v[10:11], off
	v_add_co_u32_e32 v10, vcc, 1, v8
	v_addc_co_u32_e32 v11, vcc, 0, v9, vcc
	s_waitcnt vmcnt(0)
	v_cmp_lt_i32_e32 vcc, v7, v1
	v_cndmask_b32_e32 v5, v9, v5, vcc
	v_cndmask_b32_e32 v4, v8, v4, vcc
	;; [unrolled: 1-line block ×4, first 2 shown]
	v_cmp_ge_u64_e32 vcc, v[2:3], v[4:5]
	s_or_b64 s[6:7], vcc, s[6:7]
	s_andn2_b64 exec, exec, s[6:7]
	s_cbranch_execnz .LBB70_3
; %bb.4:
	s_or_b64 exec, exec, s[6:7]
.LBB70_5:
	s_mov_b64 s[6:7], -1
	s_andn2_b64 vcc, exec, s[14:15]
	s_cbranch_vccz .LBB70_7
	s_branch .LBB70_13
.LBB70_6:
	s_mov_b64 s[6:7], 0
                                        ; implicit-def: $vgpr2_vgpr3
.LBB70_7:
	s_load_dword s4, s[4:5], 0x10
                                        ; implicit-def: $vgpr2_vgpr3
	s_waitcnt lgkmcnt(0)
	s_sub_i32 s4, s4, s10
	v_cmp_gt_u32_e64 s[6:7], s4, v0
	s_and_saveexec_b64 s[4:5], s[6:7]
	s_cbranch_execz .LBB70_12
; %bb.8:
	s_mov_b64 s[14:15], 0
	s_cmp_eq_u64 s[12:13], 0
	v_pk_mov_b32 v[2:3], 0, 0
	s_cbranch_scc1 .LBB70_12
; %bb.9:
	s_add_i32 s16, s16, s10
	v_add_u32_e32 v1, s16, v0
	v_pk_mov_b32 v[2:3], 0, 0
	v_pk_mov_b32 v[4:5], s[12:13], s[12:13] op_sel:[0,1]
	v_mov_b32_e32 v6, s3
.LBB70_10:                              ; =>This Inner Loop Header: Depth=1
	v_sub_co_u32_e32 v8, vcc, v4, v2
	v_subb_co_u32_e32 v9, vcc, v5, v3, vcc
	v_lshrrev_b64 v[10:11], 1, v[8:9]
	v_add_co_u32_e32 v7, vcc, v10, v2
	v_lshrrev_b64 v[8:9], 6, v[8:9]
	v_addc_co_u32_e32 v10, vcc, v11, v3, vcc
	v_add_co_u32_e32 v8, vcc, v7, v8
	v_addc_co_u32_e32 v9, vcc, v10, v9, vcc
	v_lshlrev_b64 v[10:11], 2, v[8:9]
	v_add_co_u32_e32 v10, vcc, s2, v10
	v_addc_co_u32_e32 v11, vcc, v6, v11, vcc
	global_load_dword v7, v[10:11], off
	v_add_co_u32_e32 v10, vcc, 1, v8
	v_addc_co_u32_e32 v11, vcc, 0, v9, vcc
	s_waitcnt vmcnt(0)
	v_cmp_lt_i32_e32 vcc, v7, v1
	v_cndmask_b32_e32 v5, v9, v5, vcc
	v_cndmask_b32_e32 v4, v8, v4, vcc
	v_cndmask_b32_e32 v3, v3, v11, vcc
	v_cndmask_b32_e32 v2, v2, v10, vcc
	v_cmp_ge_u64_e32 vcc, v[2:3], v[4:5]
	s_or_b64 s[14:15], vcc, s[14:15]
	s_andn2_b64 exec, exec, s[14:15]
	s_cbranch_execnz .LBB70_10
; %bb.11:
	s_or_b64 exec, exec, s[14:15]
.LBB70_12:
	s_or_b64 exec, exec, s[4:5]
.LBB70_13:
	s_and_saveexec_b64 s[2:3], s[6:7]
	s_cbranch_execnz .LBB70_15
; %bb.14:
	s_endpgm
.LBB70_15:
	s_lshl_b64 s[2:3], s[8:9], 3
	s_add_u32 s2, s0, s2
	s_addc_u32 s3, s1, s3
	s_lshl_b64 s[0:1], s[10:11], 3
	s_add_u32 s0, s2, s0
	s_addc_u32 s1, s3, s1
	v_lshlrev_b32_e32 v0, 3, v0
	global_store_dwordx2 v0, v[2:3], s[0:1]
	s_endpgm
	.section	.rodata,"a",@progbits
	.p2align	6, 0x0
	.amdhsa_kernel _ZN7rocprim17ROCPRIM_400000_NS6detail17trampoline_kernelINS0_14default_configENS1_27lower_bound_config_selectorIilEEZNS1_14transform_implILb0ES3_S5_N6thrust23THRUST_200600_302600_NS17counting_iteratorIiNS8_11use_defaultESA_SA_EEPlZNS1_13binary_searchIS3_S5_PiSB_SC_NS1_21lower_bound_search_opENS8_6detail16wrapped_functionI11custom_lessbEEEE10hipError_tPvRmT1_T2_T3_mmT4_T5_P12ihipStream_tbEUlRKiE_EESK_SO_SP_mSQ_ST_bEUlT_E_NS1_11comp_targetILNS1_3genE4ELNS1_11target_archE910ELNS1_3gpuE8ELNS1_3repE0EEENS1_30default_config_static_selectorELNS0_4arch9wavefront6targetE1EEEvSN_
		.amdhsa_group_segment_fixed_size 0
		.amdhsa_private_segment_fixed_size 0
		.amdhsa_kernarg_size 312
		.amdhsa_user_sgpr_count 6
		.amdhsa_user_sgpr_private_segment_buffer 1
		.amdhsa_user_sgpr_dispatch_ptr 0
		.amdhsa_user_sgpr_queue_ptr 0
		.amdhsa_user_sgpr_kernarg_segment_ptr 1
		.amdhsa_user_sgpr_dispatch_id 0
		.amdhsa_user_sgpr_flat_scratch_init 0
		.amdhsa_user_sgpr_kernarg_preload_length 0
		.amdhsa_user_sgpr_kernarg_preload_offset 0
		.amdhsa_user_sgpr_private_segment_size 0
		.amdhsa_uses_dynamic_stack 0
		.amdhsa_system_sgpr_private_segment_wavefront_offset 0
		.amdhsa_system_sgpr_workgroup_id_x 1
		.amdhsa_system_sgpr_workgroup_id_y 0
		.amdhsa_system_sgpr_workgroup_id_z 0
		.amdhsa_system_sgpr_workgroup_info 0
		.amdhsa_system_vgpr_workitem_id 0
		.amdhsa_next_free_vgpr 12
		.amdhsa_next_free_sgpr 17
		.amdhsa_accum_offset 12
		.amdhsa_reserve_vcc 1
		.amdhsa_reserve_flat_scratch 0
		.amdhsa_float_round_mode_32 0
		.amdhsa_float_round_mode_16_64 0
		.amdhsa_float_denorm_mode_32 3
		.amdhsa_float_denorm_mode_16_64 3
		.amdhsa_dx10_clamp 1
		.amdhsa_ieee_mode 1
		.amdhsa_fp16_overflow 0
		.amdhsa_tg_split 0
		.amdhsa_exception_fp_ieee_invalid_op 0
		.amdhsa_exception_fp_denorm_src 0
		.amdhsa_exception_fp_ieee_div_zero 0
		.amdhsa_exception_fp_ieee_overflow 0
		.amdhsa_exception_fp_ieee_underflow 0
		.amdhsa_exception_fp_ieee_inexact 0
		.amdhsa_exception_int_div_zero 0
	.end_amdhsa_kernel
	.section	.text._ZN7rocprim17ROCPRIM_400000_NS6detail17trampoline_kernelINS0_14default_configENS1_27lower_bound_config_selectorIilEEZNS1_14transform_implILb0ES3_S5_N6thrust23THRUST_200600_302600_NS17counting_iteratorIiNS8_11use_defaultESA_SA_EEPlZNS1_13binary_searchIS3_S5_PiSB_SC_NS1_21lower_bound_search_opENS8_6detail16wrapped_functionI11custom_lessbEEEE10hipError_tPvRmT1_T2_T3_mmT4_T5_P12ihipStream_tbEUlRKiE_EESK_SO_SP_mSQ_ST_bEUlT_E_NS1_11comp_targetILNS1_3genE4ELNS1_11target_archE910ELNS1_3gpuE8ELNS1_3repE0EEENS1_30default_config_static_selectorELNS0_4arch9wavefront6targetE1EEEvSN_,"axG",@progbits,_ZN7rocprim17ROCPRIM_400000_NS6detail17trampoline_kernelINS0_14default_configENS1_27lower_bound_config_selectorIilEEZNS1_14transform_implILb0ES3_S5_N6thrust23THRUST_200600_302600_NS17counting_iteratorIiNS8_11use_defaultESA_SA_EEPlZNS1_13binary_searchIS3_S5_PiSB_SC_NS1_21lower_bound_search_opENS8_6detail16wrapped_functionI11custom_lessbEEEE10hipError_tPvRmT1_T2_T3_mmT4_T5_P12ihipStream_tbEUlRKiE_EESK_SO_SP_mSQ_ST_bEUlT_E_NS1_11comp_targetILNS1_3genE4ELNS1_11target_archE910ELNS1_3gpuE8ELNS1_3repE0EEENS1_30default_config_static_selectorELNS0_4arch9wavefront6targetE1EEEvSN_,comdat
.Lfunc_end70:
	.size	_ZN7rocprim17ROCPRIM_400000_NS6detail17trampoline_kernelINS0_14default_configENS1_27lower_bound_config_selectorIilEEZNS1_14transform_implILb0ES3_S5_N6thrust23THRUST_200600_302600_NS17counting_iteratorIiNS8_11use_defaultESA_SA_EEPlZNS1_13binary_searchIS3_S5_PiSB_SC_NS1_21lower_bound_search_opENS8_6detail16wrapped_functionI11custom_lessbEEEE10hipError_tPvRmT1_T2_T3_mmT4_T5_P12ihipStream_tbEUlRKiE_EESK_SO_SP_mSQ_ST_bEUlT_E_NS1_11comp_targetILNS1_3genE4ELNS1_11target_archE910ELNS1_3gpuE8ELNS1_3repE0EEENS1_30default_config_static_selectorELNS0_4arch9wavefront6targetE1EEEvSN_, .Lfunc_end70-_ZN7rocprim17ROCPRIM_400000_NS6detail17trampoline_kernelINS0_14default_configENS1_27lower_bound_config_selectorIilEEZNS1_14transform_implILb0ES3_S5_N6thrust23THRUST_200600_302600_NS17counting_iteratorIiNS8_11use_defaultESA_SA_EEPlZNS1_13binary_searchIS3_S5_PiSB_SC_NS1_21lower_bound_search_opENS8_6detail16wrapped_functionI11custom_lessbEEEE10hipError_tPvRmT1_T2_T3_mmT4_T5_P12ihipStream_tbEUlRKiE_EESK_SO_SP_mSQ_ST_bEUlT_E_NS1_11comp_targetILNS1_3genE4ELNS1_11target_archE910ELNS1_3gpuE8ELNS1_3repE0EEENS1_30default_config_static_selectorELNS0_4arch9wavefront6targetE1EEEvSN_
                                        ; -- End function
	.section	.AMDGPU.csdata,"",@progbits
; Kernel info:
; codeLenInByte = 508
; NumSgprs: 21
; NumVgprs: 12
; NumAgprs: 0
; TotalNumVgprs: 12
; ScratchSize: 0
; MemoryBound: 0
; FloatMode: 240
; IeeeMode: 1
; LDSByteSize: 0 bytes/workgroup (compile time only)
; SGPRBlocks: 2
; VGPRBlocks: 1
; NumSGPRsForWavesPerEU: 21
; NumVGPRsForWavesPerEU: 12
; AccumOffset: 12
; Occupancy: 8
; WaveLimiterHint : 0
; COMPUTE_PGM_RSRC2:SCRATCH_EN: 0
; COMPUTE_PGM_RSRC2:USER_SGPR: 6
; COMPUTE_PGM_RSRC2:TRAP_HANDLER: 0
; COMPUTE_PGM_RSRC2:TGID_X_EN: 1
; COMPUTE_PGM_RSRC2:TGID_Y_EN: 0
; COMPUTE_PGM_RSRC2:TGID_Z_EN: 0
; COMPUTE_PGM_RSRC2:TIDIG_COMP_CNT: 0
; COMPUTE_PGM_RSRC3_GFX90A:ACCUM_OFFSET: 2
; COMPUTE_PGM_RSRC3_GFX90A:TG_SPLIT: 0
	.section	.text._ZN7rocprim17ROCPRIM_400000_NS6detail17trampoline_kernelINS0_14default_configENS1_27lower_bound_config_selectorIilEEZNS1_14transform_implILb0ES3_S5_N6thrust23THRUST_200600_302600_NS17counting_iteratorIiNS8_11use_defaultESA_SA_EEPlZNS1_13binary_searchIS3_S5_PiSB_SC_NS1_21lower_bound_search_opENS8_6detail16wrapped_functionI11custom_lessbEEEE10hipError_tPvRmT1_T2_T3_mmT4_T5_P12ihipStream_tbEUlRKiE_EESK_SO_SP_mSQ_ST_bEUlT_E_NS1_11comp_targetILNS1_3genE3ELNS1_11target_archE908ELNS1_3gpuE7ELNS1_3repE0EEENS1_30default_config_static_selectorELNS0_4arch9wavefront6targetE1EEEvSN_,"axG",@progbits,_ZN7rocprim17ROCPRIM_400000_NS6detail17trampoline_kernelINS0_14default_configENS1_27lower_bound_config_selectorIilEEZNS1_14transform_implILb0ES3_S5_N6thrust23THRUST_200600_302600_NS17counting_iteratorIiNS8_11use_defaultESA_SA_EEPlZNS1_13binary_searchIS3_S5_PiSB_SC_NS1_21lower_bound_search_opENS8_6detail16wrapped_functionI11custom_lessbEEEE10hipError_tPvRmT1_T2_T3_mmT4_T5_P12ihipStream_tbEUlRKiE_EESK_SO_SP_mSQ_ST_bEUlT_E_NS1_11comp_targetILNS1_3genE3ELNS1_11target_archE908ELNS1_3gpuE7ELNS1_3repE0EEENS1_30default_config_static_selectorELNS0_4arch9wavefront6targetE1EEEvSN_,comdat
	.protected	_ZN7rocprim17ROCPRIM_400000_NS6detail17trampoline_kernelINS0_14default_configENS1_27lower_bound_config_selectorIilEEZNS1_14transform_implILb0ES3_S5_N6thrust23THRUST_200600_302600_NS17counting_iteratorIiNS8_11use_defaultESA_SA_EEPlZNS1_13binary_searchIS3_S5_PiSB_SC_NS1_21lower_bound_search_opENS8_6detail16wrapped_functionI11custom_lessbEEEE10hipError_tPvRmT1_T2_T3_mmT4_T5_P12ihipStream_tbEUlRKiE_EESK_SO_SP_mSQ_ST_bEUlT_E_NS1_11comp_targetILNS1_3genE3ELNS1_11target_archE908ELNS1_3gpuE7ELNS1_3repE0EEENS1_30default_config_static_selectorELNS0_4arch9wavefront6targetE1EEEvSN_ ; -- Begin function _ZN7rocprim17ROCPRIM_400000_NS6detail17trampoline_kernelINS0_14default_configENS1_27lower_bound_config_selectorIilEEZNS1_14transform_implILb0ES3_S5_N6thrust23THRUST_200600_302600_NS17counting_iteratorIiNS8_11use_defaultESA_SA_EEPlZNS1_13binary_searchIS3_S5_PiSB_SC_NS1_21lower_bound_search_opENS8_6detail16wrapped_functionI11custom_lessbEEEE10hipError_tPvRmT1_T2_T3_mmT4_T5_P12ihipStream_tbEUlRKiE_EESK_SO_SP_mSQ_ST_bEUlT_E_NS1_11comp_targetILNS1_3genE3ELNS1_11target_archE908ELNS1_3gpuE7ELNS1_3repE0EEENS1_30default_config_static_selectorELNS0_4arch9wavefront6targetE1EEEvSN_
	.globl	_ZN7rocprim17ROCPRIM_400000_NS6detail17trampoline_kernelINS0_14default_configENS1_27lower_bound_config_selectorIilEEZNS1_14transform_implILb0ES3_S5_N6thrust23THRUST_200600_302600_NS17counting_iteratorIiNS8_11use_defaultESA_SA_EEPlZNS1_13binary_searchIS3_S5_PiSB_SC_NS1_21lower_bound_search_opENS8_6detail16wrapped_functionI11custom_lessbEEEE10hipError_tPvRmT1_T2_T3_mmT4_T5_P12ihipStream_tbEUlRKiE_EESK_SO_SP_mSQ_ST_bEUlT_E_NS1_11comp_targetILNS1_3genE3ELNS1_11target_archE908ELNS1_3gpuE7ELNS1_3repE0EEENS1_30default_config_static_selectorELNS0_4arch9wavefront6targetE1EEEvSN_
	.p2align	8
	.type	_ZN7rocprim17ROCPRIM_400000_NS6detail17trampoline_kernelINS0_14default_configENS1_27lower_bound_config_selectorIilEEZNS1_14transform_implILb0ES3_S5_N6thrust23THRUST_200600_302600_NS17counting_iteratorIiNS8_11use_defaultESA_SA_EEPlZNS1_13binary_searchIS3_S5_PiSB_SC_NS1_21lower_bound_search_opENS8_6detail16wrapped_functionI11custom_lessbEEEE10hipError_tPvRmT1_T2_T3_mmT4_T5_P12ihipStream_tbEUlRKiE_EESK_SO_SP_mSQ_ST_bEUlT_E_NS1_11comp_targetILNS1_3genE3ELNS1_11target_archE908ELNS1_3gpuE7ELNS1_3repE0EEENS1_30default_config_static_selectorELNS0_4arch9wavefront6targetE1EEEvSN_,@function
_ZN7rocprim17ROCPRIM_400000_NS6detail17trampoline_kernelINS0_14default_configENS1_27lower_bound_config_selectorIilEEZNS1_14transform_implILb0ES3_S5_N6thrust23THRUST_200600_302600_NS17counting_iteratorIiNS8_11use_defaultESA_SA_EEPlZNS1_13binary_searchIS3_S5_PiSB_SC_NS1_21lower_bound_search_opENS8_6detail16wrapped_functionI11custom_lessbEEEE10hipError_tPvRmT1_T2_T3_mmT4_T5_P12ihipStream_tbEUlRKiE_EESK_SO_SP_mSQ_ST_bEUlT_E_NS1_11comp_targetILNS1_3genE3ELNS1_11target_archE908ELNS1_3gpuE7ELNS1_3repE0EEENS1_30default_config_static_selectorELNS0_4arch9wavefront6targetE1EEEvSN_: ; @_ZN7rocprim17ROCPRIM_400000_NS6detail17trampoline_kernelINS0_14default_configENS1_27lower_bound_config_selectorIilEEZNS1_14transform_implILb0ES3_S5_N6thrust23THRUST_200600_302600_NS17counting_iteratorIiNS8_11use_defaultESA_SA_EEPlZNS1_13binary_searchIS3_S5_PiSB_SC_NS1_21lower_bound_search_opENS8_6detail16wrapped_functionI11custom_lessbEEEE10hipError_tPvRmT1_T2_T3_mmT4_T5_P12ihipStream_tbEUlRKiE_EESK_SO_SP_mSQ_ST_bEUlT_E_NS1_11comp_targetILNS1_3genE3ELNS1_11target_archE908ELNS1_3gpuE7ELNS1_3repE0EEENS1_30default_config_static_selectorELNS0_4arch9wavefront6targetE1EEEvSN_
; %bb.0:
	.section	.rodata,"a",@progbits
	.p2align	6, 0x0
	.amdhsa_kernel _ZN7rocprim17ROCPRIM_400000_NS6detail17trampoline_kernelINS0_14default_configENS1_27lower_bound_config_selectorIilEEZNS1_14transform_implILb0ES3_S5_N6thrust23THRUST_200600_302600_NS17counting_iteratorIiNS8_11use_defaultESA_SA_EEPlZNS1_13binary_searchIS3_S5_PiSB_SC_NS1_21lower_bound_search_opENS8_6detail16wrapped_functionI11custom_lessbEEEE10hipError_tPvRmT1_T2_T3_mmT4_T5_P12ihipStream_tbEUlRKiE_EESK_SO_SP_mSQ_ST_bEUlT_E_NS1_11comp_targetILNS1_3genE3ELNS1_11target_archE908ELNS1_3gpuE7ELNS1_3repE0EEENS1_30default_config_static_selectorELNS0_4arch9wavefront6targetE1EEEvSN_
		.amdhsa_group_segment_fixed_size 0
		.amdhsa_private_segment_fixed_size 0
		.amdhsa_kernarg_size 56
		.amdhsa_user_sgpr_count 6
		.amdhsa_user_sgpr_private_segment_buffer 1
		.amdhsa_user_sgpr_dispatch_ptr 0
		.amdhsa_user_sgpr_queue_ptr 0
		.amdhsa_user_sgpr_kernarg_segment_ptr 1
		.amdhsa_user_sgpr_dispatch_id 0
		.amdhsa_user_sgpr_flat_scratch_init 0
		.amdhsa_user_sgpr_kernarg_preload_length 0
		.amdhsa_user_sgpr_kernarg_preload_offset 0
		.amdhsa_user_sgpr_private_segment_size 0
		.amdhsa_uses_dynamic_stack 0
		.amdhsa_system_sgpr_private_segment_wavefront_offset 0
		.amdhsa_system_sgpr_workgroup_id_x 1
		.amdhsa_system_sgpr_workgroup_id_y 0
		.amdhsa_system_sgpr_workgroup_id_z 0
		.amdhsa_system_sgpr_workgroup_info 0
		.amdhsa_system_vgpr_workitem_id 0
		.amdhsa_next_free_vgpr 1
		.amdhsa_next_free_sgpr 0
		.amdhsa_accum_offset 4
		.amdhsa_reserve_vcc 0
		.amdhsa_reserve_flat_scratch 0
		.amdhsa_float_round_mode_32 0
		.amdhsa_float_round_mode_16_64 0
		.amdhsa_float_denorm_mode_32 3
		.amdhsa_float_denorm_mode_16_64 3
		.amdhsa_dx10_clamp 1
		.amdhsa_ieee_mode 1
		.amdhsa_fp16_overflow 0
		.amdhsa_tg_split 0
		.amdhsa_exception_fp_ieee_invalid_op 0
		.amdhsa_exception_fp_denorm_src 0
		.amdhsa_exception_fp_ieee_div_zero 0
		.amdhsa_exception_fp_ieee_overflow 0
		.amdhsa_exception_fp_ieee_underflow 0
		.amdhsa_exception_fp_ieee_inexact 0
		.amdhsa_exception_int_div_zero 0
	.end_amdhsa_kernel
	.section	.text._ZN7rocprim17ROCPRIM_400000_NS6detail17trampoline_kernelINS0_14default_configENS1_27lower_bound_config_selectorIilEEZNS1_14transform_implILb0ES3_S5_N6thrust23THRUST_200600_302600_NS17counting_iteratorIiNS8_11use_defaultESA_SA_EEPlZNS1_13binary_searchIS3_S5_PiSB_SC_NS1_21lower_bound_search_opENS8_6detail16wrapped_functionI11custom_lessbEEEE10hipError_tPvRmT1_T2_T3_mmT4_T5_P12ihipStream_tbEUlRKiE_EESK_SO_SP_mSQ_ST_bEUlT_E_NS1_11comp_targetILNS1_3genE3ELNS1_11target_archE908ELNS1_3gpuE7ELNS1_3repE0EEENS1_30default_config_static_selectorELNS0_4arch9wavefront6targetE1EEEvSN_,"axG",@progbits,_ZN7rocprim17ROCPRIM_400000_NS6detail17trampoline_kernelINS0_14default_configENS1_27lower_bound_config_selectorIilEEZNS1_14transform_implILb0ES3_S5_N6thrust23THRUST_200600_302600_NS17counting_iteratorIiNS8_11use_defaultESA_SA_EEPlZNS1_13binary_searchIS3_S5_PiSB_SC_NS1_21lower_bound_search_opENS8_6detail16wrapped_functionI11custom_lessbEEEE10hipError_tPvRmT1_T2_T3_mmT4_T5_P12ihipStream_tbEUlRKiE_EESK_SO_SP_mSQ_ST_bEUlT_E_NS1_11comp_targetILNS1_3genE3ELNS1_11target_archE908ELNS1_3gpuE7ELNS1_3repE0EEENS1_30default_config_static_selectorELNS0_4arch9wavefront6targetE1EEEvSN_,comdat
.Lfunc_end71:
	.size	_ZN7rocprim17ROCPRIM_400000_NS6detail17trampoline_kernelINS0_14default_configENS1_27lower_bound_config_selectorIilEEZNS1_14transform_implILb0ES3_S5_N6thrust23THRUST_200600_302600_NS17counting_iteratorIiNS8_11use_defaultESA_SA_EEPlZNS1_13binary_searchIS3_S5_PiSB_SC_NS1_21lower_bound_search_opENS8_6detail16wrapped_functionI11custom_lessbEEEE10hipError_tPvRmT1_T2_T3_mmT4_T5_P12ihipStream_tbEUlRKiE_EESK_SO_SP_mSQ_ST_bEUlT_E_NS1_11comp_targetILNS1_3genE3ELNS1_11target_archE908ELNS1_3gpuE7ELNS1_3repE0EEENS1_30default_config_static_selectorELNS0_4arch9wavefront6targetE1EEEvSN_, .Lfunc_end71-_ZN7rocprim17ROCPRIM_400000_NS6detail17trampoline_kernelINS0_14default_configENS1_27lower_bound_config_selectorIilEEZNS1_14transform_implILb0ES3_S5_N6thrust23THRUST_200600_302600_NS17counting_iteratorIiNS8_11use_defaultESA_SA_EEPlZNS1_13binary_searchIS3_S5_PiSB_SC_NS1_21lower_bound_search_opENS8_6detail16wrapped_functionI11custom_lessbEEEE10hipError_tPvRmT1_T2_T3_mmT4_T5_P12ihipStream_tbEUlRKiE_EESK_SO_SP_mSQ_ST_bEUlT_E_NS1_11comp_targetILNS1_3genE3ELNS1_11target_archE908ELNS1_3gpuE7ELNS1_3repE0EEENS1_30default_config_static_selectorELNS0_4arch9wavefront6targetE1EEEvSN_
                                        ; -- End function
	.section	.AMDGPU.csdata,"",@progbits
; Kernel info:
; codeLenInByte = 0
; NumSgprs: 4
; NumVgprs: 0
; NumAgprs: 0
; TotalNumVgprs: 0
; ScratchSize: 0
; MemoryBound: 0
; FloatMode: 240
; IeeeMode: 1
; LDSByteSize: 0 bytes/workgroup (compile time only)
; SGPRBlocks: 0
; VGPRBlocks: 0
; NumSGPRsForWavesPerEU: 4
; NumVGPRsForWavesPerEU: 1
; AccumOffset: 4
; Occupancy: 8
; WaveLimiterHint : 0
; COMPUTE_PGM_RSRC2:SCRATCH_EN: 0
; COMPUTE_PGM_RSRC2:USER_SGPR: 6
; COMPUTE_PGM_RSRC2:TRAP_HANDLER: 0
; COMPUTE_PGM_RSRC2:TGID_X_EN: 1
; COMPUTE_PGM_RSRC2:TGID_Y_EN: 0
; COMPUTE_PGM_RSRC2:TGID_Z_EN: 0
; COMPUTE_PGM_RSRC2:TIDIG_COMP_CNT: 0
; COMPUTE_PGM_RSRC3_GFX90A:ACCUM_OFFSET: 0
; COMPUTE_PGM_RSRC3_GFX90A:TG_SPLIT: 0
	.section	.text._ZN7rocprim17ROCPRIM_400000_NS6detail17trampoline_kernelINS0_14default_configENS1_27lower_bound_config_selectorIilEEZNS1_14transform_implILb0ES3_S5_N6thrust23THRUST_200600_302600_NS17counting_iteratorIiNS8_11use_defaultESA_SA_EEPlZNS1_13binary_searchIS3_S5_PiSB_SC_NS1_21lower_bound_search_opENS8_6detail16wrapped_functionI11custom_lessbEEEE10hipError_tPvRmT1_T2_T3_mmT4_T5_P12ihipStream_tbEUlRKiE_EESK_SO_SP_mSQ_ST_bEUlT_E_NS1_11comp_targetILNS1_3genE2ELNS1_11target_archE906ELNS1_3gpuE6ELNS1_3repE0EEENS1_30default_config_static_selectorELNS0_4arch9wavefront6targetE1EEEvSN_,"axG",@progbits,_ZN7rocprim17ROCPRIM_400000_NS6detail17trampoline_kernelINS0_14default_configENS1_27lower_bound_config_selectorIilEEZNS1_14transform_implILb0ES3_S5_N6thrust23THRUST_200600_302600_NS17counting_iteratorIiNS8_11use_defaultESA_SA_EEPlZNS1_13binary_searchIS3_S5_PiSB_SC_NS1_21lower_bound_search_opENS8_6detail16wrapped_functionI11custom_lessbEEEE10hipError_tPvRmT1_T2_T3_mmT4_T5_P12ihipStream_tbEUlRKiE_EESK_SO_SP_mSQ_ST_bEUlT_E_NS1_11comp_targetILNS1_3genE2ELNS1_11target_archE906ELNS1_3gpuE6ELNS1_3repE0EEENS1_30default_config_static_selectorELNS0_4arch9wavefront6targetE1EEEvSN_,comdat
	.protected	_ZN7rocprim17ROCPRIM_400000_NS6detail17trampoline_kernelINS0_14default_configENS1_27lower_bound_config_selectorIilEEZNS1_14transform_implILb0ES3_S5_N6thrust23THRUST_200600_302600_NS17counting_iteratorIiNS8_11use_defaultESA_SA_EEPlZNS1_13binary_searchIS3_S5_PiSB_SC_NS1_21lower_bound_search_opENS8_6detail16wrapped_functionI11custom_lessbEEEE10hipError_tPvRmT1_T2_T3_mmT4_T5_P12ihipStream_tbEUlRKiE_EESK_SO_SP_mSQ_ST_bEUlT_E_NS1_11comp_targetILNS1_3genE2ELNS1_11target_archE906ELNS1_3gpuE6ELNS1_3repE0EEENS1_30default_config_static_selectorELNS0_4arch9wavefront6targetE1EEEvSN_ ; -- Begin function _ZN7rocprim17ROCPRIM_400000_NS6detail17trampoline_kernelINS0_14default_configENS1_27lower_bound_config_selectorIilEEZNS1_14transform_implILb0ES3_S5_N6thrust23THRUST_200600_302600_NS17counting_iteratorIiNS8_11use_defaultESA_SA_EEPlZNS1_13binary_searchIS3_S5_PiSB_SC_NS1_21lower_bound_search_opENS8_6detail16wrapped_functionI11custom_lessbEEEE10hipError_tPvRmT1_T2_T3_mmT4_T5_P12ihipStream_tbEUlRKiE_EESK_SO_SP_mSQ_ST_bEUlT_E_NS1_11comp_targetILNS1_3genE2ELNS1_11target_archE906ELNS1_3gpuE6ELNS1_3repE0EEENS1_30default_config_static_selectorELNS0_4arch9wavefront6targetE1EEEvSN_
	.globl	_ZN7rocprim17ROCPRIM_400000_NS6detail17trampoline_kernelINS0_14default_configENS1_27lower_bound_config_selectorIilEEZNS1_14transform_implILb0ES3_S5_N6thrust23THRUST_200600_302600_NS17counting_iteratorIiNS8_11use_defaultESA_SA_EEPlZNS1_13binary_searchIS3_S5_PiSB_SC_NS1_21lower_bound_search_opENS8_6detail16wrapped_functionI11custom_lessbEEEE10hipError_tPvRmT1_T2_T3_mmT4_T5_P12ihipStream_tbEUlRKiE_EESK_SO_SP_mSQ_ST_bEUlT_E_NS1_11comp_targetILNS1_3genE2ELNS1_11target_archE906ELNS1_3gpuE6ELNS1_3repE0EEENS1_30default_config_static_selectorELNS0_4arch9wavefront6targetE1EEEvSN_
	.p2align	8
	.type	_ZN7rocprim17ROCPRIM_400000_NS6detail17trampoline_kernelINS0_14default_configENS1_27lower_bound_config_selectorIilEEZNS1_14transform_implILb0ES3_S5_N6thrust23THRUST_200600_302600_NS17counting_iteratorIiNS8_11use_defaultESA_SA_EEPlZNS1_13binary_searchIS3_S5_PiSB_SC_NS1_21lower_bound_search_opENS8_6detail16wrapped_functionI11custom_lessbEEEE10hipError_tPvRmT1_T2_T3_mmT4_T5_P12ihipStream_tbEUlRKiE_EESK_SO_SP_mSQ_ST_bEUlT_E_NS1_11comp_targetILNS1_3genE2ELNS1_11target_archE906ELNS1_3gpuE6ELNS1_3repE0EEENS1_30default_config_static_selectorELNS0_4arch9wavefront6targetE1EEEvSN_,@function
_ZN7rocprim17ROCPRIM_400000_NS6detail17trampoline_kernelINS0_14default_configENS1_27lower_bound_config_selectorIilEEZNS1_14transform_implILb0ES3_S5_N6thrust23THRUST_200600_302600_NS17counting_iteratorIiNS8_11use_defaultESA_SA_EEPlZNS1_13binary_searchIS3_S5_PiSB_SC_NS1_21lower_bound_search_opENS8_6detail16wrapped_functionI11custom_lessbEEEE10hipError_tPvRmT1_T2_T3_mmT4_T5_P12ihipStream_tbEUlRKiE_EESK_SO_SP_mSQ_ST_bEUlT_E_NS1_11comp_targetILNS1_3genE2ELNS1_11target_archE906ELNS1_3gpuE6ELNS1_3repE0EEENS1_30default_config_static_selectorELNS0_4arch9wavefront6targetE1EEEvSN_: ; @_ZN7rocprim17ROCPRIM_400000_NS6detail17trampoline_kernelINS0_14default_configENS1_27lower_bound_config_selectorIilEEZNS1_14transform_implILb0ES3_S5_N6thrust23THRUST_200600_302600_NS17counting_iteratorIiNS8_11use_defaultESA_SA_EEPlZNS1_13binary_searchIS3_S5_PiSB_SC_NS1_21lower_bound_search_opENS8_6detail16wrapped_functionI11custom_lessbEEEE10hipError_tPvRmT1_T2_T3_mmT4_T5_P12ihipStream_tbEUlRKiE_EESK_SO_SP_mSQ_ST_bEUlT_E_NS1_11comp_targetILNS1_3genE2ELNS1_11target_archE906ELNS1_3gpuE6ELNS1_3repE0EEENS1_30default_config_static_selectorELNS0_4arch9wavefront6targetE1EEEvSN_
; %bb.0:
	.section	.rodata,"a",@progbits
	.p2align	6, 0x0
	.amdhsa_kernel _ZN7rocprim17ROCPRIM_400000_NS6detail17trampoline_kernelINS0_14default_configENS1_27lower_bound_config_selectorIilEEZNS1_14transform_implILb0ES3_S5_N6thrust23THRUST_200600_302600_NS17counting_iteratorIiNS8_11use_defaultESA_SA_EEPlZNS1_13binary_searchIS3_S5_PiSB_SC_NS1_21lower_bound_search_opENS8_6detail16wrapped_functionI11custom_lessbEEEE10hipError_tPvRmT1_T2_T3_mmT4_T5_P12ihipStream_tbEUlRKiE_EESK_SO_SP_mSQ_ST_bEUlT_E_NS1_11comp_targetILNS1_3genE2ELNS1_11target_archE906ELNS1_3gpuE6ELNS1_3repE0EEENS1_30default_config_static_selectorELNS0_4arch9wavefront6targetE1EEEvSN_
		.amdhsa_group_segment_fixed_size 0
		.amdhsa_private_segment_fixed_size 0
		.amdhsa_kernarg_size 56
		.amdhsa_user_sgpr_count 6
		.amdhsa_user_sgpr_private_segment_buffer 1
		.amdhsa_user_sgpr_dispatch_ptr 0
		.amdhsa_user_sgpr_queue_ptr 0
		.amdhsa_user_sgpr_kernarg_segment_ptr 1
		.amdhsa_user_sgpr_dispatch_id 0
		.amdhsa_user_sgpr_flat_scratch_init 0
		.amdhsa_user_sgpr_kernarg_preload_length 0
		.amdhsa_user_sgpr_kernarg_preload_offset 0
		.amdhsa_user_sgpr_private_segment_size 0
		.amdhsa_uses_dynamic_stack 0
		.amdhsa_system_sgpr_private_segment_wavefront_offset 0
		.amdhsa_system_sgpr_workgroup_id_x 1
		.amdhsa_system_sgpr_workgroup_id_y 0
		.amdhsa_system_sgpr_workgroup_id_z 0
		.amdhsa_system_sgpr_workgroup_info 0
		.amdhsa_system_vgpr_workitem_id 0
		.amdhsa_next_free_vgpr 1
		.amdhsa_next_free_sgpr 0
		.amdhsa_accum_offset 4
		.amdhsa_reserve_vcc 0
		.amdhsa_reserve_flat_scratch 0
		.amdhsa_float_round_mode_32 0
		.amdhsa_float_round_mode_16_64 0
		.amdhsa_float_denorm_mode_32 3
		.amdhsa_float_denorm_mode_16_64 3
		.amdhsa_dx10_clamp 1
		.amdhsa_ieee_mode 1
		.amdhsa_fp16_overflow 0
		.amdhsa_tg_split 0
		.amdhsa_exception_fp_ieee_invalid_op 0
		.amdhsa_exception_fp_denorm_src 0
		.amdhsa_exception_fp_ieee_div_zero 0
		.amdhsa_exception_fp_ieee_overflow 0
		.amdhsa_exception_fp_ieee_underflow 0
		.amdhsa_exception_fp_ieee_inexact 0
		.amdhsa_exception_int_div_zero 0
	.end_amdhsa_kernel
	.section	.text._ZN7rocprim17ROCPRIM_400000_NS6detail17trampoline_kernelINS0_14default_configENS1_27lower_bound_config_selectorIilEEZNS1_14transform_implILb0ES3_S5_N6thrust23THRUST_200600_302600_NS17counting_iteratorIiNS8_11use_defaultESA_SA_EEPlZNS1_13binary_searchIS3_S5_PiSB_SC_NS1_21lower_bound_search_opENS8_6detail16wrapped_functionI11custom_lessbEEEE10hipError_tPvRmT1_T2_T3_mmT4_T5_P12ihipStream_tbEUlRKiE_EESK_SO_SP_mSQ_ST_bEUlT_E_NS1_11comp_targetILNS1_3genE2ELNS1_11target_archE906ELNS1_3gpuE6ELNS1_3repE0EEENS1_30default_config_static_selectorELNS0_4arch9wavefront6targetE1EEEvSN_,"axG",@progbits,_ZN7rocprim17ROCPRIM_400000_NS6detail17trampoline_kernelINS0_14default_configENS1_27lower_bound_config_selectorIilEEZNS1_14transform_implILb0ES3_S5_N6thrust23THRUST_200600_302600_NS17counting_iteratorIiNS8_11use_defaultESA_SA_EEPlZNS1_13binary_searchIS3_S5_PiSB_SC_NS1_21lower_bound_search_opENS8_6detail16wrapped_functionI11custom_lessbEEEE10hipError_tPvRmT1_T2_T3_mmT4_T5_P12ihipStream_tbEUlRKiE_EESK_SO_SP_mSQ_ST_bEUlT_E_NS1_11comp_targetILNS1_3genE2ELNS1_11target_archE906ELNS1_3gpuE6ELNS1_3repE0EEENS1_30default_config_static_selectorELNS0_4arch9wavefront6targetE1EEEvSN_,comdat
.Lfunc_end72:
	.size	_ZN7rocprim17ROCPRIM_400000_NS6detail17trampoline_kernelINS0_14default_configENS1_27lower_bound_config_selectorIilEEZNS1_14transform_implILb0ES3_S5_N6thrust23THRUST_200600_302600_NS17counting_iteratorIiNS8_11use_defaultESA_SA_EEPlZNS1_13binary_searchIS3_S5_PiSB_SC_NS1_21lower_bound_search_opENS8_6detail16wrapped_functionI11custom_lessbEEEE10hipError_tPvRmT1_T2_T3_mmT4_T5_P12ihipStream_tbEUlRKiE_EESK_SO_SP_mSQ_ST_bEUlT_E_NS1_11comp_targetILNS1_3genE2ELNS1_11target_archE906ELNS1_3gpuE6ELNS1_3repE0EEENS1_30default_config_static_selectorELNS0_4arch9wavefront6targetE1EEEvSN_, .Lfunc_end72-_ZN7rocprim17ROCPRIM_400000_NS6detail17trampoline_kernelINS0_14default_configENS1_27lower_bound_config_selectorIilEEZNS1_14transform_implILb0ES3_S5_N6thrust23THRUST_200600_302600_NS17counting_iteratorIiNS8_11use_defaultESA_SA_EEPlZNS1_13binary_searchIS3_S5_PiSB_SC_NS1_21lower_bound_search_opENS8_6detail16wrapped_functionI11custom_lessbEEEE10hipError_tPvRmT1_T2_T3_mmT4_T5_P12ihipStream_tbEUlRKiE_EESK_SO_SP_mSQ_ST_bEUlT_E_NS1_11comp_targetILNS1_3genE2ELNS1_11target_archE906ELNS1_3gpuE6ELNS1_3repE0EEENS1_30default_config_static_selectorELNS0_4arch9wavefront6targetE1EEEvSN_
                                        ; -- End function
	.section	.AMDGPU.csdata,"",@progbits
; Kernel info:
; codeLenInByte = 0
; NumSgprs: 4
; NumVgprs: 0
; NumAgprs: 0
; TotalNumVgprs: 0
; ScratchSize: 0
; MemoryBound: 0
; FloatMode: 240
; IeeeMode: 1
; LDSByteSize: 0 bytes/workgroup (compile time only)
; SGPRBlocks: 0
; VGPRBlocks: 0
; NumSGPRsForWavesPerEU: 4
; NumVGPRsForWavesPerEU: 1
; AccumOffset: 4
; Occupancy: 8
; WaveLimiterHint : 0
; COMPUTE_PGM_RSRC2:SCRATCH_EN: 0
; COMPUTE_PGM_RSRC2:USER_SGPR: 6
; COMPUTE_PGM_RSRC2:TRAP_HANDLER: 0
; COMPUTE_PGM_RSRC2:TGID_X_EN: 1
; COMPUTE_PGM_RSRC2:TGID_Y_EN: 0
; COMPUTE_PGM_RSRC2:TGID_Z_EN: 0
; COMPUTE_PGM_RSRC2:TIDIG_COMP_CNT: 0
; COMPUTE_PGM_RSRC3_GFX90A:ACCUM_OFFSET: 0
; COMPUTE_PGM_RSRC3_GFX90A:TG_SPLIT: 0
	.section	.text._ZN7rocprim17ROCPRIM_400000_NS6detail17trampoline_kernelINS0_14default_configENS1_27lower_bound_config_selectorIilEEZNS1_14transform_implILb0ES3_S5_N6thrust23THRUST_200600_302600_NS17counting_iteratorIiNS8_11use_defaultESA_SA_EEPlZNS1_13binary_searchIS3_S5_PiSB_SC_NS1_21lower_bound_search_opENS8_6detail16wrapped_functionI11custom_lessbEEEE10hipError_tPvRmT1_T2_T3_mmT4_T5_P12ihipStream_tbEUlRKiE_EESK_SO_SP_mSQ_ST_bEUlT_E_NS1_11comp_targetILNS1_3genE10ELNS1_11target_archE1201ELNS1_3gpuE5ELNS1_3repE0EEENS1_30default_config_static_selectorELNS0_4arch9wavefront6targetE1EEEvSN_,"axG",@progbits,_ZN7rocprim17ROCPRIM_400000_NS6detail17trampoline_kernelINS0_14default_configENS1_27lower_bound_config_selectorIilEEZNS1_14transform_implILb0ES3_S5_N6thrust23THRUST_200600_302600_NS17counting_iteratorIiNS8_11use_defaultESA_SA_EEPlZNS1_13binary_searchIS3_S5_PiSB_SC_NS1_21lower_bound_search_opENS8_6detail16wrapped_functionI11custom_lessbEEEE10hipError_tPvRmT1_T2_T3_mmT4_T5_P12ihipStream_tbEUlRKiE_EESK_SO_SP_mSQ_ST_bEUlT_E_NS1_11comp_targetILNS1_3genE10ELNS1_11target_archE1201ELNS1_3gpuE5ELNS1_3repE0EEENS1_30default_config_static_selectorELNS0_4arch9wavefront6targetE1EEEvSN_,comdat
	.protected	_ZN7rocprim17ROCPRIM_400000_NS6detail17trampoline_kernelINS0_14default_configENS1_27lower_bound_config_selectorIilEEZNS1_14transform_implILb0ES3_S5_N6thrust23THRUST_200600_302600_NS17counting_iteratorIiNS8_11use_defaultESA_SA_EEPlZNS1_13binary_searchIS3_S5_PiSB_SC_NS1_21lower_bound_search_opENS8_6detail16wrapped_functionI11custom_lessbEEEE10hipError_tPvRmT1_T2_T3_mmT4_T5_P12ihipStream_tbEUlRKiE_EESK_SO_SP_mSQ_ST_bEUlT_E_NS1_11comp_targetILNS1_3genE10ELNS1_11target_archE1201ELNS1_3gpuE5ELNS1_3repE0EEENS1_30default_config_static_selectorELNS0_4arch9wavefront6targetE1EEEvSN_ ; -- Begin function _ZN7rocprim17ROCPRIM_400000_NS6detail17trampoline_kernelINS0_14default_configENS1_27lower_bound_config_selectorIilEEZNS1_14transform_implILb0ES3_S5_N6thrust23THRUST_200600_302600_NS17counting_iteratorIiNS8_11use_defaultESA_SA_EEPlZNS1_13binary_searchIS3_S5_PiSB_SC_NS1_21lower_bound_search_opENS8_6detail16wrapped_functionI11custom_lessbEEEE10hipError_tPvRmT1_T2_T3_mmT4_T5_P12ihipStream_tbEUlRKiE_EESK_SO_SP_mSQ_ST_bEUlT_E_NS1_11comp_targetILNS1_3genE10ELNS1_11target_archE1201ELNS1_3gpuE5ELNS1_3repE0EEENS1_30default_config_static_selectorELNS0_4arch9wavefront6targetE1EEEvSN_
	.globl	_ZN7rocprim17ROCPRIM_400000_NS6detail17trampoline_kernelINS0_14default_configENS1_27lower_bound_config_selectorIilEEZNS1_14transform_implILb0ES3_S5_N6thrust23THRUST_200600_302600_NS17counting_iteratorIiNS8_11use_defaultESA_SA_EEPlZNS1_13binary_searchIS3_S5_PiSB_SC_NS1_21lower_bound_search_opENS8_6detail16wrapped_functionI11custom_lessbEEEE10hipError_tPvRmT1_T2_T3_mmT4_T5_P12ihipStream_tbEUlRKiE_EESK_SO_SP_mSQ_ST_bEUlT_E_NS1_11comp_targetILNS1_3genE10ELNS1_11target_archE1201ELNS1_3gpuE5ELNS1_3repE0EEENS1_30default_config_static_selectorELNS0_4arch9wavefront6targetE1EEEvSN_
	.p2align	8
	.type	_ZN7rocprim17ROCPRIM_400000_NS6detail17trampoline_kernelINS0_14default_configENS1_27lower_bound_config_selectorIilEEZNS1_14transform_implILb0ES3_S5_N6thrust23THRUST_200600_302600_NS17counting_iteratorIiNS8_11use_defaultESA_SA_EEPlZNS1_13binary_searchIS3_S5_PiSB_SC_NS1_21lower_bound_search_opENS8_6detail16wrapped_functionI11custom_lessbEEEE10hipError_tPvRmT1_T2_T3_mmT4_T5_P12ihipStream_tbEUlRKiE_EESK_SO_SP_mSQ_ST_bEUlT_E_NS1_11comp_targetILNS1_3genE10ELNS1_11target_archE1201ELNS1_3gpuE5ELNS1_3repE0EEENS1_30default_config_static_selectorELNS0_4arch9wavefront6targetE1EEEvSN_,@function
_ZN7rocprim17ROCPRIM_400000_NS6detail17trampoline_kernelINS0_14default_configENS1_27lower_bound_config_selectorIilEEZNS1_14transform_implILb0ES3_S5_N6thrust23THRUST_200600_302600_NS17counting_iteratorIiNS8_11use_defaultESA_SA_EEPlZNS1_13binary_searchIS3_S5_PiSB_SC_NS1_21lower_bound_search_opENS8_6detail16wrapped_functionI11custom_lessbEEEE10hipError_tPvRmT1_T2_T3_mmT4_T5_P12ihipStream_tbEUlRKiE_EESK_SO_SP_mSQ_ST_bEUlT_E_NS1_11comp_targetILNS1_3genE10ELNS1_11target_archE1201ELNS1_3gpuE5ELNS1_3repE0EEENS1_30default_config_static_selectorELNS0_4arch9wavefront6targetE1EEEvSN_: ; @_ZN7rocprim17ROCPRIM_400000_NS6detail17trampoline_kernelINS0_14default_configENS1_27lower_bound_config_selectorIilEEZNS1_14transform_implILb0ES3_S5_N6thrust23THRUST_200600_302600_NS17counting_iteratorIiNS8_11use_defaultESA_SA_EEPlZNS1_13binary_searchIS3_S5_PiSB_SC_NS1_21lower_bound_search_opENS8_6detail16wrapped_functionI11custom_lessbEEEE10hipError_tPvRmT1_T2_T3_mmT4_T5_P12ihipStream_tbEUlRKiE_EESK_SO_SP_mSQ_ST_bEUlT_E_NS1_11comp_targetILNS1_3genE10ELNS1_11target_archE1201ELNS1_3gpuE5ELNS1_3repE0EEENS1_30default_config_static_selectorELNS0_4arch9wavefront6targetE1EEEvSN_
; %bb.0:
	.section	.rodata,"a",@progbits
	.p2align	6, 0x0
	.amdhsa_kernel _ZN7rocprim17ROCPRIM_400000_NS6detail17trampoline_kernelINS0_14default_configENS1_27lower_bound_config_selectorIilEEZNS1_14transform_implILb0ES3_S5_N6thrust23THRUST_200600_302600_NS17counting_iteratorIiNS8_11use_defaultESA_SA_EEPlZNS1_13binary_searchIS3_S5_PiSB_SC_NS1_21lower_bound_search_opENS8_6detail16wrapped_functionI11custom_lessbEEEE10hipError_tPvRmT1_T2_T3_mmT4_T5_P12ihipStream_tbEUlRKiE_EESK_SO_SP_mSQ_ST_bEUlT_E_NS1_11comp_targetILNS1_3genE10ELNS1_11target_archE1201ELNS1_3gpuE5ELNS1_3repE0EEENS1_30default_config_static_selectorELNS0_4arch9wavefront6targetE1EEEvSN_
		.amdhsa_group_segment_fixed_size 0
		.amdhsa_private_segment_fixed_size 0
		.amdhsa_kernarg_size 56
		.amdhsa_user_sgpr_count 6
		.amdhsa_user_sgpr_private_segment_buffer 1
		.amdhsa_user_sgpr_dispatch_ptr 0
		.amdhsa_user_sgpr_queue_ptr 0
		.amdhsa_user_sgpr_kernarg_segment_ptr 1
		.amdhsa_user_sgpr_dispatch_id 0
		.amdhsa_user_sgpr_flat_scratch_init 0
		.amdhsa_user_sgpr_kernarg_preload_length 0
		.amdhsa_user_sgpr_kernarg_preload_offset 0
		.amdhsa_user_sgpr_private_segment_size 0
		.amdhsa_uses_dynamic_stack 0
		.amdhsa_system_sgpr_private_segment_wavefront_offset 0
		.amdhsa_system_sgpr_workgroup_id_x 1
		.amdhsa_system_sgpr_workgroup_id_y 0
		.amdhsa_system_sgpr_workgroup_id_z 0
		.amdhsa_system_sgpr_workgroup_info 0
		.amdhsa_system_vgpr_workitem_id 0
		.amdhsa_next_free_vgpr 1
		.amdhsa_next_free_sgpr 0
		.amdhsa_accum_offset 4
		.amdhsa_reserve_vcc 0
		.amdhsa_reserve_flat_scratch 0
		.amdhsa_float_round_mode_32 0
		.amdhsa_float_round_mode_16_64 0
		.amdhsa_float_denorm_mode_32 3
		.amdhsa_float_denorm_mode_16_64 3
		.amdhsa_dx10_clamp 1
		.amdhsa_ieee_mode 1
		.amdhsa_fp16_overflow 0
		.amdhsa_tg_split 0
		.amdhsa_exception_fp_ieee_invalid_op 0
		.amdhsa_exception_fp_denorm_src 0
		.amdhsa_exception_fp_ieee_div_zero 0
		.amdhsa_exception_fp_ieee_overflow 0
		.amdhsa_exception_fp_ieee_underflow 0
		.amdhsa_exception_fp_ieee_inexact 0
		.amdhsa_exception_int_div_zero 0
	.end_amdhsa_kernel
	.section	.text._ZN7rocprim17ROCPRIM_400000_NS6detail17trampoline_kernelINS0_14default_configENS1_27lower_bound_config_selectorIilEEZNS1_14transform_implILb0ES3_S5_N6thrust23THRUST_200600_302600_NS17counting_iteratorIiNS8_11use_defaultESA_SA_EEPlZNS1_13binary_searchIS3_S5_PiSB_SC_NS1_21lower_bound_search_opENS8_6detail16wrapped_functionI11custom_lessbEEEE10hipError_tPvRmT1_T2_T3_mmT4_T5_P12ihipStream_tbEUlRKiE_EESK_SO_SP_mSQ_ST_bEUlT_E_NS1_11comp_targetILNS1_3genE10ELNS1_11target_archE1201ELNS1_3gpuE5ELNS1_3repE0EEENS1_30default_config_static_selectorELNS0_4arch9wavefront6targetE1EEEvSN_,"axG",@progbits,_ZN7rocprim17ROCPRIM_400000_NS6detail17trampoline_kernelINS0_14default_configENS1_27lower_bound_config_selectorIilEEZNS1_14transform_implILb0ES3_S5_N6thrust23THRUST_200600_302600_NS17counting_iteratorIiNS8_11use_defaultESA_SA_EEPlZNS1_13binary_searchIS3_S5_PiSB_SC_NS1_21lower_bound_search_opENS8_6detail16wrapped_functionI11custom_lessbEEEE10hipError_tPvRmT1_T2_T3_mmT4_T5_P12ihipStream_tbEUlRKiE_EESK_SO_SP_mSQ_ST_bEUlT_E_NS1_11comp_targetILNS1_3genE10ELNS1_11target_archE1201ELNS1_3gpuE5ELNS1_3repE0EEENS1_30default_config_static_selectorELNS0_4arch9wavefront6targetE1EEEvSN_,comdat
.Lfunc_end73:
	.size	_ZN7rocprim17ROCPRIM_400000_NS6detail17trampoline_kernelINS0_14default_configENS1_27lower_bound_config_selectorIilEEZNS1_14transform_implILb0ES3_S5_N6thrust23THRUST_200600_302600_NS17counting_iteratorIiNS8_11use_defaultESA_SA_EEPlZNS1_13binary_searchIS3_S5_PiSB_SC_NS1_21lower_bound_search_opENS8_6detail16wrapped_functionI11custom_lessbEEEE10hipError_tPvRmT1_T2_T3_mmT4_T5_P12ihipStream_tbEUlRKiE_EESK_SO_SP_mSQ_ST_bEUlT_E_NS1_11comp_targetILNS1_3genE10ELNS1_11target_archE1201ELNS1_3gpuE5ELNS1_3repE0EEENS1_30default_config_static_selectorELNS0_4arch9wavefront6targetE1EEEvSN_, .Lfunc_end73-_ZN7rocprim17ROCPRIM_400000_NS6detail17trampoline_kernelINS0_14default_configENS1_27lower_bound_config_selectorIilEEZNS1_14transform_implILb0ES3_S5_N6thrust23THRUST_200600_302600_NS17counting_iteratorIiNS8_11use_defaultESA_SA_EEPlZNS1_13binary_searchIS3_S5_PiSB_SC_NS1_21lower_bound_search_opENS8_6detail16wrapped_functionI11custom_lessbEEEE10hipError_tPvRmT1_T2_T3_mmT4_T5_P12ihipStream_tbEUlRKiE_EESK_SO_SP_mSQ_ST_bEUlT_E_NS1_11comp_targetILNS1_3genE10ELNS1_11target_archE1201ELNS1_3gpuE5ELNS1_3repE0EEENS1_30default_config_static_selectorELNS0_4arch9wavefront6targetE1EEEvSN_
                                        ; -- End function
	.section	.AMDGPU.csdata,"",@progbits
; Kernel info:
; codeLenInByte = 0
; NumSgprs: 4
; NumVgprs: 0
; NumAgprs: 0
; TotalNumVgprs: 0
; ScratchSize: 0
; MemoryBound: 0
; FloatMode: 240
; IeeeMode: 1
; LDSByteSize: 0 bytes/workgroup (compile time only)
; SGPRBlocks: 0
; VGPRBlocks: 0
; NumSGPRsForWavesPerEU: 4
; NumVGPRsForWavesPerEU: 1
; AccumOffset: 4
; Occupancy: 8
; WaveLimiterHint : 0
; COMPUTE_PGM_RSRC2:SCRATCH_EN: 0
; COMPUTE_PGM_RSRC2:USER_SGPR: 6
; COMPUTE_PGM_RSRC2:TRAP_HANDLER: 0
; COMPUTE_PGM_RSRC2:TGID_X_EN: 1
; COMPUTE_PGM_RSRC2:TGID_Y_EN: 0
; COMPUTE_PGM_RSRC2:TGID_Z_EN: 0
; COMPUTE_PGM_RSRC2:TIDIG_COMP_CNT: 0
; COMPUTE_PGM_RSRC3_GFX90A:ACCUM_OFFSET: 0
; COMPUTE_PGM_RSRC3_GFX90A:TG_SPLIT: 0
	.section	.text._ZN7rocprim17ROCPRIM_400000_NS6detail17trampoline_kernelINS0_14default_configENS1_27lower_bound_config_selectorIilEEZNS1_14transform_implILb0ES3_S5_N6thrust23THRUST_200600_302600_NS17counting_iteratorIiNS8_11use_defaultESA_SA_EEPlZNS1_13binary_searchIS3_S5_PiSB_SC_NS1_21lower_bound_search_opENS8_6detail16wrapped_functionI11custom_lessbEEEE10hipError_tPvRmT1_T2_T3_mmT4_T5_P12ihipStream_tbEUlRKiE_EESK_SO_SP_mSQ_ST_bEUlT_E_NS1_11comp_targetILNS1_3genE10ELNS1_11target_archE1200ELNS1_3gpuE4ELNS1_3repE0EEENS1_30default_config_static_selectorELNS0_4arch9wavefront6targetE1EEEvSN_,"axG",@progbits,_ZN7rocprim17ROCPRIM_400000_NS6detail17trampoline_kernelINS0_14default_configENS1_27lower_bound_config_selectorIilEEZNS1_14transform_implILb0ES3_S5_N6thrust23THRUST_200600_302600_NS17counting_iteratorIiNS8_11use_defaultESA_SA_EEPlZNS1_13binary_searchIS3_S5_PiSB_SC_NS1_21lower_bound_search_opENS8_6detail16wrapped_functionI11custom_lessbEEEE10hipError_tPvRmT1_T2_T3_mmT4_T5_P12ihipStream_tbEUlRKiE_EESK_SO_SP_mSQ_ST_bEUlT_E_NS1_11comp_targetILNS1_3genE10ELNS1_11target_archE1200ELNS1_3gpuE4ELNS1_3repE0EEENS1_30default_config_static_selectorELNS0_4arch9wavefront6targetE1EEEvSN_,comdat
	.protected	_ZN7rocprim17ROCPRIM_400000_NS6detail17trampoline_kernelINS0_14default_configENS1_27lower_bound_config_selectorIilEEZNS1_14transform_implILb0ES3_S5_N6thrust23THRUST_200600_302600_NS17counting_iteratorIiNS8_11use_defaultESA_SA_EEPlZNS1_13binary_searchIS3_S5_PiSB_SC_NS1_21lower_bound_search_opENS8_6detail16wrapped_functionI11custom_lessbEEEE10hipError_tPvRmT1_T2_T3_mmT4_T5_P12ihipStream_tbEUlRKiE_EESK_SO_SP_mSQ_ST_bEUlT_E_NS1_11comp_targetILNS1_3genE10ELNS1_11target_archE1200ELNS1_3gpuE4ELNS1_3repE0EEENS1_30default_config_static_selectorELNS0_4arch9wavefront6targetE1EEEvSN_ ; -- Begin function _ZN7rocprim17ROCPRIM_400000_NS6detail17trampoline_kernelINS0_14default_configENS1_27lower_bound_config_selectorIilEEZNS1_14transform_implILb0ES3_S5_N6thrust23THRUST_200600_302600_NS17counting_iteratorIiNS8_11use_defaultESA_SA_EEPlZNS1_13binary_searchIS3_S5_PiSB_SC_NS1_21lower_bound_search_opENS8_6detail16wrapped_functionI11custom_lessbEEEE10hipError_tPvRmT1_T2_T3_mmT4_T5_P12ihipStream_tbEUlRKiE_EESK_SO_SP_mSQ_ST_bEUlT_E_NS1_11comp_targetILNS1_3genE10ELNS1_11target_archE1200ELNS1_3gpuE4ELNS1_3repE0EEENS1_30default_config_static_selectorELNS0_4arch9wavefront6targetE1EEEvSN_
	.globl	_ZN7rocprim17ROCPRIM_400000_NS6detail17trampoline_kernelINS0_14default_configENS1_27lower_bound_config_selectorIilEEZNS1_14transform_implILb0ES3_S5_N6thrust23THRUST_200600_302600_NS17counting_iteratorIiNS8_11use_defaultESA_SA_EEPlZNS1_13binary_searchIS3_S5_PiSB_SC_NS1_21lower_bound_search_opENS8_6detail16wrapped_functionI11custom_lessbEEEE10hipError_tPvRmT1_T2_T3_mmT4_T5_P12ihipStream_tbEUlRKiE_EESK_SO_SP_mSQ_ST_bEUlT_E_NS1_11comp_targetILNS1_3genE10ELNS1_11target_archE1200ELNS1_3gpuE4ELNS1_3repE0EEENS1_30default_config_static_selectorELNS0_4arch9wavefront6targetE1EEEvSN_
	.p2align	8
	.type	_ZN7rocprim17ROCPRIM_400000_NS6detail17trampoline_kernelINS0_14default_configENS1_27lower_bound_config_selectorIilEEZNS1_14transform_implILb0ES3_S5_N6thrust23THRUST_200600_302600_NS17counting_iteratorIiNS8_11use_defaultESA_SA_EEPlZNS1_13binary_searchIS3_S5_PiSB_SC_NS1_21lower_bound_search_opENS8_6detail16wrapped_functionI11custom_lessbEEEE10hipError_tPvRmT1_T2_T3_mmT4_T5_P12ihipStream_tbEUlRKiE_EESK_SO_SP_mSQ_ST_bEUlT_E_NS1_11comp_targetILNS1_3genE10ELNS1_11target_archE1200ELNS1_3gpuE4ELNS1_3repE0EEENS1_30default_config_static_selectorELNS0_4arch9wavefront6targetE1EEEvSN_,@function
_ZN7rocprim17ROCPRIM_400000_NS6detail17trampoline_kernelINS0_14default_configENS1_27lower_bound_config_selectorIilEEZNS1_14transform_implILb0ES3_S5_N6thrust23THRUST_200600_302600_NS17counting_iteratorIiNS8_11use_defaultESA_SA_EEPlZNS1_13binary_searchIS3_S5_PiSB_SC_NS1_21lower_bound_search_opENS8_6detail16wrapped_functionI11custom_lessbEEEE10hipError_tPvRmT1_T2_T3_mmT4_T5_P12ihipStream_tbEUlRKiE_EESK_SO_SP_mSQ_ST_bEUlT_E_NS1_11comp_targetILNS1_3genE10ELNS1_11target_archE1200ELNS1_3gpuE4ELNS1_3repE0EEENS1_30default_config_static_selectorELNS0_4arch9wavefront6targetE1EEEvSN_: ; @_ZN7rocprim17ROCPRIM_400000_NS6detail17trampoline_kernelINS0_14default_configENS1_27lower_bound_config_selectorIilEEZNS1_14transform_implILb0ES3_S5_N6thrust23THRUST_200600_302600_NS17counting_iteratorIiNS8_11use_defaultESA_SA_EEPlZNS1_13binary_searchIS3_S5_PiSB_SC_NS1_21lower_bound_search_opENS8_6detail16wrapped_functionI11custom_lessbEEEE10hipError_tPvRmT1_T2_T3_mmT4_T5_P12ihipStream_tbEUlRKiE_EESK_SO_SP_mSQ_ST_bEUlT_E_NS1_11comp_targetILNS1_3genE10ELNS1_11target_archE1200ELNS1_3gpuE4ELNS1_3repE0EEENS1_30default_config_static_selectorELNS0_4arch9wavefront6targetE1EEEvSN_
; %bb.0:
	.section	.rodata,"a",@progbits
	.p2align	6, 0x0
	.amdhsa_kernel _ZN7rocprim17ROCPRIM_400000_NS6detail17trampoline_kernelINS0_14default_configENS1_27lower_bound_config_selectorIilEEZNS1_14transform_implILb0ES3_S5_N6thrust23THRUST_200600_302600_NS17counting_iteratorIiNS8_11use_defaultESA_SA_EEPlZNS1_13binary_searchIS3_S5_PiSB_SC_NS1_21lower_bound_search_opENS8_6detail16wrapped_functionI11custom_lessbEEEE10hipError_tPvRmT1_T2_T3_mmT4_T5_P12ihipStream_tbEUlRKiE_EESK_SO_SP_mSQ_ST_bEUlT_E_NS1_11comp_targetILNS1_3genE10ELNS1_11target_archE1200ELNS1_3gpuE4ELNS1_3repE0EEENS1_30default_config_static_selectorELNS0_4arch9wavefront6targetE1EEEvSN_
		.amdhsa_group_segment_fixed_size 0
		.amdhsa_private_segment_fixed_size 0
		.amdhsa_kernarg_size 56
		.amdhsa_user_sgpr_count 6
		.amdhsa_user_sgpr_private_segment_buffer 1
		.amdhsa_user_sgpr_dispatch_ptr 0
		.amdhsa_user_sgpr_queue_ptr 0
		.amdhsa_user_sgpr_kernarg_segment_ptr 1
		.amdhsa_user_sgpr_dispatch_id 0
		.amdhsa_user_sgpr_flat_scratch_init 0
		.amdhsa_user_sgpr_kernarg_preload_length 0
		.amdhsa_user_sgpr_kernarg_preload_offset 0
		.amdhsa_user_sgpr_private_segment_size 0
		.amdhsa_uses_dynamic_stack 0
		.amdhsa_system_sgpr_private_segment_wavefront_offset 0
		.amdhsa_system_sgpr_workgroup_id_x 1
		.amdhsa_system_sgpr_workgroup_id_y 0
		.amdhsa_system_sgpr_workgroup_id_z 0
		.amdhsa_system_sgpr_workgroup_info 0
		.amdhsa_system_vgpr_workitem_id 0
		.amdhsa_next_free_vgpr 1
		.amdhsa_next_free_sgpr 0
		.amdhsa_accum_offset 4
		.amdhsa_reserve_vcc 0
		.amdhsa_reserve_flat_scratch 0
		.amdhsa_float_round_mode_32 0
		.amdhsa_float_round_mode_16_64 0
		.amdhsa_float_denorm_mode_32 3
		.amdhsa_float_denorm_mode_16_64 3
		.amdhsa_dx10_clamp 1
		.amdhsa_ieee_mode 1
		.amdhsa_fp16_overflow 0
		.amdhsa_tg_split 0
		.amdhsa_exception_fp_ieee_invalid_op 0
		.amdhsa_exception_fp_denorm_src 0
		.amdhsa_exception_fp_ieee_div_zero 0
		.amdhsa_exception_fp_ieee_overflow 0
		.amdhsa_exception_fp_ieee_underflow 0
		.amdhsa_exception_fp_ieee_inexact 0
		.amdhsa_exception_int_div_zero 0
	.end_amdhsa_kernel
	.section	.text._ZN7rocprim17ROCPRIM_400000_NS6detail17trampoline_kernelINS0_14default_configENS1_27lower_bound_config_selectorIilEEZNS1_14transform_implILb0ES3_S5_N6thrust23THRUST_200600_302600_NS17counting_iteratorIiNS8_11use_defaultESA_SA_EEPlZNS1_13binary_searchIS3_S5_PiSB_SC_NS1_21lower_bound_search_opENS8_6detail16wrapped_functionI11custom_lessbEEEE10hipError_tPvRmT1_T2_T3_mmT4_T5_P12ihipStream_tbEUlRKiE_EESK_SO_SP_mSQ_ST_bEUlT_E_NS1_11comp_targetILNS1_3genE10ELNS1_11target_archE1200ELNS1_3gpuE4ELNS1_3repE0EEENS1_30default_config_static_selectorELNS0_4arch9wavefront6targetE1EEEvSN_,"axG",@progbits,_ZN7rocprim17ROCPRIM_400000_NS6detail17trampoline_kernelINS0_14default_configENS1_27lower_bound_config_selectorIilEEZNS1_14transform_implILb0ES3_S5_N6thrust23THRUST_200600_302600_NS17counting_iteratorIiNS8_11use_defaultESA_SA_EEPlZNS1_13binary_searchIS3_S5_PiSB_SC_NS1_21lower_bound_search_opENS8_6detail16wrapped_functionI11custom_lessbEEEE10hipError_tPvRmT1_T2_T3_mmT4_T5_P12ihipStream_tbEUlRKiE_EESK_SO_SP_mSQ_ST_bEUlT_E_NS1_11comp_targetILNS1_3genE10ELNS1_11target_archE1200ELNS1_3gpuE4ELNS1_3repE0EEENS1_30default_config_static_selectorELNS0_4arch9wavefront6targetE1EEEvSN_,comdat
.Lfunc_end74:
	.size	_ZN7rocprim17ROCPRIM_400000_NS6detail17trampoline_kernelINS0_14default_configENS1_27lower_bound_config_selectorIilEEZNS1_14transform_implILb0ES3_S5_N6thrust23THRUST_200600_302600_NS17counting_iteratorIiNS8_11use_defaultESA_SA_EEPlZNS1_13binary_searchIS3_S5_PiSB_SC_NS1_21lower_bound_search_opENS8_6detail16wrapped_functionI11custom_lessbEEEE10hipError_tPvRmT1_T2_T3_mmT4_T5_P12ihipStream_tbEUlRKiE_EESK_SO_SP_mSQ_ST_bEUlT_E_NS1_11comp_targetILNS1_3genE10ELNS1_11target_archE1200ELNS1_3gpuE4ELNS1_3repE0EEENS1_30default_config_static_selectorELNS0_4arch9wavefront6targetE1EEEvSN_, .Lfunc_end74-_ZN7rocprim17ROCPRIM_400000_NS6detail17trampoline_kernelINS0_14default_configENS1_27lower_bound_config_selectorIilEEZNS1_14transform_implILb0ES3_S5_N6thrust23THRUST_200600_302600_NS17counting_iteratorIiNS8_11use_defaultESA_SA_EEPlZNS1_13binary_searchIS3_S5_PiSB_SC_NS1_21lower_bound_search_opENS8_6detail16wrapped_functionI11custom_lessbEEEE10hipError_tPvRmT1_T2_T3_mmT4_T5_P12ihipStream_tbEUlRKiE_EESK_SO_SP_mSQ_ST_bEUlT_E_NS1_11comp_targetILNS1_3genE10ELNS1_11target_archE1200ELNS1_3gpuE4ELNS1_3repE0EEENS1_30default_config_static_selectorELNS0_4arch9wavefront6targetE1EEEvSN_
                                        ; -- End function
	.section	.AMDGPU.csdata,"",@progbits
; Kernel info:
; codeLenInByte = 0
; NumSgprs: 4
; NumVgprs: 0
; NumAgprs: 0
; TotalNumVgprs: 0
; ScratchSize: 0
; MemoryBound: 0
; FloatMode: 240
; IeeeMode: 1
; LDSByteSize: 0 bytes/workgroup (compile time only)
; SGPRBlocks: 0
; VGPRBlocks: 0
; NumSGPRsForWavesPerEU: 4
; NumVGPRsForWavesPerEU: 1
; AccumOffset: 4
; Occupancy: 8
; WaveLimiterHint : 0
; COMPUTE_PGM_RSRC2:SCRATCH_EN: 0
; COMPUTE_PGM_RSRC2:USER_SGPR: 6
; COMPUTE_PGM_RSRC2:TRAP_HANDLER: 0
; COMPUTE_PGM_RSRC2:TGID_X_EN: 1
; COMPUTE_PGM_RSRC2:TGID_Y_EN: 0
; COMPUTE_PGM_RSRC2:TGID_Z_EN: 0
; COMPUTE_PGM_RSRC2:TIDIG_COMP_CNT: 0
; COMPUTE_PGM_RSRC3_GFX90A:ACCUM_OFFSET: 0
; COMPUTE_PGM_RSRC3_GFX90A:TG_SPLIT: 0
	.section	.text._ZN7rocprim17ROCPRIM_400000_NS6detail17trampoline_kernelINS0_14default_configENS1_27lower_bound_config_selectorIilEEZNS1_14transform_implILb0ES3_S5_N6thrust23THRUST_200600_302600_NS17counting_iteratorIiNS8_11use_defaultESA_SA_EEPlZNS1_13binary_searchIS3_S5_PiSB_SC_NS1_21lower_bound_search_opENS8_6detail16wrapped_functionI11custom_lessbEEEE10hipError_tPvRmT1_T2_T3_mmT4_T5_P12ihipStream_tbEUlRKiE_EESK_SO_SP_mSQ_ST_bEUlT_E_NS1_11comp_targetILNS1_3genE9ELNS1_11target_archE1100ELNS1_3gpuE3ELNS1_3repE0EEENS1_30default_config_static_selectorELNS0_4arch9wavefront6targetE1EEEvSN_,"axG",@progbits,_ZN7rocprim17ROCPRIM_400000_NS6detail17trampoline_kernelINS0_14default_configENS1_27lower_bound_config_selectorIilEEZNS1_14transform_implILb0ES3_S5_N6thrust23THRUST_200600_302600_NS17counting_iteratorIiNS8_11use_defaultESA_SA_EEPlZNS1_13binary_searchIS3_S5_PiSB_SC_NS1_21lower_bound_search_opENS8_6detail16wrapped_functionI11custom_lessbEEEE10hipError_tPvRmT1_T2_T3_mmT4_T5_P12ihipStream_tbEUlRKiE_EESK_SO_SP_mSQ_ST_bEUlT_E_NS1_11comp_targetILNS1_3genE9ELNS1_11target_archE1100ELNS1_3gpuE3ELNS1_3repE0EEENS1_30default_config_static_selectorELNS0_4arch9wavefront6targetE1EEEvSN_,comdat
	.protected	_ZN7rocprim17ROCPRIM_400000_NS6detail17trampoline_kernelINS0_14default_configENS1_27lower_bound_config_selectorIilEEZNS1_14transform_implILb0ES3_S5_N6thrust23THRUST_200600_302600_NS17counting_iteratorIiNS8_11use_defaultESA_SA_EEPlZNS1_13binary_searchIS3_S5_PiSB_SC_NS1_21lower_bound_search_opENS8_6detail16wrapped_functionI11custom_lessbEEEE10hipError_tPvRmT1_T2_T3_mmT4_T5_P12ihipStream_tbEUlRKiE_EESK_SO_SP_mSQ_ST_bEUlT_E_NS1_11comp_targetILNS1_3genE9ELNS1_11target_archE1100ELNS1_3gpuE3ELNS1_3repE0EEENS1_30default_config_static_selectorELNS0_4arch9wavefront6targetE1EEEvSN_ ; -- Begin function _ZN7rocprim17ROCPRIM_400000_NS6detail17trampoline_kernelINS0_14default_configENS1_27lower_bound_config_selectorIilEEZNS1_14transform_implILb0ES3_S5_N6thrust23THRUST_200600_302600_NS17counting_iteratorIiNS8_11use_defaultESA_SA_EEPlZNS1_13binary_searchIS3_S5_PiSB_SC_NS1_21lower_bound_search_opENS8_6detail16wrapped_functionI11custom_lessbEEEE10hipError_tPvRmT1_T2_T3_mmT4_T5_P12ihipStream_tbEUlRKiE_EESK_SO_SP_mSQ_ST_bEUlT_E_NS1_11comp_targetILNS1_3genE9ELNS1_11target_archE1100ELNS1_3gpuE3ELNS1_3repE0EEENS1_30default_config_static_selectorELNS0_4arch9wavefront6targetE1EEEvSN_
	.globl	_ZN7rocprim17ROCPRIM_400000_NS6detail17trampoline_kernelINS0_14default_configENS1_27lower_bound_config_selectorIilEEZNS1_14transform_implILb0ES3_S5_N6thrust23THRUST_200600_302600_NS17counting_iteratorIiNS8_11use_defaultESA_SA_EEPlZNS1_13binary_searchIS3_S5_PiSB_SC_NS1_21lower_bound_search_opENS8_6detail16wrapped_functionI11custom_lessbEEEE10hipError_tPvRmT1_T2_T3_mmT4_T5_P12ihipStream_tbEUlRKiE_EESK_SO_SP_mSQ_ST_bEUlT_E_NS1_11comp_targetILNS1_3genE9ELNS1_11target_archE1100ELNS1_3gpuE3ELNS1_3repE0EEENS1_30default_config_static_selectorELNS0_4arch9wavefront6targetE1EEEvSN_
	.p2align	8
	.type	_ZN7rocprim17ROCPRIM_400000_NS6detail17trampoline_kernelINS0_14default_configENS1_27lower_bound_config_selectorIilEEZNS1_14transform_implILb0ES3_S5_N6thrust23THRUST_200600_302600_NS17counting_iteratorIiNS8_11use_defaultESA_SA_EEPlZNS1_13binary_searchIS3_S5_PiSB_SC_NS1_21lower_bound_search_opENS8_6detail16wrapped_functionI11custom_lessbEEEE10hipError_tPvRmT1_T2_T3_mmT4_T5_P12ihipStream_tbEUlRKiE_EESK_SO_SP_mSQ_ST_bEUlT_E_NS1_11comp_targetILNS1_3genE9ELNS1_11target_archE1100ELNS1_3gpuE3ELNS1_3repE0EEENS1_30default_config_static_selectorELNS0_4arch9wavefront6targetE1EEEvSN_,@function
_ZN7rocprim17ROCPRIM_400000_NS6detail17trampoline_kernelINS0_14default_configENS1_27lower_bound_config_selectorIilEEZNS1_14transform_implILb0ES3_S5_N6thrust23THRUST_200600_302600_NS17counting_iteratorIiNS8_11use_defaultESA_SA_EEPlZNS1_13binary_searchIS3_S5_PiSB_SC_NS1_21lower_bound_search_opENS8_6detail16wrapped_functionI11custom_lessbEEEE10hipError_tPvRmT1_T2_T3_mmT4_T5_P12ihipStream_tbEUlRKiE_EESK_SO_SP_mSQ_ST_bEUlT_E_NS1_11comp_targetILNS1_3genE9ELNS1_11target_archE1100ELNS1_3gpuE3ELNS1_3repE0EEENS1_30default_config_static_selectorELNS0_4arch9wavefront6targetE1EEEvSN_: ; @_ZN7rocprim17ROCPRIM_400000_NS6detail17trampoline_kernelINS0_14default_configENS1_27lower_bound_config_selectorIilEEZNS1_14transform_implILb0ES3_S5_N6thrust23THRUST_200600_302600_NS17counting_iteratorIiNS8_11use_defaultESA_SA_EEPlZNS1_13binary_searchIS3_S5_PiSB_SC_NS1_21lower_bound_search_opENS8_6detail16wrapped_functionI11custom_lessbEEEE10hipError_tPvRmT1_T2_T3_mmT4_T5_P12ihipStream_tbEUlRKiE_EESK_SO_SP_mSQ_ST_bEUlT_E_NS1_11comp_targetILNS1_3genE9ELNS1_11target_archE1100ELNS1_3gpuE3ELNS1_3repE0EEENS1_30default_config_static_selectorELNS0_4arch9wavefront6targetE1EEEvSN_
; %bb.0:
	.section	.rodata,"a",@progbits
	.p2align	6, 0x0
	.amdhsa_kernel _ZN7rocprim17ROCPRIM_400000_NS6detail17trampoline_kernelINS0_14default_configENS1_27lower_bound_config_selectorIilEEZNS1_14transform_implILb0ES3_S5_N6thrust23THRUST_200600_302600_NS17counting_iteratorIiNS8_11use_defaultESA_SA_EEPlZNS1_13binary_searchIS3_S5_PiSB_SC_NS1_21lower_bound_search_opENS8_6detail16wrapped_functionI11custom_lessbEEEE10hipError_tPvRmT1_T2_T3_mmT4_T5_P12ihipStream_tbEUlRKiE_EESK_SO_SP_mSQ_ST_bEUlT_E_NS1_11comp_targetILNS1_3genE9ELNS1_11target_archE1100ELNS1_3gpuE3ELNS1_3repE0EEENS1_30default_config_static_selectorELNS0_4arch9wavefront6targetE1EEEvSN_
		.amdhsa_group_segment_fixed_size 0
		.amdhsa_private_segment_fixed_size 0
		.amdhsa_kernarg_size 56
		.amdhsa_user_sgpr_count 6
		.amdhsa_user_sgpr_private_segment_buffer 1
		.amdhsa_user_sgpr_dispatch_ptr 0
		.amdhsa_user_sgpr_queue_ptr 0
		.amdhsa_user_sgpr_kernarg_segment_ptr 1
		.amdhsa_user_sgpr_dispatch_id 0
		.amdhsa_user_sgpr_flat_scratch_init 0
		.amdhsa_user_sgpr_kernarg_preload_length 0
		.amdhsa_user_sgpr_kernarg_preload_offset 0
		.amdhsa_user_sgpr_private_segment_size 0
		.amdhsa_uses_dynamic_stack 0
		.amdhsa_system_sgpr_private_segment_wavefront_offset 0
		.amdhsa_system_sgpr_workgroup_id_x 1
		.amdhsa_system_sgpr_workgroup_id_y 0
		.amdhsa_system_sgpr_workgroup_id_z 0
		.amdhsa_system_sgpr_workgroup_info 0
		.amdhsa_system_vgpr_workitem_id 0
		.amdhsa_next_free_vgpr 1
		.amdhsa_next_free_sgpr 0
		.amdhsa_accum_offset 4
		.amdhsa_reserve_vcc 0
		.amdhsa_reserve_flat_scratch 0
		.amdhsa_float_round_mode_32 0
		.amdhsa_float_round_mode_16_64 0
		.amdhsa_float_denorm_mode_32 3
		.amdhsa_float_denorm_mode_16_64 3
		.amdhsa_dx10_clamp 1
		.amdhsa_ieee_mode 1
		.amdhsa_fp16_overflow 0
		.amdhsa_tg_split 0
		.amdhsa_exception_fp_ieee_invalid_op 0
		.amdhsa_exception_fp_denorm_src 0
		.amdhsa_exception_fp_ieee_div_zero 0
		.amdhsa_exception_fp_ieee_overflow 0
		.amdhsa_exception_fp_ieee_underflow 0
		.amdhsa_exception_fp_ieee_inexact 0
		.amdhsa_exception_int_div_zero 0
	.end_amdhsa_kernel
	.section	.text._ZN7rocprim17ROCPRIM_400000_NS6detail17trampoline_kernelINS0_14default_configENS1_27lower_bound_config_selectorIilEEZNS1_14transform_implILb0ES3_S5_N6thrust23THRUST_200600_302600_NS17counting_iteratorIiNS8_11use_defaultESA_SA_EEPlZNS1_13binary_searchIS3_S5_PiSB_SC_NS1_21lower_bound_search_opENS8_6detail16wrapped_functionI11custom_lessbEEEE10hipError_tPvRmT1_T2_T3_mmT4_T5_P12ihipStream_tbEUlRKiE_EESK_SO_SP_mSQ_ST_bEUlT_E_NS1_11comp_targetILNS1_3genE9ELNS1_11target_archE1100ELNS1_3gpuE3ELNS1_3repE0EEENS1_30default_config_static_selectorELNS0_4arch9wavefront6targetE1EEEvSN_,"axG",@progbits,_ZN7rocprim17ROCPRIM_400000_NS6detail17trampoline_kernelINS0_14default_configENS1_27lower_bound_config_selectorIilEEZNS1_14transform_implILb0ES3_S5_N6thrust23THRUST_200600_302600_NS17counting_iteratorIiNS8_11use_defaultESA_SA_EEPlZNS1_13binary_searchIS3_S5_PiSB_SC_NS1_21lower_bound_search_opENS8_6detail16wrapped_functionI11custom_lessbEEEE10hipError_tPvRmT1_T2_T3_mmT4_T5_P12ihipStream_tbEUlRKiE_EESK_SO_SP_mSQ_ST_bEUlT_E_NS1_11comp_targetILNS1_3genE9ELNS1_11target_archE1100ELNS1_3gpuE3ELNS1_3repE0EEENS1_30default_config_static_selectorELNS0_4arch9wavefront6targetE1EEEvSN_,comdat
.Lfunc_end75:
	.size	_ZN7rocprim17ROCPRIM_400000_NS6detail17trampoline_kernelINS0_14default_configENS1_27lower_bound_config_selectorIilEEZNS1_14transform_implILb0ES3_S5_N6thrust23THRUST_200600_302600_NS17counting_iteratorIiNS8_11use_defaultESA_SA_EEPlZNS1_13binary_searchIS3_S5_PiSB_SC_NS1_21lower_bound_search_opENS8_6detail16wrapped_functionI11custom_lessbEEEE10hipError_tPvRmT1_T2_T3_mmT4_T5_P12ihipStream_tbEUlRKiE_EESK_SO_SP_mSQ_ST_bEUlT_E_NS1_11comp_targetILNS1_3genE9ELNS1_11target_archE1100ELNS1_3gpuE3ELNS1_3repE0EEENS1_30default_config_static_selectorELNS0_4arch9wavefront6targetE1EEEvSN_, .Lfunc_end75-_ZN7rocprim17ROCPRIM_400000_NS6detail17trampoline_kernelINS0_14default_configENS1_27lower_bound_config_selectorIilEEZNS1_14transform_implILb0ES3_S5_N6thrust23THRUST_200600_302600_NS17counting_iteratorIiNS8_11use_defaultESA_SA_EEPlZNS1_13binary_searchIS3_S5_PiSB_SC_NS1_21lower_bound_search_opENS8_6detail16wrapped_functionI11custom_lessbEEEE10hipError_tPvRmT1_T2_T3_mmT4_T5_P12ihipStream_tbEUlRKiE_EESK_SO_SP_mSQ_ST_bEUlT_E_NS1_11comp_targetILNS1_3genE9ELNS1_11target_archE1100ELNS1_3gpuE3ELNS1_3repE0EEENS1_30default_config_static_selectorELNS0_4arch9wavefront6targetE1EEEvSN_
                                        ; -- End function
	.section	.AMDGPU.csdata,"",@progbits
; Kernel info:
; codeLenInByte = 0
; NumSgprs: 4
; NumVgprs: 0
; NumAgprs: 0
; TotalNumVgprs: 0
; ScratchSize: 0
; MemoryBound: 0
; FloatMode: 240
; IeeeMode: 1
; LDSByteSize: 0 bytes/workgroup (compile time only)
; SGPRBlocks: 0
; VGPRBlocks: 0
; NumSGPRsForWavesPerEU: 4
; NumVGPRsForWavesPerEU: 1
; AccumOffset: 4
; Occupancy: 8
; WaveLimiterHint : 0
; COMPUTE_PGM_RSRC2:SCRATCH_EN: 0
; COMPUTE_PGM_RSRC2:USER_SGPR: 6
; COMPUTE_PGM_RSRC2:TRAP_HANDLER: 0
; COMPUTE_PGM_RSRC2:TGID_X_EN: 1
; COMPUTE_PGM_RSRC2:TGID_Y_EN: 0
; COMPUTE_PGM_RSRC2:TGID_Z_EN: 0
; COMPUTE_PGM_RSRC2:TIDIG_COMP_CNT: 0
; COMPUTE_PGM_RSRC3_GFX90A:ACCUM_OFFSET: 0
; COMPUTE_PGM_RSRC3_GFX90A:TG_SPLIT: 0
	.section	.text._ZN7rocprim17ROCPRIM_400000_NS6detail17trampoline_kernelINS0_14default_configENS1_27lower_bound_config_selectorIilEEZNS1_14transform_implILb0ES3_S5_N6thrust23THRUST_200600_302600_NS17counting_iteratorIiNS8_11use_defaultESA_SA_EEPlZNS1_13binary_searchIS3_S5_PiSB_SC_NS1_21lower_bound_search_opENS8_6detail16wrapped_functionI11custom_lessbEEEE10hipError_tPvRmT1_T2_T3_mmT4_T5_P12ihipStream_tbEUlRKiE_EESK_SO_SP_mSQ_ST_bEUlT_E_NS1_11comp_targetILNS1_3genE8ELNS1_11target_archE1030ELNS1_3gpuE2ELNS1_3repE0EEENS1_30default_config_static_selectorELNS0_4arch9wavefront6targetE1EEEvSN_,"axG",@progbits,_ZN7rocprim17ROCPRIM_400000_NS6detail17trampoline_kernelINS0_14default_configENS1_27lower_bound_config_selectorIilEEZNS1_14transform_implILb0ES3_S5_N6thrust23THRUST_200600_302600_NS17counting_iteratorIiNS8_11use_defaultESA_SA_EEPlZNS1_13binary_searchIS3_S5_PiSB_SC_NS1_21lower_bound_search_opENS8_6detail16wrapped_functionI11custom_lessbEEEE10hipError_tPvRmT1_T2_T3_mmT4_T5_P12ihipStream_tbEUlRKiE_EESK_SO_SP_mSQ_ST_bEUlT_E_NS1_11comp_targetILNS1_3genE8ELNS1_11target_archE1030ELNS1_3gpuE2ELNS1_3repE0EEENS1_30default_config_static_selectorELNS0_4arch9wavefront6targetE1EEEvSN_,comdat
	.protected	_ZN7rocprim17ROCPRIM_400000_NS6detail17trampoline_kernelINS0_14default_configENS1_27lower_bound_config_selectorIilEEZNS1_14transform_implILb0ES3_S5_N6thrust23THRUST_200600_302600_NS17counting_iteratorIiNS8_11use_defaultESA_SA_EEPlZNS1_13binary_searchIS3_S5_PiSB_SC_NS1_21lower_bound_search_opENS8_6detail16wrapped_functionI11custom_lessbEEEE10hipError_tPvRmT1_T2_T3_mmT4_T5_P12ihipStream_tbEUlRKiE_EESK_SO_SP_mSQ_ST_bEUlT_E_NS1_11comp_targetILNS1_3genE8ELNS1_11target_archE1030ELNS1_3gpuE2ELNS1_3repE0EEENS1_30default_config_static_selectorELNS0_4arch9wavefront6targetE1EEEvSN_ ; -- Begin function _ZN7rocprim17ROCPRIM_400000_NS6detail17trampoline_kernelINS0_14default_configENS1_27lower_bound_config_selectorIilEEZNS1_14transform_implILb0ES3_S5_N6thrust23THRUST_200600_302600_NS17counting_iteratorIiNS8_11use_defaultESA_SA_EEPlZNS1_13binary_searchIS3_S5_PiSB_SC_NS1_21lower_bound_search_opENS8_6detail16wrapped_functionI11custom_lessbEEEE10hipError_tPvRmT1_T2_T3_mmT4_T5_P12ihipStream_tbEUlRKiE_EESK_SO_SP_mSQ_ST_bEUlT_E_NS1_11comp_targetILNS1_3genE8ELNS1_11target_archE1030ELNS1_3gpuE2ELNS1_3repE0EEENS1_30default_config_static_selectorELNS0_4arch9wavefront6targetE1EEEvSN_
	.globl	_ZN7rocprim17ROCPRIM_400000_NS6detail17trampoline_kernelINS0_14default_configENS1_27lower_bound_config_selectorIilEEZNS1_14transform_implILb0ES3_S5_N6thrust23THRUST_200600_302600_NS17counting_iteratorIiNS8_11use_defaultESA_SA_EEPlZNS1_13binary_searchIS3_S5_PiSB_SC_NS1_21lower_bound_search_opENS8_6detail16wrapped_functionI11custom_lessbEEEE10hipError_tPvRmT1_T2_T3_mmT4_T5_P12ihipStream_tbEUlRKiE_EESK_SO_SP_mSQ_ST_bEUlT_E_NS1_11comp_targetILNS1_3genE8ELNS1_11target_archE1030ELNS1_3gpuE2ELNS1_3repE0EEENS1_30default_config_static_selectorELNS0_4arch9wavefront6targetE1EEEvSN_
	.p2align	8
	.type	_ZN7rocprim17ROCPRIM_400000_NS6detail17trampoline_kernelINS0_14default_configENS1_27lower_bound_config_selectorIilEEZNS1_14transform_implILb0ES3_S5_N6thrust23THRUST_200600_302600_NS17counting_iteratorIiNS8_11use_defaultESA_SA_EEPlZNS1_13binary_searchIS3_S5_PiSB_SC_NS1_21lower_bound_search_opENS8_6detail16wrapped_functionI11custom_lessbEEEE10hipError_tPvRmT1_T2_T3_mmT4_T5_P12ihipStream_tbEUlRKiE_EESK_SO_SP_mSQ_ST_bEUlT_E_NS1_11comp_targetILNS1_3genE8ELNS1_11target_archE1030ELNS1_3gpuE2ELNS1_3repE0EEENS1_30default_config_static_selectorELNS0_4arch9wavefront6targetE1EEEvSN_,@function
_ZN7rocprim17ROCPRIM_400000_NS6detail17trampoline_kernelINS0_14default_configENS1_27lower_bound_config_selectorIilEEZNS1_14transform_implILb0ES3_S5_N6thrust23THRUST_200600_302600_NS17counting_iteratorIiNS8_11use_defaultESA_SA_EEPlZNS1_13binary_searchIS3_S5_PiSB_SC_NS1_21lower_bound_search_opENS8_6detail16wrapped_functionI11custom_lessbEEEE10hipError_tPvRmT1_T2_T3_mmT4_T5_P12ihipStream_tbEUlRKiE_EESK_SO_SP_mSQ_ST_bEUlT_E_NS1_11comp_targetILNS1_3genE8ELNS1_11target_archE1030ELNS1_3gpuE2ELNS1_3repE0EEENS1_30default_config_static_selectorELNS0_4arch9wavefront6targetE1EEEvSN_: ; @_ZN7rocprim17ROCPRIM_400000_NS6detail17trampoline_kernelINS0_14default_configENS1_27lower_bound_config_selectorIilEEZNS1_14transform_implILb0ES3_S5_N6thrust23THRUST_200600_302600_NS17counting_iteratorIiNS8_11use_defaultESA_SA_EEPlZNS1_13binary_searchIS3_S5_PiSB_SC_NS1_21lower_bound_search_opENS8_6detail16wrapped_functionI11custom_lessbEEEE10hipError_tPvRmT1_T2_T3_mmT4_T5_P12ihipStream_tbEUlRKiE_EESK_SO_SP_mSQ_ST_bEUlT_E_NS1_11comp_targetILNS1_3genE8ELNS1_11target_archE1030ELNS1_3gpuE2ELNS1_3repE0EEENS1_30default_config_static_selectorELNS0_4arch9wavefront6targetE1EEEvSN_
; %bb.0:
	.section	.rodata,"a",@progbits
	.p2align	6, 0x0
	.amdhsa_kernel _ZN7rocprim17ROCPRIM_400000_NS6detail17trampoline_kernelINS0_14default_configENS1_27lower_bound_config_selectorIilEEZNS1_14transform_implILb0ES3_S5_N6thrust23THRUST_200600_302600_NS17counting_iteratorIiNS8_11use_defaultESA_SA_EEPlZNS1_13binary_searchIS3_S5_PiSB_SC_NS1_21lower_bound_search_opENS8_6detail16wrapped_functionI11custom_lessbEEEE10hipError_tPvRmT1_T2_T3_mmT4_T5_P12ihipStream_tbEUlRKiE_EESK_SO_SP_mSQ_ST_bEUlT_E_NS1_11comp_targetILNS1_3genE8ELNS1_11target_archE1030ELNS1_3gpuE2ELNS1_3repE0EEENS1_30default_config_static_selectorELNS0_4arch9wavefront6targetE1EEEvSN_
		.amdhsa_group_segment_fixed_size 0
		.amdhsa_private_segment_fixed_size 0
		.amdhsa_kernarg_size 56
		.amdhsa_user_sgpr_count 6
		.amdhsa_user_sgpr_private_segment_buffer 1
		.amdhsa_user_sgpr_dispatch_ptr 0
		.amdhsa_user_sgpr_queue_ptr 0
		.amdhsa_user_sgpr_kernarg_segment_ptr 1
		.amdhsa_user_sgpr_dispatch_id 0
		.amdhsa_user_sgpr_flat_scratch_init 0
		.amdhsa_user_sgpr_kernarg_preload_length 0
		.amdhsa_user_sgpr_kernarg_preload_offset 0
		.amdhsa_user_sgpr_private_segment_size 0
		.amdhsa_uses_dynamic_stack 0
		.amdhsa_system_sgpr_private_segment_wavefront_offset 0
		.amdhsa_system_sgpr_workgroup_id_x 1
		.amdhsa_system_sgpr_workgroup_id_y 0
		.amdhsa_system_sgpr_workgroup_id_z 0
		.amdhsa_system_sgpr_workgroup_info 0
		.amdhsa_system_vgpr_workitem_id 0
		.amdhsa_next_free_vgpr 1
		.amdhsa_next_free_sgpr 0
		.amdhsa_accum_offset 4
		.amdhsa_reserve_vcc 0
		.amdhsa_reserve_flat_scratch 0
		.amdhsa_float_round_mode_32 0
		.amdhsa_float_round_mode_16_64 0
		.amdhsa_float_denorm_mode_32 3
		.amdhsa_float_denorm_mode_16_64 3
		.amdhsa_dx10_clamp 1
		.amdhsa_ieee_mode 1
		.amdhsa_fp16_overflow 0
		.amdhsa_tg_split 0
		.amdhsa_exception_fp_ieee_invalid_op 0
		.amdhsa_exception_fp_denorm_src 0
		.amdhsa_exception_fp_ieee_div_zero 0
		.amdhsa_exception_fp_ieee_overflow 0
		.amdhsa_exception_fp_ieee_underflow 0
		.amdhsa_exception_fp_ieee_inexact 0
		.amdhsa_exception_int_div_zero 0
	.end_amdhsa_kernel
	.section	.text._ZN7rocprim17ROCPRIM_400000_NS6detail17trampoline_kernelINS0_14default_configENS1_27lower_bound_config_selectorIilEEZNS1_14transform_implILb0ES3_S5_N6thrust23THRUST_200600_302600_NS17counting_iteratorIiNS8_11use_defaultESA_SA_EEPlZNS1_13binary_searchIS3_S5_PiSB_SC_NS1_21lower_bound_search_opENS8_6detail16wrapped_functionI11custom_lessbEEEE10hipError_tPvRmT1_T2_T3_mmT4_T5_P12ihipStream_tbEUlRKiE_EESK_SO_SP_mSQ_ST_bEUlT_E_NS1_11comp_targetILNS1_3genE8ELNS1_11target_archE1030ELNS1_3gpuE2ELNS1_3repE0EEENS1_30default_config_static_selectorELNS0_4arch9wavefront6targetE1EEEvSN_,"axG",@progbits,_ZN7rocprim17ROCPRIM_400000_NS6detail17trampoline_kernelINS0_14default_configENS1_27lower_bound_config_selectorIilEEZNS1_14transform_implILb0ES3_S5_N6thrust23THRUST_200600_302600_NS17counting_iteratorIiNS8_11use_defaultESA_SA_EEPlZNS1_13binary_searchIS3_S5_PiSB_SC_NS1_21lower_bound_search_opENS8_6detail16wrapped_functionI11custom_lessbEEEE10hipError_tPvRmT1_T2_T3_mmT4_T5_P12ihipStream_tbEUlRKiE_EESK_SO_SP_mSQ_ST_bEUlT_E_NS1_11comp_targetILNS1_3genE8ELNS1_11target_archE1030ELNS1_3gpuE2ELNS1_3repE0EEENS1_30default_config_static_selectorELNS0_4arch9wavefront6targetE1EEEvSN_,comdat
.Lfunc_end76:
	.size	_ZN7rocprim17ROCPRIM_400000_NS6detail17trampoline_kernelINS0_14default_configENS1_27lower_bound_config_selectorIilEEZNS1_14transform_implILb0ES3_S5_N6thrust23THRUST_200600_302600_NS17counting_iteratorIiNS8_11use_defaultESA_SA_EEPlZNS1_13binary_searchIS3_S5_PiSB_SC_NS1_21lower_bound_search_opENS8_6detail16wrapped_functionI11custom_lessbEEEE10hipError_tPvRmT1_T2_T3_mmT4_T5_P12ihipStream_tbEUlRKiE_EESK_SO_SP_mSQ_ST_bEUlT_E_NS1_11comp_targetILNS1_3genE8ELNS1_11target_archE1030ELNS1_3gpuE2ELNS1_3repE0EEENS1_30default_config_static_selectorELNS0_4arch9wavefront6targetE1EEEvSN_, .Lfunc_end76-_ZN7rocprim17ROCPRIM_400000_NS6detail17trampoline_kernelINS0_14default_configENS1_27lower_bound_config_selectorIilEEZNS1_14transform_implILb0ES3_S5_N6thrust23THRUST_200600_302600_NS17counting_iteratorIiNS8_11use_defaultESA_SA_EEPlZNS1_13binary_searchIS3_S5_PiSB_SC_NS1_21lower_bound_search_opENS8_6detail16wrapped_functionI11custom_lessbEEEE10hipError_tPvRmT1_T2_T3_mmT4_T5_P12ihipStream_tbEUlRKiE_EESK_SO_SP_mSQ_ST_bEUlT_E_NS1_11comp_targetILNS1_3genE8ELNS1_11target_archE1030ELNS1_3gpuE2ELNS1_3repE0EEENS1_30default_config_static_selectorELNS0_4arch9wavefront6targetE1EEEvSN_
                                        ; -- End function
	.section	.AMDGPU.csdata,"",@progbits
; Kernel info:
; codeLenInByte = 0
; NumSgprs: 4
; NumVgprs: 0
; NumAgprs: 0
; TotalNumVgprs: 0
; ScratchSize: 0
; MemoryBound: 0
; FloatMode: 240
; IeeeMode: 1
; LDSByteSize: 0 bytes/workgroup (compile time only)
; SGPRBlocks: 0
; VGPRBlocks: 0
; NumSGPRsForWavesPerEU: 4
; NumVGPRsForWavesPerEU: 1
; AccumOffset: 4
; Occupancy: 8
; WaveLimiterHint : 0
; COMPUTE_PGM_RSRC2:SCRATCH_EN: 0
; COMPUTE_PGM_RSRC2:USER_SGPR: 6
; COMPUTE_PGM_RSRC2:TRAP_HANDLER: 0
; COMPUTE_PGM_RSRC2:TGID_X_EN: 1
; COMPUTE_PGM_RSRC2:TGID_Y_EN: 0
; COMPUTE_PGM_RSRC2:TGID_Z_EN: 0
; COMPUTE_PGM_RSRC2:TIDIG_COMP_CNT: 0
; COMPUTE_PGM_RSRC3_GFX90A:ACCUM_OFFSET: 0
; COMPUTE_PGM_RSRC3_GFX90A:TG_SPLIT: 0
	.section	.text._ZN6thrust23THRUST_200600_302600_NS11hip_rocprim14__parallel_for6kernelILj256ENS1_20__uninitialized_fill7functorINS0_10device_ptrIsEEsEEmLj1EEEvT0_T1_SA_,"axG",@progbits,_ZN6thrust23THRUST_200600_302600_NS11hip_rocprim14__parallel_for6kernelILj256ENS1_20__uninitialized_fill7functorINS0_10device_ptrIsEEsEEmLj1EEEvT0_T1_SA_,comdat
	.protected	_ZN6thrust23THRUST_200600_302600_NS11hip_rocprim14__parallel_for6kernelILj256ENS1_20__uninitialized_fill7functorINS0_10device_ptrIsEEsEEmLj1EEEvT0_T1_SA_ ; -- Begin function _ZN6thrust23THRUST_200600_302600_NS11hip_rocprim14__parallel_for6kernelILj256ENS1_20__uninitialized_fill7functorINS0_10device_ptrIsEEsEEmLj1EEEvT0_T1_SA_
	.globl	_ZN6thrust23THRUST_200600_302600_NS11hip_rocprim14__parallel_for6kernelILj256ENS1_20__uninitialized_fill7functorINS0_10device_ptrIsEEsEEmLj1EEEvT0_T1_SA_
	.p2align	8
	.type	_ZN6thrust23THRUST_200600_302600_NS11hip_rocprim14__parallel_for6kernelILj256ENS1_20__uninitialized_fill7functorINS0_10device_ptrIsEEsEEmLj1EEEvT0_T1_SA_,@function
_ZN6thrust23THRUST_200600_302600_NS11hip_rocprim14__parallel_for6kernelILj256ENS1_20__uninitialized_fill7functorINS0_10device_ptrIsEEsEEmLj1EEEvT0_T1_SA_: ; @_ZN6thrust23THRUST_200600_302600_NS11hip_rocprim14__parallel_for6kernelILj256ENS1_20__uninitialized_fill7functorINS0_10device_ptrIsEEsEEmLj1EEEvT0_T1_SA_
; %bb.0:
	s_load_dwordx4 s[8:11], s[4:5], 0x10
	s_lshl_b32 s0, s6, 8
	v_mov_b32_e32 v2, 0x100
	v_mov_b32_e32 v3, 0
	s_waitcnt lgkmcnt(0)
	s_add_u32 s0, s0, s10
	s_addc_u32 s1, 0, s11
	s_sub_u32 s2, s8, s0
	s_subb_u32 s3, s9, s1
	v_cmp_lt_u64_e32 vcc, s[2:3], v[2:3]
	s_cbranch_vccz .LBB77_2
; %bb.1:
	v_cmp_gt_u32_e32 vcc, s2, v0
	s_and_b64 s[2:3], vcc, exec
	s_cbranch_execz .LBB77_3
	s_branch .LBB77_4
.LBB77_2:
	s_mov_b64 s[2:3], 0
.LBB77_3:
	s_or_b64 s[2:3], s[2:3], exec
.LBB77_4:
	s_and_saveexec_b64 s[6:7], s[2:3]
	s_cbranch_execnz .LBB77_6
; %bb.5:
	s_endpgm
.LBB77_6:
	s_load_dwordx2 s[2:3], s[4:5], 0x0
	s_load_dword s6, s[4:5], 0x8
	s_lshl_b64 s[0:1], s[0:1], 1
	v_mov_b32_e32 v1, 0
	v_lshlrev_b64 v[0:1], 1, v[0:1]
	s_waitcnt lgkmcnt(0)
	s_add_u32 s0, s2, s0
	s_addc_u32 s1, s3, s1
	v_mov_b32_e32 v2, s1
	v_add_co_u32_e32 v0, vcc, s0, v0
	v_addc_co_u32_e32 v1, vcc, v2, v1, vcc
	v_mov_b32_e32 v2, s6
	flat_store_short v[0:1], v2
	s_endpgm
	.section	.rodata,"a",@progbits
	.p2align	6, 0x0
	.amdhsa_kernel _ZN6thrust23THRUST_200600_302600_NS11hip_rocprim14__parallel_for6kernelILj256ENS1_20__uninitialized_fill7functorINS0_10device_ptrIsEEsEEmLj1EEEvT0_T1_SA_
		.amdhsa_group_segment_fixed_size 0
		.amdhsa_private_segment_fixed_size 0
		.amdhsa_kernarg_size 32
		.amdhsa_user_sgpr_count 6
		.amdhsa_user_sgpr_private_segment_buffer 1
		.amdhsa_user_sgpr_dispatch_ptr 0
		.amdhsa_user_sgpr_queue_ptr 0
		.amdhsa_user_sgpr_kernarg_segment_ptr 1
		.amdhsa_user_sgpr_dispatch_id 0
		.amdhsa_user_sgpr_flat_scratch_init 0
		.amdhsa_user_sgpr_kernarg_preload_length 0
		.amdhsa_user_sgpr_kernarg_preload_offset 0
		.amdhsa_user_sgpr_private_segment_size 0
		.amdhsa_uses_dynamic_stack 0
		.amdhsa_system_sgpr_private_segment_wavefront_offset 0
		.amdhsa_system_sgpr_workgroup_id_x 1
		.amdhsa_system_sgpr_workgroup_id_y 0
		.amdhsa_system_sgpr_workgroup_id_z 0
		.amdhsa_system_sgpr_workgroup_info 0
		.amdhsa_system_vgpr_workitem_id 0
		.amdhsa_next_free_vgpr 4
		.amdhsa_next_free_sgpr 12
		.amdhsa_accum_offset 4
		.amdhsa_reserve_vcc 1
		.amdhsa_reserve_flat_scratch 0
		.amdhsa_float_round_mode_32 0
		.amdhsa_float_round_mode_16_64 0
		.amdhsa_float_denorm_mode_32 3
		.amdhsa_float_denorm_mode_16_64 3
		.amdhsa_dx10_clamp 1
		.amdhsa_ieee_mode 1
		.amdhsa_fp16_overflow 0
		.amdhsa_tg_split 0
		.amdhsa_exception_fp_ieee_invalid_op 0
		.amdhsa_exception_fp_denorm_src 0
		.amdhsa_exception_fp_ieee_div_zero 0
		.amdhsa_exception_fp_ieee_overflow 0
		.amdhsa_exception_fp_ieee_underflow 0
		.amdhsa_exception_fp_ieee_inexact 0
		.amdhsa_exception_int_div_zero 0
	.end_amdhsa_kernel
	.section	.text._ZN6thrust23THRUST_200600_302600_NS11hip_rocprim14__parallel_for6kernelILj256ENS1_20__uninitialized_fill7functorINS0_10device_ptrIsEEsEEmLj1EEEvT0_T1_SA_,"axG",@progbits,_ZN6thrust23THRUST_200600_302600_NS11hip_rocprim14__parallel_for6kernelILj256ENS1_20__uninitialized_fill7functorINS0_10device_ptrIsEEsEEmLj1EEEvT0_T1_SA_,comdat
.Lfunc_end77:
	.size	_ZN6thrust23THRUST_200600_302600_NS11hip_rocprim14__parallel_for6kernelILj256ENS1_20__uninitialized_fill7functorINS0_10device_ptrIsEEsEEmLj1EEEvT0_T1_SA_, .Lfunc_end77-_ZN6thrust23THRUST_200600_302600_NS11hip_rocprim14__parallel_for6kernelILj256ENS1_20__uninitialized_fill7functorINS0_10device_ptrIsEEsEEmLj1EEEvT0_T1_SA_
                                        ; -- End function
	.section	.AMDGPU.csdata,"",@progbits
; Kernel info:
; codeLenInByte = 160
; NumSgprs: 16
; NumVgprs: 4
; NumAgprs: 0
; TotalNumVgprs: 4
; ScratchSize: 0
; MemoryBound: 0
; FloatMode: 240
; IeeeMode: 1
; LDSByteSize: 0 bytes/workgroup (compile time only)
; SGPRBlocks: 1
; VGPRBlocks: 0
; NumSGPRsForWavesPerEU: 16
; NumVGPRsForWavesPerEU: 4
; AccumOffset: 4
; Occupancy: 8
; WaveLimiterHint : 0
; COMPUTE_PGM_RSRC2:SCRATCH_EN: 0
; COMPUTE_PGM_RSRC2:USER_SGPR: 6
; COMPUTE_PGM_RSRC2:TRAP_HANDLER: 0
; COMPUTE_PGM_RSRC2:TGID_X_EN: 1
; COMPUTE_PGM_RSRC2:TGID_Y_EN: 0
; COMPUTE_PGM_RSRC2:TGID_Z_EN: 0
; COMPUTE_PGM_RSRC2:TIDIG_COMP_CNT: 0
; COMPUTE_PGM_RSRC3_GFX90A:ACCUM_OFFSET: 0
; COMPUTE_PGM_RSRC3_GFX90A:TG_SPLIT: 0
	.section	.text._Z18lower_bound_kernelIsEvmPT_Pl,"axG",@progbits,_Z18lower_bound_kernelIsEvmPT_Pl,comdat
	.protected	_Z18lower_bound_kernelIsEvmPT_Pl ; -- Begin function _Z18lower_bound_kernelIsEvmPT_Pl
	.globl	_Z18lower_bound_kernelIsEvmPT_Pl
	.p2align	8
	.type	_Z18lower_bound_kernelIsEvmPT_Pl,@function
_Z18lower_bound_kernelIsEvmPT_Pl:       ; @_Z18lower_bound_kernelIsEvmPT_Pl
; %bb.0:
	s_load_dwordx4 s[8:11], s[4:5], 0x0
	s_load_dwordx2 s[6:7], s[4:5], 0x10
	s_mov_b64 s[2:3], 0
	s_waitcnt lgkmcnt(0)
	v_cmp_lt_i64_e64 s[0:1], s[8:9], 1
	s_and_b64 s[0:1], exec, s[0:1]
	s_mov_b64 vcc, s[0:1]
	s_cbranch_vccnz .LBB78_3
; %bb.1:
	v_mov_b32_e32 v0, 0
	s_mov_b64 s[4:5], s[8:9]
.LBB78_2:                               ; =>This Inner Loop Header: Depth=1
	s_sub_u32 s12, s4, s2
	s_subb_u32 s13, s5, s3
	s_lshr_b32 s14, s13, 31
	s_add_u32 s12, s12, s14
	s_addc_u32 s13, s13, 0
	s_ashr_i64 s[12:13], s[12:13], 1
	s_add_u32 s12, s12, s2
	s_addc_u32 s13, s13, s3
	s_lshl_b64 s[14:15], s[12:13], 1
	s_add_u32 s14, s10, s14
	s_addc_u32 s15, s11, s15
	global_load_sshort v1, v0, s[14:15]
	s_add_u32 s14, s12, 1
	s_addc_u32 s15, s13, 0
	s_waitcnt vmcnt(0)
	v_readfirstlane_b32 s16, v1
	s_cmp_lt_i32 s16, 0
	s_cselect_b32 s5, s5, s13
	s_cselect_b32 s4, s4, s12
	;; [unrolled: 1-line block ×4, first 2 shown]
	v_pk_mov_b32 v[2:3], s[4:5], s[4:5] op_sel:[0,1]
	v_cmp_lt_i64_e32 vcc, s[2:3], v[2:3]
	s_cbranch_vccnz .LBB78_2
.LBB78_3:
	v_cmp_gt_i64_e64 s[4:5], s[8:9], 0
	v_cndmask_b32_e64 v1, 0, 1, s[4:5]
	v_mov_b32_e32 v0, 0
	v_pk_mov_b32 v[2:3], s[2:3], s[2:3] op_sel:[0,1]
	v_cmp_ne_u32_e64 s[2:3], 1, v1
	s_andn2_b64 vcc, exec, s[4:5]
	s_mov_b64 s[4:5], 0
	global_store_dwordx2 v0, v[2:3], s[6:7]
	s_cbranch_vccnz .LBB78_6
; %bb.4:
	s_mov_b64 s[12:13], s[8:9]
.LBB78_5:                               ; =>This Inner Loop Header: Depth=1
	s_sub_u32 s14, s12, s4
	s_subb_u32 s15, s13, s5
	s_lshr_b32 s16, s15, 31
	s_add_u32 s14, s14, s16
	s_addc_u32 s15, s15, 0
	s_ashr_i64 s[14:15], s[14:15], 1
	s_add_u32 s14, s14, s4
	s_addc_u32 s15, s15, s5
	s_lshl_b64 s[16:17], s[14:15], 1
	s_add_u32 s16, s10, s16
	s_addc_u32 s17, s11, s17
	global_load_sshort v1, v0, s[16:17]
	s_add_u32 s16, s14, 1
	s_addc_u32 s17, s15, 0
	s_waitcnt vmcnt(0)
	v_readfirstlane_b32 s18, v1
	s_cmp_lt_i32 s18, 1
	s_cselect_b32 s13, s13, s15
	s_cselect_b32 s12, s12, s14
	;; [unrolled: 1-line block ×4, first 2 shown]
	v_pk_mov_b32 v[2:3], s[12:13], s[12:13] op_sel:[0,1]
	v_cmp_lt_i64_e32 vcc, s[4:5], v[2:3]
	s_cbranch_vccnz .LBB78_5
.LBB78_6:
	v_mov_b32_e32 v0, 0
	v_pk_mov_b32 v[2:3], s[4:5], s[4:5] op_sel:[0,1]
	s_and_b64 vcc, exec, s[2:3]
	s_mov_b64 s[4:5], 0
	global_store_dwordx2 v0, v[2:3], s[6:7] offset:8
	s_cbranch_vccnz .LBB78_9
; %bb.7:
	s_mov_b64 s[12:13], s[8:9]
.LBB78_8:                               ; =>This Inner Loop Header: Depth=1
	s_sub_u32 s14, s12, s4
	s_subb_u32 s15, s13, s5
	s_lshr_b32 s16, s15, 31
	s_add_u32 s14, s14, s16
	s_addc_u32 s15, s15, 0
	s_ashr_i64 s[14:15], s[14:15], 1
	s_add_u32 s14, s14, s4
	s_addc_u32 s15, s15, s5
	s_lshl_b64 s[16:17], s[14:15], 1
	s_add_u32 s16, s10, s16
	s_addc_u32 s17, s11, s17
	global_load_sshort v1, v0, s[16:17]
	s_add_u32 s16, s14, 1
	s_addc_u32 s17, s15, 0
	s_waitcnt vmcnt(0)
	v_readfirstlane_b32 s18, v1
	s_cmp_lt_i32 s18, 2
	s_cselect_b32 s13, s13, s15
	s_cselect_b32 s12, s12, s14
	;; [unrolled: 1-line block ×4, first 2 shown]
	v_pk_mov_b32 v[2:3], s[12:13], s[12:13] op_sel:[0,1]
	v_cmp_lt_i64_e32 vcc, s[4:5], v[2:3]
	s_cbranch_vccnz .LBB78_8
.LBB78_9:
	v_mov_b32_e32 v0, 0
	v_pk_mov_b32 v[2:3], s[4:5], s[4:5] op_sel:[0,1]
	s_and_b64 vcc, exec, s[2:3]
	s_mov_b64 s[4:5], 0
	global_store_dwordx2 v0, v[2:3], s[6:7] offset:16
	s_cbranch_vccnz .LBB78_12
; %bb.10:
	s_mov_b64 s[12:13], s[8:9]
.LBB78_11:                              ; =>This Inner Loop Header: Depth=1
	s_sub_u32 s14, s12, s4
	s_subb_u32 s15, s13, s5
	s_lshr_b32 s16, s15, 31
	s_add_u32 s14, s14, s16
	s_addc_u32 s15, s15, 0
	s_ashr_i64 s[14:15], s[14:15], 1
	s_add_u32 s14, s14, s4
	s_addc_u32 s15, s15, s5
	s_lshl_b64 s[16:17], s[14:15], 1
	s_add_u32 s16, s10, s16
	s_addc_u32 s17, s11, s17
	global_load_sshort v1, v0, s[16:17]
	s_add_u32 s16, s14, 1
	s_addc_u32 s17, s15, 0
	s_waitcnt vmcnt(0)
	v_readfirstlane_b32 s18, v1
	s_cmp_lt_i32 s18, 3
	s_cselect_b32 s13, s13, s15
	s_cselect_b32 s12, s12, s14
	s_cselect_b32 s5, s17, s5
	s_cselect_b32 s4, s16, s4
	v_pk_mov_b32 v[2:3], s[12:13], s[12:13] op_sel:[0,1]
	v_cmp_lt_i64_e32 vcc, s[4:5], v[2:3]
	s_cbranch_vccnz .LBB78_11
.LBB78_12:
	v_mov_b32_e32 v0, 0
	v_pk_mov_b32 v[2:3], s[4:5], s[4:5] op_sel:[0,1]
	s_and_b64 vcc, exec, s[2:3]
	s_mov_b64 s[4:5], 0
	global_store_dwordx2 v0, v[2:3], s[6:7] offset:24
	s_cbranch_vccnz .LBB78_15
; %bb.13:
	s_mov_b64 s[12:13], s[8:9]
.LBB78_14:                              ; =>This Inner Loop Header: Depth=1
	s_sub_u32 s14, s12, s4
	s_subb_u32 s15, s13, s5
	s_lshr_b32 s16, s15, 31
	s_add_u32 s14, s14, s16
	s_addc_u32 s15, s15, 0
	s_ashr_i64 s[14:15], s[14:15], 1
	s_add_u32 s14, s14, s4
	s_addc_u32 s15, s15, s5
	s_lshl_b64 s[16:17], s[14:15], 1
	s_add_u32 s16, s10, s16
	s_addc_u32 s17, s11, s17
	global_load_sshort v1, v0, s[16:17]
	s_add_u32 s16, s14, 1
	s_addc_u32 s17, s15, 0
	s_waitcnt vmcnt(0)
	v_readfirstlane_b32 s18, v1
	s_cmp_lt_i32 s18, 4
	s_cselect_b32 s13, s13, s15
	s_cselect_b32 s12, s12, s14
	s_cselect_b32 s5, s17, s5
	s_cselect_b32 s4, s16, s4
	v_pk_mov_b32 v[2:3], s[12:13], s[12:13] op_sel:[0,1]
	v_cmp_lt_i64_e32 vcc, s[4:5], v[2:3]
	s_cbranch_vccnz .LBB78_14
.LBB78_15:
	v_mov_b32_e32 v0, 0
	v_pk_mov_b32 v[2:3], s[4:5], s[4:5] op_sel:[0,1]
	s_and_b64 vcc, exec, s[2:3]
	s_mov_b64 s[4:5], 0
	global_store_dwordx2 v0, v[2:3], s[6:7] offset:32
	s_cbranch_vccnz .LBB78_18
; %bb.16:
	s_mov_b64 s[12:13], s[8:9]
.LBB78_17:                              ; =>This Inner Loop Header: Depth=1
	s_sub_u32 s14, s12, s4
	s_subb_u32 s15, s13, s5
	s_lshr_b32 s16, s15, 31
	s_add_u32 s14, s14, s16
	s_addc_u32 s15, s15, 0
	s_ashr_i64 s[14:15], s[14:15], 1
	s_add_u32 s14, s14, s4
	s_addc_u32 s15, s15, s5
	s_lshl_b64 s[16:17], s[14:15], 1
	s_add_u32 s16, s10, s16
	s_addc_u32 s17, s11, s17
	global_load_sshort v1, v0, s[16:17]
	s_add_u32 s16, s14, 1
	s_addc_u32 s17, s15, 0
	s_waitcnt vmcnt(0)
	v_readfirstlane_b32 s18, v1
	s_cmp_lt_i32 s18, 5
	s_cselect_b32 s13, s13, s15
	s_cselect_b32 s12, s12, s14
	s_cselect_b32 s5, s17, s5
	s_cselect_b32 s4, s16, s4
	v_pk_mov_b32 v[2:3], s[12:13], s[12:13] op_sel:[0,1]
	v_cmp_lt_i64_e32 vcc, s[4:5], v[2:3]
	s_cbranch_vccnz .LBB78_17
.LBB78_18:
	v_mov_b32_e32 v0, 0
	v_pk_mov_b32 v[2:3], s[4:5], s[4:5] op_sel:[0,1]
	s_and_b64 vcc, exec, s[2:3]
	s_mov_b64 s[4:5], 0
	global_store_dwordx2 v0, v[2:3], s[6:7] offset:40
	s_cbranch_vccnz .LBB78_21
; %bb.19:
	s_mov_b64 s[12:13], s[8:9]
.LBB78_20:                              ; =>This Inner Loop Header: Depth=1
	s_sub_u32 s14, s12, s4
	s_subb_u32 s15, s13, s5
	s_lshr_b32 s16, s15, 31
	s_add_u32 s14, s14, s16
	s_addc_u32 s15, s15, 0
	s_ashr_i64 s[14:15], s[14:15], 1
	s_add_u32 s14, s14, s4
	s_addc_u32 s15, s15, s5
	s_lshl_b64 s[16:17], s[14:15], 1
	s_add_u32 s16, s10, s16
	s_addc_u32 s17, s11, s17
	global_load_sshort v1, v0, s[16:17]
	s_add_u32 s16, s14, 1
	s_addc_u32 s17, s15, 0
	s_waitcnt vmcnt(0)
	v_readfirstlane_b32 s18, v1
	s_cmp_lt_i32 s18, 6
	s_cselect_b32 s13, s13, s15
	s_cselect_b32 s12, s12, s14
	s_cselect_b32 s5, s17, s5
	s_cselect_b32 s4, s16, s4
	v_pk_mov_b32 v[2:3], s[12:13], s[12:13] op_sel:[0,1]
	v_cmp_lt_i64_e32 vcc, s[4:5], v[2:3]
	s_cbranch_vccnz .LBB78_20
.LBB78_21:
	v_mov_b32_e32 v0, 0
	v_pk_mov_b32 v[2:3], s[4:5], s[4:5] op_sel:[0,1]
	s_and_b64 vcc, exec, s[2:3]
	s_mov_b64 s[2:3], 0
	global_store_dwordx2 v0, v[2:3], s[6:7] offset:48
	s_cbranch_vccnz .LBB78_24
; %bb.22:
	s_mov_b64 s[4:5], s[8:9]
.LBB78_23:                              ; =>This Inner Loop Header: Depth=1
	s_sub_u32 s12, s4, s2
	s_subb_u32 s13, s5, s3
	s_lshr_b32 s14, s13, 31
	s_add_u32 s12, s12, s14
	s_addc_u32 s13, s13, 0
	s_ashr_i64 s[12:13], s[12:13], 1
	s_add_u32 s12, s12, s2
	s_addc_u32 s13, s13, s3
	s_lshl_b64 s[14:15], s[12:13], 1
	s_add_u32 s14, s10, s14
	s_addc_u32 s15, s11, s15
	global_load_sshort v1, v0, s[14:15]
	s_add_u32 s14, s12, 1
	s_addc_u32 s15, s13, 0
	s_waitcnt vmcnt(0)
	v_readfirstlane_b32 s16, v1
	s_cmp_lt_i32 s16, 7
	s_cselect_b32 s5, s5, s13
	s_cselect_b32 s4, s4, s12
	s_cselect_b32 s3, s15, s3
	s_cselect_b32 s2, s14, s2
	v_pk_mov_b32 v[2:3], s[4:5], s[4:5] op_sel:[0,1]
	v_cmp_lt_i64_e32 vcc, s[2:3], v[2:3]
	s_cbranch_vccnz .LBB78_23
.LBB78_24:
	v_mov_b32_e32 v0, 0
	v_pk_mov_b32 v[2:3], s[2:3], s[2:3] op_sel:[0,1]
	s_mov_b64 vcc, s[0:1]
	global_store_dwordx2 v0, v[2:3], s[6:7] offset:56
	s_cbranch_vccz .LBB78_26
; %bb.25:
	v_mov_b32_e32 v1, v0
	global_store_dwordx2 v0, v[0:1], s[6:7] offset:64
	s_mov_b64 s[0:1], 0
	s_cbranch_execz .LBB78_27
	s_branch .LBB78_31
.LBB78_26:
                                        ; implicit-def: $sgpr0_sgpr1
.LBB78_27:
	s_mov_b64 s[0:1], 0
	v_mov_b32_e32 v0, 0
	s_mov_b64 s[2:3], s[8:9]
.LBB78_28:                              ; =>This Inner Loop Header: Depth=1
	s_sub_u32 s4, s2, s0
	s_subb_u32 s5, s3, s1
	s_lshr_b32 s12, s5, 31
	s_add_u32 s4, s4, s12
	s_addc_u32 s5, s5, 0
	s_ashr_i64 s[4:5], s[4:5], 1
	s_add_u32 s4, s4, s0
	s_addc_u32 s5, s5, s1
	s_lshl_b64 s[12:13], s[4:5], 1
	s_add_u32 s12, s10, s12
	s_addc_u32 s13, s11, s13
	global_load_sshort v1, v0, s[12:13]
	s_add_u32 s12, s4, 1
	s_addc_u32 s13, s5, 0
	s_waitcnt vmcnt(0)
	v_readfirstlane_b32 s14, v1
	s_cmp_lt_i32 s14, 8
	s_cselect_b32 s3, s3, s5
	s_cselect_b32 s2, s2, s4
	;; [unrolled: 1-line block ×4, first 2 shown]
	v_pk_mov_b32 v[2:3], s[2:3], s[2:3] op_sel:[0,1]
	v_cmp_lt_i64_e32 vcc, s[0:1], v[2:3]
	s_cbranch_vccnz .LBB78_28
; %bb.29:
	v_mov_b32_e32 v0, 0
	v_pk_mov_b32 v[2:3], s[0:1], s[0:1] op_sel:[0,1]
	s_mov_b64 s[0:1], 0
	global_store_dwordx2 v0, v[2:3], s[6:7] offset:64
.LBB78_30:                              ; =>This Inner Loop Header: Depth=1
	s_sub_u32 s2, s8, s0
	s_subb_u32 s3, s9, s1
	s_lshr_b32 s4, s3, 31
	s_add_u32 s2, s2, s4
	s_addc_u32 s3, s3, 0
	s_ashr_i64 s[2:3], s[2:3], 1
	s_add_u32 s2, s2, s0
	s_addc_u32 s3, s3, s1
	s_lshl_b64 s[4:5], s[2:3], 1
	s_add_u32 s4, s10, s4
	s_addc_u32 s5, s11, s5
	global_load_sshort v1, v0, s[4:5]
	s_add_u32 s4, s2, 1
	s_addc_u32 s5, s3, 0
	s_waitcnt vmcnt(0)
	v_readfirstlane_b32 s12, v1
	s_cmp_lt_i32 s12, 9
	s_cselect_b32 s9, s9, s3
	s_cselect_b32 s8, s8, s2
	;; [unrolled: 1-line block ×4, first 2 shown]
	v_pk_mov_b32 v[2:3], s[8:9], s[8:9] op_sel:[0,1]
	v_cmp_ge_i64_e32 vcc, s[0:1], v[2:3]
	s_cbranch_vccz .LBB78_30
.LBB78_31:
	v_mov_b32_e32 v2, 0
	v_pk_mov_b32 v[0:1], s[0:1], s[0:1] op_sel:[0,1]
	global_store_dwordx2 v2, v[0:1], s[6:7] offset:72
	s_endpgm
	.section	.rodata,"a",@progbits
	.p2align	6, 0x0
	.amdhsa_kernel _Z18lower_bound_kernelIsEvmPT_Pl
		.amdhsa_group_segment_fixed_size 0
		.amdhsa_private_segment_fixed_size 0
		.amdhsa_kernarg_size 24
		.amdhsa_user_sgpr_count 6
		.amdhsa_user_sgpr_private_segment_buffer 1
		.amdhsa_user_sgpr_dispatch_ptr 0
		.amdhsa_user_sgpr_queue_ptr 0
		.amdhsa_user_sgpr_kernarg_segment_ptr 1
		.amdhsa_user_sgpr_dispatch_id 0
		.amdhsa_user_sgpr_flat_scratch_init 0
		.amdhsa_user_sgpr_kernarg_preload_length 0
		.amdhsa_user_sgpr_kernarg_preload_offset 0
		.amdhsa_user_sgpr_private_segment_size 0
		.amdhsa_uses_dynamic_stack 0
		.amdhsa_system_sgpr_private_segment_wavefront_offset 0
		.amdhsa_system_sgpr_workgroup_id_x 1
		.amdhsa_system_sgpr_workgroup_id_y 0
		.amdhsa_system_sgpr_workgroup_id_z 0
		.amdhsa_system_sgpr_workgroup_info 0
		.amdhsa_system_vgpr_workitem_id 0
		.amdhsa_next_free_vgpr 4
		.amdhsa_next_free_sgpr 19
		.amdhsa_accum_offset 4
		.amdhsa_reserve_vcc 1
		.amdhsa_reserve_flat_scratch 0
		.amdhsa_float_round_mode_32 0
		.amdhsa_float_round_mode_16_64 0
		.amdhsa_float_denorm_mode_32 3
		.amdhsa_float_denorm_mode_16_64 3
		.amdhsa_dx10_clamp 1
		.amdhsa_ieee_mode 1
		.amdhsa_fp16_overflow 0
		.amdhsa_tg_split 0
		.amdhsa_exception_fp_ieee_invalid_op 0
		.amdhsa_exception_fp_denorm_src 0
		.amdhsa_exception_fp_ieee_div_zero 0
		.amdhsa_exception_fp_ieee_overflow 0
		.amdhsa_exception_fp_ieee_underflow 0
		.amdhsa_exception_fp_ieee_inexact 0
		.amdhsa_exception_int_div_zero 0
	.end_amdhsa_kernel
	.section	.text._Z18lower_bound_kernelIsEvmPT_Pl,"axG",@progbits,_Z18lower_bound_kernelIsEvmPT_Pl,comdat
.Lfunc_end78:
	.size	_Z18lower_bound_kernelIsEvmPT_Pl, .Lfunc_end78-_Z18lower_bound_kernelIsEvmPT_Pl
                                        ; -- End function
	.section	.AMDGPU.csdata,"",@progbits
; Kernel info:
; codeLenInByte = 1480
; NumSgprs: 23
; NumVgprs: 4
; NumAgprs: 0
; TotalNumVgprs: 4
; ScratchSize: 0
; MemoryBound: 0
; FloatMode: 240
; IeeeMode: 1
; LDSByteSize: 0 bytes/workgroup (compile time only)
; SGPRBlocks: 2
; VGPRBlocks: 0
; NumSGPRsForWavesPerEU: 23
; NumVGPRsForWavesPerEU: 4
; AccumOffset: 4
; Occupancy: 8
; WaveLimiterHint : 0
; COMPUTE_PGM_RSRC2:SCRATCH_EN: 0
; COMPUTE_PGM_RSRC2:USER_SGPR: 6
; COMPUTE_PGM_RSRC2:TRAP_HANDLER: 0
; COMPUTE_PGM_RSRC2:TGID_X_EN: 1
; COMPUTE_PGM_RSRC2:TGID_Y_EN: 0
; COMPUTE_PGM_RSRC2:TGID_Z_EN: 0
; COMPUTE_PGM_RSRC2:TIDIG_COMP_CNT: 0
; COMPUTE_PGM_RSRC3_GFX90A:ACCUM_OFFSET: 0
; COMPUTE_PGM_RSRC3_GFX90A:TG_SPLIT: 0
	.section	.text._ZN7rocprim17ROCPRIM_400000_NS6detail17trampoline_kernelINS0_14default_configENS1_27lower_bound_config_selectorIslEEZNS1_14transform_implILb0ES3_S5_N6thrust23THRUST_200600_302600_NS17counting_iteratorIsNS8_11use_defaultESA_SA_EEPlZNS1_13binary_searchIS3_S5_PsSB_SC_NS1_21lower_bound_search_opENS8_6detail16wrapped_functionI11custom_lessbEEEE10hipError_tPvRmT1_T2_T3_mmT4_T5_P12ihipStream_tbEUlRKsE_EESK_SO_SP_mSQ_ST_bEUlT_E_NS1_11comp_targetILNS1_3genE0ELNS1_11target_archE4294967295ELNS1_3gpuE0ELNS1_3repE0EEENS1_30default_config_static_selectorELNS0_4arch9wavefront6targetE1EEEvSN_,"axG",@progbits,_ZN7rocprim17ROCPRIM_400000_NS6detail17trampoline_kernelINS0_14default_configENS1_27lower_bound_config_selectorIslEEZNS1_14transform_implILb0ES3_S5_N6thrust23THRUST_200600_302600_NS17counting_iteratorIsNS8_11use_defaultESA_SA_EEPlZNS1_13binary_searchIS3_S5_PsSB_SC_NS1_21lower_bound_search_opENS8_6detail16wrapped_functionI11custom_lessbEEEE10hipError_tPvRmT1_T2_T3_mmT4_T5_P12ihipStream_tbEUlRKsE_EESK_SO_SP_mSQ_ST_bEUlT_E_NS1_11comp_targetILNS1_3genE0ELNS1_11target_archE4294967295ELNS1_3gpuE0ELNS1_3repE0EEENS1_30default_config_static_selectorELNS0_4arch9wavefront6targetE1EEEvSN_,comdat
	.protected	_ZN7rocprim17ROCPRIM_400000_NS6detail17trampoline_kernelINS0_14default_configENS1_27lower_bound_config_selectorIslEEZNS1_14transform_implILb0ES3_S5_N6thrust23THRUST_200600_302600_NS17counting_iteratorIsNS8_11use_defaultESA_SA_EEPlZNS1_13binary_searchIS3_S5_PsSB_SC_NS1_21lower_bound_search_opENS8_6detail16wrapped_functionI11custom_lessbEEEE10hipError_tPvRmT1_T2_T3_mmT4_T5_P12ihipStream_tbEUlRKsE_EESK_SO_SP_mSQ_ST_bEUlT_E_NS1_11comp_targetILNS1_3genE0ELNS1_11target_archE4294967295ELNS1_3gpuE0ELNS1_3repE0EEENS1_30default_config_static_selectorELNS0_4arch9wavefront6targetE1EEEvSN_ ; -- Begin function _ZN7rocprim17ROCPRIM_400000_NS6detail17trampoline_kernelINS0_14default_configENS1_27lower_bound_config_selectorIslEEZNS1_14transform_implILb0ES3_S5_N6thrust23THRUST_200600_302600_NS17counting_iteratorIsNS8_11use_defaultESA_SA_EEPlZNS1_13binary_searchIS3_S5_PsSB_SC_NS1_21lower_bound_search_opENS8_6detail16wrapped_functionI11custom_lessbEEEE10hipError_tPvRmT1_T2_T3_mmT4_T5_P12ihipStream_tbEUlRKsE_EESK_SO_SP_mSQ_ST_bEUlT_E_NS1_11comp_targetILNS1_3genE0ELNS1_11target_archE4294967295ELNS1_3gpuE0ELNS1_3repE0EEENS1_30default_config_static_selectorELNS0_4arch9wavefront6targetE1EEEvSN_
	.globl	_ZN7rocprim17ROCPRIM_400000_NS6detail17trampoline_kernelINS0_14default_configENS1_27lower_bound_config_selectorIslEEZNS1_14transform_implILb0ES3_S5_N6thrust23THRUST_200600_302600_NS17counting_iteratorIsNS8_11use_defaultESA_SA_EEPlZNS1_13binary_searchIS3_S5_PsSB_SC_NS1_21lower_bound_search_opENS8_6detail16wrapped_functionI11custom_lessbEEEE10hipError_tPvRmT1_T2_T3_mmT4_T5_P12ihipStream_tbEUlRKsE_EESK_SO_SP_mSQ_ST_bEUlT_E_NS1_11comp_targetILNS1_3genE0ELNS1_11target_archE4294967295ELNS1_3gpuE0ELNS1_3repE0EEENS1_30default_config_static_selectorELNS0_4arch9wavefront6targetE1EEEvSN_
	.p2align	8
	.type	_ZN7rocprim17ROCPRIM_400000_NS6detail17trampoline_kernelINS0_14default_configENS1_27lower_bound_config_selectorIslEEZNS1_14transform_implILb0ES3_S5_N6thrust23THRUST_200600_302600_NS17counting_iteratorIsNS8_11use_defaultESA_SA_EEPlZNS1_13binary_searchIS3_S5_PsSB_SC_NS1_21lower_bound_search_opENS8_6detail16wrapped_functionI11custom_lessbEEEE10hipError_tPvRmT1_T2_T3_mmT4_T5_P12ihipStream_tbEUlRKsE_EESK_SO_SP_mSQ_ST_bEUlT_E_NS1_11comp_targetILNS1_3genE0ELNS1_11target_archE4294967295ELNS1_3gpuE0ELNS1_3repE0EEENS1_30default_config_static_selectorELNS0_4arch9wavefront6targetE1EEEvSN_,@function
_ZN7rocprim17ROCPRIM_400000_NS6detail17trampoline_kernelINS0_14default_configENS1_27lower_bound_config_selectorIslEEZNS1_14transform_implILb0ES3_S5_N6thrust23THRUST_200600_302600_NS17counting_iteratorIsNS8_11use_defaultESA_SA_EEPlZNS1_13binary_searchIS3_S5_PsSB_SC_NS1_21lower_bound_search_opENS8_6detail16wrapped_functionI11custom_lessbEEEE10hipError_tPvRmT1_T2_T3_mmT4_T5_P12ihipStream_tbEUlRKsE_EESK_SO_SP_mSQ_ST_bEUlT_E_NS1_11comp_targetILNS1_3genE0ELNS1_11target_archE4294967295ELNS1_3gpuE0ELNS1_3repE0EEENS1_30default_config_static_selectorELNS0_4arch9wavefront6targetE1EEEvSN_: ; @_ZN7rocprim17ROCPRIM_400000_NS6detail17trampoline_kernelINS0_14default_configENS1_27lower_bound_config_selectorIslEEZNS1_14transform_implILb0ES3_S5_N6thrust23THRUST_200600_302600_NS17counting_iteratorIsNS8_11use_defaultESA_SA_EEPlZNS1_13binary_searchIS3_S5_PsSB_SC_NS1_21lower_bound_search_opENS8_6detail16wrapped_functionI11custom_lessbEEEE10hipError_tPvRmT1_T2_T3_mmT4_T5_P12ihipStream_tbEUlRKsE_EESK_SO_SP_mSQ_ST_bEUlT_E_NS1_11comp_targetILNS1_3genE0ELNS1_11target_archE4294967295ELNS1_3gpuE0ELNS1_3repE0EEENS1_30default_config_static_selectorELNS0_4arch9wavefront6targetE1EEEvSN_
; %bb.0:
	.section	.rodata,"a",@progbits
	.p2align	6, 0x0
	.amdhsa_kernel _ZN7rocprim17ROCPRIM_400000_NS6detail17trampoline_kernelINS0_14default_configENS1_27lower_bound_config_selectorIslEEZNS1_14transform_implILb0ES3_S5_N6thrust23THRUST_200600_302600_NS17counting_iteratorIsNS8_11use_defaultESA_SA_EEPlZNS1_13binary_searchIS3_S5_PsSB_SC_NS1_21lower_bound_search_opENS8_6detail16wrapped_functionI11custom_lessbEEEE10hipError_tPvRmT1_T2_T3_mmT4_T5_P12ihipStream_tbEUlRKsE_EESK_SO_SP_mSQ_ST_bEUlT_E_NS1_11comp_targetILNS1_3genE0ELNS1_11target_archE4294967295ELNS1_3gpuE0ELNS1_3repE0EEENS1_30default_config_static_selectorELNS0_4arch9wavefront6targetE1EEEvSN_
		.amdhsa_group_segment_fixed_size 0
		.amdhsa_private_segment_fixed_size 0
		.amdhsa_kernarg_size 56
		.amdhsa_user_sgpr_count 6
		.amdhsa_user_sgpr_private_segment_buffer 1
		.amdhsa_user_sgpr_dispatch_ptr 0
		.amdhsa_user_sgpr_queue_ptr 0
		.amdhsa_user_sgpr_kernarg_segment_ptr 1
		.amdhsa_user_sgpr_dispatch_id 0
		.amdhsa_user_sgpr_flat_scratch_init 0
		.amdhsa_user_sgpr_kernarg_preload_length 0
		.amdhsa_user_sgpr_kernarg_preload_offset 0
		.amdhsa_user_sgpr_private_segment_size 0
		.amdhsa_uses_dynamic_stack 0
		.amdhsa_system_sgpr_private_segment_wavefront_offset 0
		.amdhsa_system_sgpr_workgroup_id_x 1
		.amdhsa_system_sgpr_workgroup_id_y 0
		.amdhsa_system_sgpr_workgroup_id_z 0
		.amdhsa_system_sgpr_workgroup_info 0
		.amdhsa_system_vgpr_workitem_id 0
		.amdhsa_next_free_vgpr 1
		.amdhsa_next_free_sgpr 0
		.amdhsa_accum_offset 4
		.amdhsa_reserve_vcc 0
		.amdhsa_reserve_flat_scratch 0
		.amdhsa_float_round_mode_32 0
		.amdhsa_float_round_mode_16_64 0
		.amdhsa_float_denorm_mode_32 3
		.amdhsa_float_denorm_mode_16_64 3
		.amdhsa_dx10_clamp 1
		.amdhsa_ieee_mode 1
		.amdhsa_fp16_overflow 0
		.amdhsa_tg_split 0
		.amdhsa_exception_fp_ieee_invalid_op 0
		.amdhsa_exception_fp_denorm_src 0
		.amdhsa_exception_fp_ieee_div_zero 0
		.amdhsa_exception_fp_ieee_overflow 0
		.amdhsa_exception_fp_ieee_underflow 0
		.amdhsa_exception_fp_ieee_inexact 0
		.amdhsa_exception_int_div_zero 0
	.end_amdhsa_kernel
	.section	.text._ZN7rocprim17ROCPRIM_400000_NS6detail17trampoline_kernelINS0_14default_configENS1_27lower_bound_config_selectorIslEEZNS1_14transform_implILb0ES3_S5_N6thrust23THRUST_200600_302600_NS17counting_iteratorIsNS8_11use_defaultESA_SA_EEPlZNS1_13binary_searchIS3_S5_PsSB_SC_NS1_21lower_bound_search_opENS8_6detail16wrapped_functionI11custom_lessbEEEE10hipError_tPvRmT1_T2_T3_mmT4_T5_P12ihipStream_tbEUlRKsE_EESK_SO_SP_mSQ_ST_bEUlT_E_NS1_11comp_targetILNS1_3genE0ELNS1_11target_archE4294967295ELNS1_3gpuE0ELNS1_3repE0EEENS1_30default_config_static_selectorELNS0_4arch9wavefront6targetE1EEEvSN_,"axG",@progbits,_ZN7rocprim17ROCPRIM_400000_NS6detail17trampoline_kernelINS0_14default_configENS1_27lower_bound_config_selectorIslEEZNS1_14transform_implILb0ES3_S5_N6thrust23THRUST_200600_302600_NS17counting_iteratorIsNS8_11use_defaultESA_SA_EEPlZNS1_13binary_searchIS3_S5_PsSB_SC_NS1_21lower_bound_search_opENS8_6detail16wrapped_functionI11custom_lessbEEEE10hipError_tPvRmT1_T2_T3_mmT4_T5_P12ihipStream_tbEUlRKsE_EESK_SO_SP_mSQ_ST_bEUlT_E_NS1_11comp_targetILNS1_3genE0ELNS1_11target_archE4294967295ELNS1_3gpuE0ELNS1_3repE0EEENS1_30default_config_static_selectorELNS0_4arch9wavefront6targetE1EEEvSN_,comdat
.Lfunc_end79:
	.size	_ZN7rocprim17ROCPRIM_400000_NS6detail17trampoline_kernelINS0_14default_configENS1_27lower_bound_config_selectorIslEEZNS1_14transform_implILb0ES3_S5_N6thrust23THRUST_200600_302600_NS17counting_iteratorIsNS8_11use_defaultESA_SA_EEPlZNS1_13binary_searchIS3_S5_PsSB_SC_NS1_21lower_bound_search_opENS8_6detail16wrapped_functionI11custom_lessbEEEE10hipError_tPvRmT1_T2_T3_mmT4_T5_P12ihipStream_tbEUlRKsE_EESK_SO_SP_mSQ_ST_bEUlT_E_NS1_11comp_targetILNS1_3genE0ELNS1_11target_archE4294967295ELNS1_3gpuE0ELNS1_3repE0EEENS1_30default_config_static_selectorELNS0_4arch9wavefront6targetE1EEEvSN_, .Lfunc_end79-_ZN7rocprim17ROCPRIM_400000_NS6detail17trampoline_kernelINS0_14default_configENS1_27lower_bound_config_selectorIslEEZNS1_14transform_implILb0ES3_S5_N6thrust23THRUST_200600_302600_NS17counting_iteratorIsNS8_11use_defaultESA_SA_EEPlZNS1_13binary_searchIS3_S5_PsSB_SC_NS1_21lower_bound_search_opENS8_6detail16wrapped_functionI11custom_lessbEEEE10hipError_tPvRmT1_T2_T3_mmT4_T5_P12ihipStream_tbEUlRKsE_EESK_SO_SP_mSQ_ST_bEUlT_E_NS1_11comp_targetILNS1_3genE0ELNS1_11target_archE4294967295ELNS1_3gpuE0ELNS1_3repE0EEENS1_30default_config_static_selectorELNS0_4arch9wavefront6targetE1EEEvSN_
                                        ; -- End function
	.section	.AMDGPU.csdata,"",@progbits
; Kernel info:
; codeLenInByte = 0
; NumSgprs: 4
; NumVgprs: 0
; NumAgprs: 0
; TotalNumVgprs: 0
; ScratchSize: 0
; MemoryBound: 0
; FloatMode: 240
; IeeeMode: 1
; LDSByteSize: 0 bytes/workgroup (compile time only)
; SGPRBlocks: 0
; VGPRBlocks: 0
; NumSGPRsForWavesPerEU: 4
; NumVGPRsForWavesPerEU: 1
; AccumOffset: 4
; Occupancy: 8
; WaveLimiterHint : 0
; COMPUTE_PGM_RSRC2:SCRATCH_EN: 0
; COMPUTE_PGM_RSRC2:USER_SGPR: 6
; COMPUTE_PGM_RSRC2:TRAP_HANDLER: 0
; COMPUTE_PGM_RSRC2:TGID_X_EN: 1
; COMPUTE_PGM_RSRC2:TGID_Y_EN: 0
; COMPUTE_PGM_RSRC2:TGID_Z_EN: 0
; COMPUTE_PGM_RSRC2:TIDIG_COMP_CNT: 0
; COMPUTE_PGM_RSRC3_GFX90A:ACCUM_OFFSET: 0
; COMPUTE_PGM_RSRC3_GFX90A:TG_SPLIT: 0
	.section	.text._ZN7rocprim17ROCPRIM_400000_NS6detail17trampoline_kernelINS0_14default_configENS1_27lower_bound_config_selectorIslEEZNS1_14transform_implILb0ES3_S5_N6thrust23THRUST_200600_302600_NS17counting_iteratorIsNS8_11use_defaultESA_SA_EEPlZNS1_13binary_searchIS3_S5_PsSB_SC_NS1_21lower_bound_search_opENS8_6detail16wrapped_functionI11custom_lessbEEEE10hipError_tPvRmT1_T2_T3_mmT4_T5_P12ihipStream_tbEUlRKsE_EESK_SO_SP_mSQ_ST_bEUlT_E_NS1_11comp_targetILNS1_3genE5ELNS1_11target_archE942ELNS1_3gpuE9ELNS1_3repE0EEENS1_30default_config_static_selectorELNS0_4arch9wavefront6targetE1EEEvSN_,"axG",@progbits,_ZN7rocprim17ROCPRIM_400000_NS6detail17trampoline_kernelINS0_14default_configENS1_27lower_bound_config_selectorIslEEZNS1_14transform_implILb0ES3_S5_N6thrust23THRUST_200600_302600_NS17counting_iteratorIsNS8_11use_defaultESA_SA_EEPlZNS1_13binary_searchIS3_S5_PsSB_SC_NS1_21lower_bound_search_opENS8_6detail16wrapped_functionI11custom_lessbEEEE10hipError_tPvRmT1_T2_T3_mmT4_T5_P12ihipStream_tbEUlRKsE_EESK_SO_SP_mSQ_ST_bEUlT_E_NS1_11comp_targetILNS1_3genE5ELNS1_11target_archE942ELNS1_3gpuE9ELNS1_3repE0EEENS1_30default_config_static_selectorELNS0_4arch9wavefront6targetE1EEEvSN_,comdat
	.protected	_ZN7rocprim17ROCPRIM_400000_NS6detail17trampoline_kernelINS0_14default_configENS1_27lower_bound_config_selectorIslEEZNS1_14transform_implILb0ES3_S5_N6thrust23THRUST_200600_302600_NS17counting_iteratorIsNS8_11use_defaultESA_SA_EEPlZNS1_13binary_searchIS3_S5_PsSB_SC_NS1_21lower_bound_search_opENS8_6detail16wrapped_functionI11custom_lessbEEEE10hipError_tPvRmT1_T2_T3_mmT4_T5_P12ihipStream_tbEUlRKsE_EESK_SO_SP_mSQ_ST_bEUlT_E_NS1_11comp_targetILNS1_3genE5ELNS1_11target_archE942ELNS1_3gpuE9ELNS1_3repE0EEENS1_30default_config_static_selectorELNS0_4arch9wavefront6targetE1EEEvSN_ ; -- Begin function _ZN7rocprim17ROCPRIM_400000_NS6detail17trampoline_kernelINS0_14default_configENS1_27lower_bound_config_selectorIslEEZNS1_14transform_implILb0ES3_S5_N6thrust23THRUST_200600_302600_NS17counting_iteratorIsNS8_11use_defaultESA_SA_EEPlZNS1_13binary_searchIS3_S5_PsSB_SC_NS1_21lower_bound_search_opENS8_6detail16wrapped_functionI11custom_lessbEEEE10hipError_tPvRmT1_T2_T3_mmT4_T5_P12ihipStream_tbEUlRKsE_EESK_SO_SP_mSQ_ST_bEUlT_E_NS1_11comp_targetILNS1_3genE5ELNS1_11target_archE942ELNS1_3gpuE9ELNS1_3repE0EEENS1_30default_config_static_selectorELNS0_4arch9wavefront6targetE1EEEvSN_
	.globl	_ZN7rocprim17ROCPRIM_400000_NS6detail17trampoline_kernelINS0_14default_configENS1_27lower_bound_config_selectorIslEEZNS1_14transform_implILb0ES3_S5_N6thrust23THRUST_200600_302600_NS17counting_iteratorIsNS8_11use_defaultESA_SA_EEPlZNS1_13binary_searchIS3_S5_PsSB_SC_NS1_21lower_bound_search_opENS8_6detail16wrapped_functionI11custom_lessbEEEE10hipError_tPvRmT1_T2_T3_mmT4_T5_P12ihipStream_tbEUlRKsE_EESK_SO_SP_mSQ_ST_bEUlT_E_NS1_11comp_targetILNS1_3genE5ELNS1_11target_archE942ELNS1_3gpuE9ELNS1_3repE0EEENS1_30default_config_static_selectorELNS0_4arch9wavefront6targetE1EEEvSN_
	.p2align	8
	.type	_ZN7rocprim17ROCPRIM_400000_NS6detail17trampoline_kernelINS0_14default_configENS1_27lower_bound_config_selectorIslEEZNS1_14transform_implILb0ES3_S5_N6thrust23THRUST_200600_302600_NS17counting_iteratorIsNS8_11use_defaultESA_SA_EEPlZNS1_13binary_searchIS3_S5_PsSB_SC_NS1_21lower_bound_search_opENS8_6detail16wrapped_functionI11custom_lessbEEEE10hipError_tPvRmT1_T2_T3_mmT4_T5_P12ihipStream_tbEUlRKsE_EESK_SO_SP_mSQ_ST_bEUlT_E_NS1_11comp_targetILNS1_3genE5ELNS1_11target_archE942ELNS1_3gpuE9ELNS1_3repE0EEENS1_30default_config_static_selectorELNS0_4arch9wavefront6targetE1EEEvSN_,@function
_ZN7rocprim17ROCPRIM_400000_NS6detail17trampoline_kernelINS0_14default_configENS1_27lower_bound_config_selectorIslEEZNS1_14transform_implILb0ES3_S5_N6thrust23THRUST_200600_302600_NS17counting_iteratorIsNS8_11use_defaultESA_SA_EEPlZNS1_13binary_searchIS3_S5_PsSB_SC_NS1_21lower_bound_search_opENS8_6detail16wrapped_functionI11custom_lessbEEEE10hipError_tPvRmT1_T2_T3_mmT4_T5_P12ihipStream_tbEUlRKsE_EESK_SO_SP_mSQ_ST_bEUlT_E_NS1_11comp_targetILNS1_3genE5ELNS1_11target_archE942ELNS1_3gpuE9ELNS1_3repE0EEENS1_30default_config_static_selectorELNS0_4arch9wavefront6targetE1EEEvSN_: ; @_ZN7rocprim17ROCPRIM_400000_NS6detail17trampoline_kernelINS0_14default_configENS1_27lower_bound_config_selectorIslEEZNS1_14transform_implILb0ES3_S5_N6thrust23THRUST_200600_302600_NS17counting_iteratorIsNS8_11use_defaultESA_SA_EEPlZNS1_13binary_searchIS3_S5_PsSB_SC_NS1_21lower_bound_search_opENS8_6detail16wrapped_functionI11custom_lessbEEEE10hipError_tPvRmT1_T2_T3_mmT4_T5_P12ihipStream_tbEUlRKsE_EESK_SO_SP_mSQ_ST_bEUlT_E_NS1_11comp_targetILNS1_3genE5ELNS1_11target_archE942ELNS1_3gpuE9ELNS1_3repE0EEENS1_30default_config_static_selectorELNS0_4arch9wavefront6targetE1EEEvSN_
; %bb.0:
	.section	.rodata,"a",@progbits
	.p2align	6, 0x0
	.amdhsa_kernel _ZN7rocprim17ROCPRIM_400000_NS6detail17trampoline_kernelINS0_14default_configENS1_27lower_bound_config_selectorIslEEZNS1_14transform_implILb0ES3_S5_N6thrust23THRUST_200600_302600_NS17counting_iteratorIsNS8_11use_defaultESA_SA_EEPlZNS1_13binary_searchIS3_S5_PsSB_SC_NS1_21lower_bound_search_opENS8_6detail16wrapped_functionI11custom_lessbEEEE10hipError_tPvRmT1_T2_T3_mmT4_T5_P12ihipStream_tbEUlRKsE_EESK_SO_SP_mSQ_ST_bEUlT_E_NS1_11comp_targetILNS1_3genE5ELNS1_11target_archE942ELNS1_3gpuE9ELNS1_3repE0EEENS1_30default_config_static_selectorELNS0_4arch9wavefront6targetE1EEEvSN_
		.amdhsa_group_segment_fixed_size 0
		.amdhsa_private_segment_fixed_size 0
		.amdhsa_kernarg_size 56
		.amdhsa_user_sgpr_count 6
		.amdhsa_user_sgpr_private_segment_buffer 1
		.amdhsa_user_sgpr_dispatch_ptr 0
		.amdhsa_user_sgpr_queue_ptr 0
		.amdhsa_user_sgpr_kernarg_segment_ptr 1
		.amdhsa_user_sgpr_dispatch_id 0
		.amdhsa_user_sgpr_flat_scratch_init 0
		.amdhsa_user_sgpr_kernarg_preload_length 0
		.amdhsa_user_sgpr_kernarg_preload_offset 0
		.amdhsa_user_sgpr_private_segment_size 0
		.amdhsa_uses_dynamic_stack 0
		.amdhsa_system_sgpr_private_segment_wavefront_offset 0
		.amdhsa_system_sgpr_workgroup_id_x 1
		.amdhsa_system_sgpr_workgroup_id_y 0
		.amdhsa_system_sgpr_workgroup_id_z 0
		.amdhsa_system_sgpr_workgroup_info 0
		.amdhsa_system_vgpr_workitem_id 0
		.amdhsa_next_free_vgpr 1
		.amdhsa_next_free_sgpr 0
		.amdhsa_accum_offset 4
		.amdhsa_reserve_vcc 0
		.amdhsa_reserve_flat_scratch 0
		.amdhsa_float_round_mode_32 0
		.amdhsa_float_round_mode_16_64 0
		.amdhsa_float_denorm_mode_32 3
		.amdhsa_float_denorm_mode_16_64 3
		.amdhsa_dx10_clamp 1
		.amdhsa_ieee_mode 1
		.amdhsa_fp16_overflow 0
		.amdhsa_tg_split 0
		.amdhsa_exception_fp_ieee_invalid_op 0
		.amdhsa_exception_fp_denorm_src 0
		.amdhsa_exception_fp_ieee_div_zero 0
		.amdhsa_exception_fp_ieee_overflow 0
		.amdhsa_exception_fp_ieee_underflow 0
		.amdhsa_exception_fp_ieee_inexact 0
		.amdhsa_exception_int_div_zero 0
	.end_amdhsa_kernel
	.section	.text._ZN7rocprim17ROCPRIM_400000_NS6detail17trampoline_kernelINS0_14default_configENS1_27lower_bound_config_selectorIslEEZNS1_14transform_implILb0ES3_S5_N6thrust23THRUST_200600_302600_NS17counting_iteratorIsNS8_11use_defaultESA_SA_EEPlZNS1_13binary_searchIS3_S5_PsSB_SC_NS1_21lower_bound_search_opENS8_6detail16wrapped_functionI11custom_lessbEEEE10hipError_tPvRmT1_T2_T3_mmT4_T5_P12ihipStream_tbEUlRKsE_EESK_SO_SP_mSQ_ST_bEUlT_E_NS1_11comp_targetILNS1_3genE5ELNS1_11target_archE942ELNS1_3gpuE9ELNS1_3repE0EEENS1_30default_config_static_selectorELNS0_4arch9wavefront6targetE1EEEvSN_,"axG",@progbits,_ZN7rocprim17ROCPRIM_400000_NS6detail17trampoline_kernelINS0_14default_configENS1_27lower_bound_config_selectorIslEEZNS1_14transform_implILb0ES3_S5_N6thrust23THRUST_200600_302600_NS17counting_iteratorIsNS8_11use_defaultESA_SA_EEPlZNS1_13binary_searchIS3_S5_PsSB_SC_NS1_21lower_bound_search_opENS8_6detail16wrapped_functionI11custom_lessbEEEE10hipError_tPvRmT1_T2_T3_mmT4_T5_P12ihipStream_tbEUlRKsE_EESK_SO_SP_mSQ_ST_bEUlT_E_NS1_11comp_targetILNS1_3genE5ELNS1_11target_archE942ELNS1_3gpuE9ELNS1_3repE0EEENS1_30default_config_static_selectorELNS0_4arch9wavefront6targetE1EEEvSN_,comdat
.Lfunc_end80:
	.size	_ZN7rocprim17ROCPRIM_400000_NS6detail17trampoline_kernelINS0_14default_configENS1_27lower_bound_config_selectorIslEEZNS1_14transform_implILb0ES3_S5_N6thrust23THRUST_200600_302600_NS17counting_iteratorIsNS8_11use_defaultESA_SA_EEPlZNS1_13binary_searchIS3_S5_PsSB_SC_NS1_21lower_bound_search_opENS8_6detail16wrapped_functionI11custom_lessbEEEE10hipError_tPvRmT1_T2_T3_mmT4_T5_P12ihipStream_tbEUlRKsE_EESK_SO_SP_mSQ_ST_bEUlT_E_NS1_11comp_targetILNS1_3genE5ELNS1_11target_archE942ELNS1_3gpuE9ELNS1_3repE0EEENS1_30default_config_static_selectorELNS0_4arch9wavefront6targetE1EEEvSN_, .Lfunc_end80-_ZN7rocprim17ROCPRIM_400000_NS6detail17trampoline_kernelINS0_14default_configENS1_27lower_bound_config_selectorIslEEZNS1_14transform_implILb0ES3_S5_N6thrust23THRUST_200600_302600_NS17counting_iteratorIsNS8_11use_defaultESA_SA_EEPlZNS1_13binary_searchIS3_S5_PsSB_SC_NS1_21lower_bound_search_opENS8_6detail16wrapped_functionI11custom_lessbEEEE10hipError_tPvRmT1_T2_T3_mmT4_T5_P12ihipStream_tbEUlRKsE_EESK_SO_SP_mSQ_ST_bEUlT_E_NS1_11comp_targetILNS1_3genE5ELNS1_11target_archE942ELNS1_3gpuE9ELNS1_3repE0EEENS1_30default_config_static_selectorELNS0_4arch9wavefront6targetE1EEEvSN_
                                        ; -- End function
	.section	.AMDGPU.csdata,"",@progbits
; Kernel info:
; codeLenInByte = 0
; NumSgprs: 4
; NumVgprs: 0
; NumAgprs: 0
; TotalNumVgprs: 0
; ScratchSize: 0
; MemoryBound: 0
; FloatMode: 240
; IeeeMode: 1
; LDSByteSize: 0 bytes/workgroup (compile time only)
; SGPRBlocks: 0
; VGPRBlocks: 0
; NumSGPRsForWavesPerEU: 4
; NumVGPRsForWavesPerEU: 1
; AccumOffset: 4
; Occupancy: 8
; WaveLimiterHint : 0
; COMPUTE_PGM_RSRC2:SCRATCH_EN: 0
; COMPUTE_PGM_RSRC2:USER_SGPR: 6
; COMPUTE_PGM_RSRC2:TRAP_HANDLER: 0
; COMPUTE_PGM_RSRC2:TGID_X_EN: 1
; COMPUTE_PGM_RSRC2:TGID_Y_EN: 0
; COMPUTE_PGM_RSRC2:TGID_Z_EN: 0
; COMPUTE_PGM_RSRC2:TIDIG_COMP_CNT: 0
; COMPUTE_PGM_RSRC3_GFX90A:ACCUM_OFFSET: 0
; COMPUTE_PGM_RSRC3_GFX90A:TG_SPLIT: 0
	.section	.text._ZN7rocprim17ROCPRIM_400000_NS6detail17trampoline_kernelINS0_14default_configENS1_27lower_bound_config_selectorIslEEZNS1_14transform_implILb0ES3_S5_N6thrust23THRUST_200600_302600_NS17counting_iteratorIsNS8_11use_defaultESA_SA_EEPlZNS1_13binary_searchIS3_S5_PsSB_SC_NS1_21lower_bound_search_opENS8_6detail16wrapped_functionI11custom_lessbEEEE10hipError_tPvRmT1_T2_T3_mmT4_T5_P12ihipStream_tbEUlRKsE_EESK_SO_SP_mSQ_ST_bEUlT_E_NS1_11comp_targetILNS1_3genE4ELNS1_11target_archE910ELNS1_3gpuE8ELNS1_3repE0EEENS1_30default_config_static_selectorELNS0_4arch9wavefront6targetE1EEEvSN_,"axG",@progbits,_ZN7rocprim17ROCPRIM_400000_NS6detail17trampoline_kernelINS0_14default_configENS1_27lower_bound_config_selectorIslEEZNS1_14transform_implILb0ES3_S5_N6thrust23THRUST_200600_302600_NS17counting_iteratorIsNS8_11use_defaultESA_SA_EEPlZNS1_13binary_searchIS3_S5_PsSB_SC_NS1_21lower_bound_search_opENS8_6detail16wrapped_functionI11custom_lessbEEEE10hipError_tPvRmT1_T2_T3_mmT4_T5_P12ihipStream_tbEUlRKsE_EESK_SO_SP_mSQ_ST_bEUlT_E_NS1_11comp_targetILNS1_3genE4ELNS1_11target_archE910ELNS1_3gpuE8ELNS1_3repE0EEENS1_30default_config_static_selectorELNS0_4arch9wavefront6targetE1EEEvSN_,comdat
	.protected	_ZN7rocprim17ROCPRIM_400000_NS6detail17trampoline_kernelINS0_14default_configENS1_27lower_bound_config_selectorIslEEZNS1_14transform_implILb0ES3_S5_N6thrust23THRUST_200600_302600_NS17counting_iteratorIsNS8_11use_defaultESA_SA_EEPlZNS1_13binary_searchIS3_S5_PsSB_SC_NS1_21lower_bound_search_opENS8_6detail16wrapped_functionI11custom_lessbEEEE10hipError_tPvRmT1_T2_T3_mmT4_T5_P12ihipStream_tbEUlRKsE_EESK_SO_SP_mSQ_ST_bEUlT_E_NS1_11comp_targetILNS1_3genE4ELNS1_11target_archE910ELNS1_3gpuE8ELNS1_3repE0EEENS1_30default_config_static_selectorELNS0_4arch9wavefront6targetE1EEEvSN_ ; -- Begin function _ZN7rocprim17ROCPRIM_400000_NS6detail17trampoline_kernelINS0_14default_configENS1_27lower_bound_config_selectorIslEEZNS1_14transform_implILb0ES3_S5_N6thrust23THRUST_200600_302600_NS17counting_iteratorIsNS8_11use_defaultESA_SA_EEPlZNS1_13binary_searchIS3_S5_PsSB_SC_NS1_21lower_bound_search_opENS8_6detail16wrapped_functionI11custom_lessbEEEE10hipError_tPvRmT1_T2_T3_mmT4_T5_P12ihipStream_tbEUlRKsE_EESK_SO_SP_mSQ_ST_bEUlT_E_NS1_11comp_targetILNS1_3genE4ELNS1_11target_archE910ELNS1_3gpuE8ELNS1_3repE0EEENS1_30default_config_static_selectorELNS0_4arch9wavefront6targetE1EEEvSN_
	.globl	_ZN7rocprim17ROCPRIM_400000_NS6detail17trampoline_kernelINS0_14default_configENS1_27lower_bound_config_selectorIslEEZNS1_14transform_implILb0ES3_S5_N6thrust23THRUST_200600_302600_NS17counting_iteratorIsNS8_11use_defaultESA_SA_EEPlZNS1_13binary_searchIS3_S5_PsSB_SC_NS1_21lower_bound_search_opENS8_6detail16wrapped_functionI11custom_lessbEEEE10hipError_tPvRmT1_T2_T3_mmT4_T5_P12ihipStream_tbEUlRKsE_EESK_SO_SP_mSQ_ST_bEUlT_E_NS1_11comp_targetILNS1_3genE4ELNS1_11target_archE910ELNS1_3gpuE8ELNS1_3repE0EEENS1_30default_config_static_selectorELNS0_4arch9wavefront6targetE1EEEvSN_
	.p2align	8
	.type	_ZN7rocprim17ROCPRIM_400000_NS6detail17trampoline_kernelINS0_14default_configENS1_27lower_bound_config_selectorIslEEZNS1_14transform_implILb0ES3_S5_N6thrust23THRUST_200600_302600_NS17counting_iteratorIsNS8_11use_defaultESA_SA_EEPlZNS1_13binary_searchIS3_S5_PsSB_SC_NS1_21lower_bound_search_opENS8_6detail16wrapped_functionI11custom_lessbEEEE10hipError_tPvRmT1_T2_T3_mmT4_T5_P12ihipStream_tbEUlRKsE_EESK_SO_SP_mSQ_ST_bEUlT_E_NS1_11comp_targetILNS1_3genE4ELNS1_11target_archE910ELNS1_3gpuE8ELNS1_3repE0EEENS1_30default_config_static_selectorELNS0_4arch9wavefront6targetE1EEEvSN_,@function
_ZN7rocprim17ROCPRIM_400000_NS6detail17trampoline_kernelINS0_14default_configENS1_27lower_bound_config_selectorIslEEZNS1_14transform_implILb0ES3_S5_N6thrust23THRUST_200600_302600_NS17counting_iteratorIsNS8_11use_defaultESA_SA_EEPlZNS1_13binary_searchIS3_S5_PsSB_SC_NS1_21lower_bound_search_opENS8_6detail16wrapped_functionI11custom_lessbEEEE10hipError_tPvRmT1_T2_T3_mmT4_T5_P12ihipStream_tbEUlRKsE_EESK_SO_SP_mSQ_ST_bEUlT_E_NS1_11comp_targetILNS1_3genE4ELNS1_11target_archE910ELNS1_3gpuE8ELNS1_3repE0EEENS1_30default_config_static_selectorELNS0_4arch9wavefront6targetE1EEEvSN_: ; @_ZN7rocprim17ROCPRIM_400000_NS6detail17trampoline_kernelINS0_14default_configENS1_27lower_bound_config_selectorIslEEZNS1_14transform_implILb0ES3_S5_N6thrust23THRUST_200600_302600_NS17counting_iteratorIsNS8_11use_defaultESA_SA_EEPlZNS1_13binary_searchIS3_S5_PsSB_SC_NS1_21lower_bound_search_opENS8_6detail16wrapped_functionI11custom_lessbEEEE10hipError_tPvRmT1_T2_T3_mmT4_T5_P12ihipStream_tbEUlRKsE_EESK_SO_SP_mSQ_ST_bEUlT_E_NS1_11comp_targetILNS1_3genE4ELNS1_11target_archE910ELNS1_3gpuE8ELNS1_3repE0EEENS1_30default_config_static_selectorELNS0_4arch9wavefront6targetE1EEEvSN_
; %bb.0:
	s_load_dword s16, s[4:5], 0x0
	s_load_dwordx2 s[8:9], s[4:5], 0x8
	s_load_dword s7, s[4:5], 0x38
	s_load_dwordx4 s[0:3], s[4:5], 0x18
	s_load_dwordx2 s[12:13], s[4:5], 0x28
	s_lshl_b32 s10, s6, 8
	s_waitcnt lgkmcnt(0)
	s_add_i32 s16, s16, s8
	s_add_i32 s7, s7, -1
	s_cmp_lg_u32 s6, s7
	s_mov_b32 s11, 0
	s_cbranch_scc0 .LBB81_6
; %bb.1:
	s_mov_b64 s[14:15], 0
	s_cmp_eq_u64 s[12:13], 0
	v_pk_mov_b32 v[2:3], 0, 0
	s_cbranch_scc1 .LBB81_5
; %bb.2:
	v_add_u16_e32 v1, s10, v0
	v_add_u16_e32 v1, s16, v1
	s_mov_b64 s[6:7], 0
	v_pk_mov_b32 v[2:3], 0, 0
	v_pk_mov_b32 v[4:5], s[12:13], s[12:13] op_sel:[0,1]
	v_mov_b32_e32 v6, s3
.LBB81_3:                               ; =>This Inner Loop Header: Depth=1
	v_sub_co_u32_e32 v8, vcc, v4, v2
	v_subb_co_u32_e32 v9, vcc, v5, v3, vcc
	v_lshrrev_b64 v[10:11], 1, v[8:9]
	v_add_co_u32_e32 v7, vcc, v10, v2
	v_lshrrev_b64 v[8:9], 6, v[8:9]
	v_addc_co_u32_e32 v10, vcc, v11, v3, vcc
	v_add_co_u32_e32 v8, vcc, v7, v8
	v_addc_co_u32_e32 v9, vcc, v10, v9, vcc
	v_lshlrev_b64 v[10:11], 1, v[8:9]
	v_add_co_u32_e32 v10, vcc, s2, v10
	v_addc_co_u32_e32 v11, vcc, v6, v11, vcc
	global_load_ushort v7, v[10:11], off
	v_add_co_u32_e32 v10, vcc, 1, v8
	v_addc_co_u32_e32 v11, vcc, 0, v9, vcc
	s_waitcnt vmcnt(0)
	v_cmp_lt_i16_e32 vcc, v7, v1
	v_cndmask_b32_e32 v5, v9, v5, vcc
	v_cndmask_b32_e32 v4, v8, v4, vcc
	;; [unrolled: 1-line block ×4, first 2 shown]
	v_cmp_ge_u64_e32 vcc, v[2:3], v[4:5]
	s_or_b64 s[6:7], vcc, s[6:7]
	s_andn2_b64 exec, exec, s[6:7]
	s_cbranch_execnz .LBB81_3
; %bb.4:
	s_or_b64 exec, exec, s[6:7]
.LBB81_5:
	s_mov_b64 s[6:7], -1
	s_andn2_b64 vcc, exec, s[14:15]
	s_cbranch_vccz .LBB81_7
	s_branch .LBB81_13
.LBB81_6:
	s_mov_b64 s[6:7], 0
                                        ; implicit-def: $vgpr2_vgpr3
.LBB81_7:
	s_load_dword s4, s[4:5], 0x10
                                        ; implicit-def: $vgpr2_vgpr3
	s_waitcnt lgkmcnt(0)
	s_sub_i32 s4, s4, s10
	v_cmp_gt_u32_e64 s[6:7], s4, v0
	s_and_saveexec_b64 s[4:5], s[6:7]
	s_cbranch_execz .LBB81_12
; %bb.8:
	s_mov_b64 s[14:15], 0
	s_cmp_eq_u64 s[12:13], 0
	v_pk_mov_b32 v[2:3], 0, 0
	s_cbranch_scc1 .LBB81_12
; %bb.9:
	v_add_u16_e32 v1, s10, v0
	v_add_u16_e32 v1, s16, v1
	v_pk_mov_b32 v[2:3], 0, 0
	v_pk_mov_b32 v[4:5], s[12:13], s[12:13] op_sel:[0,1]
	v_mov_b32_e32 v6, s3
.LBB81_10:                              ; =>This Inner Loop Header: Depth=1
	v_sub_co_u32_e32 v8, vcc, v4, v2
	v_subb_co_u32_e32 v9, vcc, v5, v3, vcc
	v_lshrrev_b64 v[10:11], 1, v[8:9]
	v_add_co_u32_e32 v7, vcc, v10, v2
	v_lshrrev_b64 v[8:9], 6, v[8:9]
	v_addc_co_u32_e32 v10, vcc, v11, v3, vcc
	v_add_co_u32_e32 v8, vcc, v7, v8
	v_addc_co_u32_e32 v9, vcc, v10, v9, vcc
	v_lshlrev_b64 v[10:11], 1, v[8:9]
	v_add_co_u32_e32 v10, vcc, s2, v10
	v_addc_co_u32_e32 v11, vcc, v6, v11, vcc
	global_load_ushort v7, v[10:11], off
	v_add_co_u32_e32 v10, vcc, 1, v8
	v_addc_co_u32_e32 v11, vcc, 0, v9, vcc
	s_waitcnt vmcnt(0)
	v_cmp_lt_i16_e32 vcc, v7, v1
	v_cndmask_b32_e32 v5, v9, v5, vcc
	v_cndmask_b32_e32 v4, v8, v4, vcc
	;; [unrolled: 1-line block ×4, first 2 shown]
	v_cmp_ge_u64_e32 vcc, v[2:3], v[4:5]
	s_or_b64 s[14:15], vcc, s[14:15]
	s_andn2_b64 exec, exec, s[14:15]
	s_cbranch_execnz .LBB81_10
; %bb.11:
	s_or_b64 exec, exec, s[14:15]
.LBB81_12:
	s_or_b64 exec, exec, s[4:5]
.LBB81_13:
	s_and_saveexec_b64 s[2:3], s[6:7]
	s_cbranch_execnz .LBB81_15
; %bb.14:
	s_endpgm
.LBB81_15:
	s_lshl_b64 s[2:3], s[8:9], 3
	s_add_u32 s2, s0, s2
	s_addc_u32 s3, s1, s3
	s_lshl_b64 s[0:1], s[10:11], 3
	s_add_u32 s0, s2, s0
	s_addc_u32 s1, s3, s1
	v_lshlrev_b32_e32 v0, 3, v0
	global_store_dwordx2 v0, v[2:3], s[0:1]
	s_endpgm
	.section	.rodata,"a",@progbits
	.p2align	6, 0x0
	.amdhsa_kernel _ZN7rocprim17ROCPRIM_400000_NS6detail17trampoline_kernelINS0_14default_configENS1_27lower_bound_config_selectorIslEEZNS1_14transform_implILb0ES3_S5_N6thrust23THRUST_200600_302600_NS17counting_iteratorIsNS8_11use_defaultESA_SA_EEPlZNS1_13binary_searchIS3_S5_PsSB_SC_NS1_21lower_bound_search_opENS8_6detail16wrapped_functionI11custom_lessbEEEE10hipError_tPvRmT1_T2_T3_mmT4_T5_P12ihipStream_tbEUlRKsE_EESK_SO_SP_mSQ_ST_bEUlT_E_NS1_11comp_targetILNS1_3genE4ELNS1_11target_archE910ELNS1_3gpuE8ELNS1_3repE0EEENS1_30default_config_static_selectorELNS0_4arch9wavefront6targetE1EEEvSN_
		.amdhsa_group_segment_fixed_size 0
		.amdhsa_private_segment_fixed_size 0
		.amdhsa_kernarg_size 312
		.amdhsa_user_sgpr_count 6
		.amdhsa_user_sgpr_private_segment_buffer 1
		.amdhsa_user_sgpr_dispatch_ptr 0
		.amdhsa_user_sgpr_queue_ptr 0
		.amdhsa_user_sgpr_kernarg_segment_ptr 1
		.amdhsa_user_sgpr_dispatch_id 0
		.amdhsa_user_sgpr_flat_scratch_init 0
		.amdhsa_user_sgpr_kernarg_preload_length 0
		.amdhsa_user_sgpr_kernarg_preload_offset 0
		.amdhsa_user_sgpr_private_segment_size 0
		.amdhsa_uses_dynamic_stack 0
		.amdhsa_system_sgpr_private_segment_wavefront_offset 0
		.amdhsa_system_sgpr_workgroup_id_x 1
		.amdhsa_system_sgpr_workgroup_id_y 0
		.amdhsa_system_sgpr_workgroup_id_z 0
		.amdhsa_system_sgpr_workgroup_info 0
		.amdhsa_system_vgpr_workitem_id 0
		.amdhsa_next_free_vgpr 12
		.amdhsa_next_free_sgpr 17
		.amdhsa_accum_offset 12
		.amdhsa_reserve_vcc 1
		.amdhsa_reserve_flat_scratch 0
		.amdhsa_float_round_mode_32 0
		.amdhsa_float_round_mode_16_64 0
		.amdhsa_float_denorm_mode_32 3
		.amdhsa_float_denorm_mode_16_64 3
		.amdhsa_dx10_clamp 1
		.amdhsa_ieee_mode 1
		.amdhsa_fp16_overflow 0
		.amdhsa_tg_split 0
		.amdhsa_exception_fp_ieee_invalid_op 0
		.amdhsa_exception_fp_denorm_src 0
		.amdhsa_exception_fp_ieee_div_zero 0
		.amdhsa_exception_fp_ieee_overflow 0
		.amdhsa_exception_fp_ieee_underflow 0
		.amdhsa_exception_fp_ieee_inexact 0
		.amdhsa_exception_int_div_zero 0
	.end_amdhsa_kernel
	.section	.text._ZN7rocprim17ROCPRIM_400000_NS6detail17trampoline_kernelINS0_14default_configENS1_27lower_bound_config_selectorIslEEZNS1_14transform_implILb0ES3_S5_N6thrust23THRUST_200600_302600_NS17counting_iteratorIsNS8_11use_defaultESA_SA_EEPlZNS1_13binary_searchIS3_S5_PsSB_SC_NS1_21lower_bound_search_opENS8_6detail16wrapped_functionI11custom_lessbEEEE10hipError_tPvRmT1_T2_T3_mmT4_T5_P12ihipStream_tbEUlRKsE_EESK_SO_SP_mSQ_ST_bEUlT_E_NS1_11comp_targetILNS1_3genE4ELNS1_11target_archE910ELNS1_3gpuE8ELNS1_3repE0EEENS1_30default_config_static_selectorELNS0_4arch9wavefront6targetE1EEEvSN_,"axG",@progbits,_ZN7rocprim17ROCPRIM_400000_NS6detail17trampoline_kernelINS0_14default_configENS1_27lower_bound_config_selectorIslEEZNS1_14transform_implILb0ES3_S5_N6thrust23THRUST_200600_302600_NS17counting_iteratorIsNS8_11use_defaultESA_SA_EEPlZNS1_13binary_searchIS3_S5_PsSB_SC_NS1_21lower_bound_search_opENS8_6detail16wrapped_functionI11custom_lessbEEEE10hipError_tPvRmT1_T2_T3_mmT4_T5_P12ihipStream_tbEUlRKsE_EESK_SO_SP_mSQ_ST_bEUlT_E_NS1_11comp_targetILNS1_3genE4ELNS1_11target_archE910ELNS1_3gpuE8ELNS1_3repE0EEENS1_30default_config_static_selectorELNS0_4arch9wavefront6targetE1EEEvSN_,comdat
.Lfunc_end81:
	.size	_ZN7rocprim17ROCPRIM_400000_NS6detail17trampoline_kernelINS0_14default_configENS1_27lower_bound_config_selectorIslEEZNS1_14transform_implILb0ES3_S5_N6thrust23THRUST_200600_302600_NS17counting_iteratorIsNS8_11use_defaultESA_SA_EEPlZNS1_13binary_searchIS3_S5_PsSB_SC_NS1_21lower_bound_search_opENS8_6detail16wrapped_functionI11custom_lessbEEEE10hipError_tPvRmT1_T2_T3_mmT4_T5_P12ihipStream_tbEUlRKsE_EESK_SO_SP_mSQ_ST_bEUlT_E_NS1_11comp_targetILNS1_3genE4ELNS1_11target_archE910ELNS1_3gpuE8ELNS1_3repE0EEENS1_30default_config_static_selectorELNS0_4arch9wavefront6targetE1EEEvSN_, .Lfunc_end81-_ZN7rocprim17ROCPRIM_400000_NS6detail17trampoline_kernelINS0_14default_configENS1_27lower_bound_config_selectorIslEEZNS1_14transform_implILb0ES3_S5_N6thrust23THRUST_200600_302600_NS17counting_iteratorIsNS8_11use_defaultESA_SA_EEPlZNS1_13binary_searchIS3_S5_PsSB_SC_NS1_21lower_bound_search_opENS8_6detail16wrapped_functionI11custom_lessbEEEE10hipError_tPvRmT1_T2_T3_mmT4_T5_P12ihipStream_tbEUlRKsE_EESK_SO_SP_mSQ_ST_bEUlT_E_NS1_11comp_targetILNS1_3genE4ELNS1_11target_archE910ELNS1_3gpuE8ELNS1_3repE0EEENS1_30default_config_static_selectorELNS0_4arch9wavefront6targetE1EEEvSN_
                                        ; -- End function
	.section	.AMDGPU.csdata,"",@progbits
; Kernel info:
; codeLenInByte = 508
; NumSgprs: 21
; NumVgprs: 12
; NumAgprs: 0
; TotalNumVgprs: 12
; ScratchSize: 0
; MemoryBound: 0
; FloatMode: 240
; IeeeMode: 1
; LDSByteSize: 0 bytes/workgroup (compile time only)
; SGPRBlocks: 2
; VGPRBlocks: 1
; NumSGPRsForWavesPerEU: 21
; NumVGPRsForWavesPerEU: 12
; AccumOffset: 12
; Occupancy: 8
; WaveLimiterHint : 0
; COMPUTE_PGM_RSRC2:SCRATCH_EN: 0
; COMPUTE_PGM_RSRC2:USER_SGPR: 6
; COMPUTE_PGM_RSRC2:TRAP_HANDLER: 0
; COMPUTE_PGM_RSRC2:TGID_X_EN: 1
; COMPUTE_PGM_RSRC2:TGID_Y_EN: 0
; COMPUTE_PGM_RSRC2:TGID_Z_EN: 0
; COMPUTE_PGM_RSRC2:TIDIG_COMP_CNT: 0
; COMPUTE_PGM_RSRC3_GFX90A:ACCUM_OFFSET: 2
; COMPUTE_PGM_RSRC3_GFX90A:TG_SPLIT: 0
	.section	.text._ZN7rocprim17ROCPRIM_400000_NS6detail17trampoline_kernelINS0_14default_configENS1_27lower_bound_config_selectorIslEEZNS1_14transform_implILb0ES3_S5_N6thrust23THRUST_200600_302600_NS17counting_iteratorIsNS8_11use_defaultESA_SA_EEPlZNS1_13binary_searchIS3_S5_PsSB_SC_NS1_21lower_bound_search_opENS8_6detail16wrapped_functionI11custom_lessbEEEE10hipError_tPvRmT1_T2_T3_mmT4_T5_P12ihipStream_tbEUlRKsE_EESK_SO_SP_mSQ_ST_bEUlT_E_NS1_11comp_targetILNS1_3genE3ELNS1_11target_archE908ELNS1_3gpuE7ELNS1_3repE0EEENS1_30default_config_static_selectorELNS0_4arch9wavefront6targetE1EEEvSN_,"axG",@progbits,_ZN7rocprim17ROCPRIM_400000_NS6detail17trampoline_kernelINS0_14default_configENS1_27lower_bound_config_selectorIslEEZNS1_14transform_implILb0ES3_S5_N6thrust23THRUST_200600_302600_NS17counting_iteratorIsNS8_11use_defaultESA_SA_EEPlZNS1_13binary_searchIS3_S5_PsSB_SC_NS1_21lower_bound_search_opENS8_6detail16wrapped_functionI11custom_lessbEEEE10hipError_tPvRmT1_T2_T3_mmT4_T5_P12ihipStream_tbEUlRKsE_EESK_SO_SP_mSQ_ST_bEUlT_E_NS1_11comp_targetILNS1_3genE3ELNS1_11target_archE908ELNS1_3gpuE7ELNS1_3repE0EEENS1_30default_config_static_selectorELNS0_4arch9wavefront6targetE1EEEvSN_,comdat
	.protected	_ZN7rocprim17ROCPRIM_400000_NS6detail17trampoline_kernelINS0_14default_configENS1_27lower_bound_config_selectorIslEEZNS1_14transform_implILb0ES3_S5_N6thrust23THRUST_200600_302600_NS17counting_iteratorIsNS8_11use_defaultESA_SA_EEPlZNS1_13binary_searchIS3_S5_PsSB_SC_NS1_21lower_bound_search_opENS8_6detail16wrapped_functionI11custom_lessbEEEE10hipError_tPvRmT1_T2_T3_mmT4_T5_P12ihipStream_tbEUlRKsE_EESK_SO_SP_mSQ_ST_bEUlT_E_NS1_11comp_targetILNS1_3genE3ELNS1_11target_archE908ELNS1_3gpuE7ELNS1_3repE0EEENS1_30default_config_static_selectorELNS0_4arch9wavefront6targetE1EEEvSN_ ; -- Begin function _ZN7rocprim17ROCPRIM_400000_NS6detail17trampoline_kernelINS0_14default_configENS1_27lower_bound_config_selectorIslEEZNS1_14transform_implILb0ES3_S5_N6thrust23THRUST_200600_302600_NS17counting_iteratorIsNS8_11use_defaultESA_SA_EEPlZNS1_13binary_searchIS3_S5_PsSB_SC_NS1_21lower_bound_search_opENS8_6detail16wrapped_functionI11custom_lessbEEEE10hipError_tPvRmT1_T2_T3_mmT4_T5_P12ihipStream_tbEUlRKsE_EESK_SO_SP_mSQ_ST_bEUlT_E_NS1_11comp_targetILNS1_3genE3ELNS1_11target_archE908ELNS1_3gpuE7ELNS1_3repE0EEENS1_30default_config_static_selectorELNS0_4arch9wavefront6targetE1EEEvSN_
	.globl	_ZN7rocprim17ROCPRIM_400000_NS6detail17trampoline_kernelINS0_14default_configENS1_27lower_bound_config_selectorIslEEZNS1_14transform_implILb0ES3_S5_N6thrust23THRUST_200600_302600_NS17counting_iteratorIsNS8_11use_defaultESA_SA_EEPlZNS1_13binary_searchIS3_S5_PsSB_SC_NS1_21lower_bound_search_opENS8_6detail16wrapped_functionI11custom_lessbEEEE10hipError_tPvRmT1_T2_T3_mmT4_T5_P12ihipStream_tbEUlRKsE_EESK_SO_SP_mSQ_ST_bEUlT_E_NS1_11comp_targetILNS1_3genE3ELNS1_11target_archE908ELNS1_3gpuE7ELNS1_3repE0EEENS1_30default_config_static_selectorELNS0_4arch9wavefront6targetE1EEEvSN_
	.p2align	8
	.type	_ZN7rocprim17ROCPRIM_400000_NS6detail17trampoline_kernelINS0_14default_configENS1_27lower_bound_config_selectorIslEEZNS1_14transform_implILb0ES3_S5_N6thrust23THRUST_200600_302600_NS17counting_iteratorIsNS8_11use_defaultESA_SA_EEPlZNS1_13binary_searchIS3_S5_PsSB_SC_NS1_21lower_bound_search_opENS8_6detail16wrapped_functionI11custom_lessbEEEE10hipError_tPvRmT1_T2_T3_mmT4_T5_P12ihipStream_tbEUlRKsE_EESK_SO_SP_mSQ_ST_bEUlT_E_NS1_11comp_targetILNS1_3genE3ELNS1_11target_archE908ELNS1_3gpuE7ELNS1_3repE0EEENS1_30default_config_static_selectorELNS0_4arch9wavefront6targetE1EEEvSN_,@function
_ZN7rocprim17ROCPRIM_400000_NS6detail17trampoline_kernelINS0_14default_configENS1_27lower_bound_config_selectorIslEEZNS1_14transform_implILb0ES3_S5_N6thrust23THRUST_200600_302600_NS17counting_iteratorIsNS8_11use_defaultESA_SA_EEPlZNS1_13binary_searchIS3_S5_PsSB_SC_NS1_21lower_bound_search_opENS8_6detail16wrapped_functionI11custom_lessbEEEE10hipError_tPvRmT1_T2_T3_mmT4_T5_P12ihipStream_tbEUlRKsE_EESK_SO_SP_mSQ_ST_bEUlT_E_NS1_11comp_targetILNS1_3genE3ELNS1_11target_archE908ELNS1_3gpuE7ELNS1_3repE0EEENS1_30default_config_static_selectorELNS0_4arch9wavefront6targetE1EEEvSN_: ; @_ZN7rocprim17ROCPRIM_400000_NS6detail17trampoline_kernelINS0_14default_configENS1_27lower_bound_config_selectorIslEEZNS1_14transform_implILb0ES3_S5_N6thrust23THRUST_200600_302600_NS17counting_iteratorIsNS8_11use_defaultESA_SA_EEPlZNS1_13binary_searchIS3_S5_PsSB_SC_NS1_21lower_bound_search_opENS8_6detail16wrapped_functionI11custom_lessbEEEE10hipError_tPvRmT1_T2_T3_mmT4_T5_P12ihipStream_tbEUlRKsE_EESK_SO_SP_mSQ_ST_bEUlT_E_NS1_11comp_targetILNS1_3genE3ELNS1_11target_archE908ELNS1_3gpuE7ELNS1_3repE0EEENS1_30default_config_static_selectorELNS0_4arch9wavefront6targetE1EEEvSN_
; %bb.0:
	.section	.rodata,"a",@progbits
	.p2align	6, 0x0
	.amdhsa_kernel _ZN7rocprim17ROCPRIM_400000_NS6detail17trampoline_kernelINS0_14default_configENS1_27lower_bound_config_selectorIslEEZNS1_14transform_implILb0ES3_S5_N6thrust23THRUST_200600_302600_NS17counting_iteratorIsNS8_11use_defaultESA_SA_EEPlZNS1_13binary_searchIS3_S5_PsSB_SC_NS1_21lower_bound_search_opENS8_6detail16wrapped_functionI11custom_lessbEEEE10hipError_tPvRmT1_T2_T3_mmT4_T5_P12ihipStream_tbEUlRKsE_EESK_SO_SP_mSQ_ST_bEUlT_E_NS1_11comp_targetILNS1_3genE3ELNS1_11target_archE908ELNS1_3gpuE7ELNS1_3repE0EEENS1_30default_config_static_selectorELNS0_4arch9wavefront6targetE1EEEvSN_
		.amdhsa_group_segment_fixed_size 0
		.amdhsa_private_segment_fixed_size 0
		.amdhsa_kernarg_size 56
		.amdhsa_user_sgpr_count 6
		.amdhsa_user_sgpr_private_segment_buffer 1
		.amdhsa_user_sgpr_dispatch_ptr 0
		.amdhsa_user_sgpr_queue_ptr 0
		.amdhsa_user_sgpr_kernarg_segment_ptr 1
		.amdhsa_user_sgpr_dispatch_id 0
		.amdhsa_user_sgpr_flat_scratch_init 0
		.amdhsa_user_sgpr_kernarg_preload_length 0
		.amdhsa_user_sgpr_kernarg_preload_offset 0
		.amdhsa_user_sgpr_private_segment_size 0
		.amdhsa_uses_dynamic_stack 0
		.amdhsa_system_sgpr_private_segment_wavefront_offset 0
		.amdhsa_system_sgpr_workgroup_id_x 1
		.amdhsa_system_sgpr_workgroup_id_y 0
		.amdhsa_system_sgpr_workgroup_id_z 0
		.amdhsa_system_sgpr_workgroup_info 0
		.amdhsa_system_vgpr_workitem_id 0
		.amdhsa_next_free_vgpr 1
		.amdhsa_next_free_sgpr 0
		.amdhsa_accum_offset 4
		.amdhsa_reserve_vcc 0
		.amdhsa_reserve_flat_scratch 0
		.amdhsa_float_round_mode_32 0
		.amdhsa_float_round_mode_16_64 0
		.amdhsa_float_denorm_mode_32 3
		.amdhsa_float_denorm_mode_16_64 3
		.amdhsa_dx10_clamp 1
		.amdhsa_ieee_mode 1
		.amdhsa_fp16_overflow 0
		.amdhsa_tg_split 0
		.amdhsa_exception_fp_ieee_invalid_op 0
		.amdhsa_exception_fp_denorm_src 0
		.amdhsa_exception_fp_ieee_div_zero 0
		.amdhsa_exception_fp_ieee_overflow 0
		.amdhsa_exception_fp_ieee_underflow 0
		.amdhsa_exception_fp_ieee_inexact 0
		.amdhsa_exception_int_div_zero 0
	.end_amdhsa_kernel
	.section	.text._ZN7rocprim17ROCPRIM_400000_NS6detail17trampoline_kernelINS0_14default_configENS1_27lower_bound_config_selectorIslEEZNS1_14transform_implILb0ES3_S5_N6thrust23THRUST_200600_302600_NS17counting_iteratorIsNS8_11use_defaultESA_SA_EEPlZNS1_13binary_searchIS3_S5_PsSB_SC_NS1_21lower_bound_search_opENS8_6detail16wrapped_functionI11custom_lessbEEEE10hipError_tPvRmT1_T2_T3_mmT4_T5_P12ihipStream_tbEUlRKsE_EESK_SO_SP_mSQ_ST_bEUlT_E_NS1_11comp_targetILNS1_3genE3ELNS1_11target_archE908ELNS1_3gpuE7ELNS1_3repE0EEENS1_30default_config_static_selectorELNS0_4arch9wavefront6targetE1EEEvSN_,"axG",@progbits,_ZN7rocprim17ROCPRIM_400000_NS6detail17trampoline_kernelINS0_14default_configENS1_27lower_bound_config_selectorIslEEZNS1_14transform_implILb0ES3_S5_N6thrust23THRUST_200600_302600_NS17counting_iteratorIsNS8_11use_defaultESA_SA_EEPlZNS1_13binary_searchIS3_S5_PsSB_SC_NS1_21lower_bound_search_opENS8_6detail16wrapped_functionI11custom_lessbEEEE10hipError_tPvRmT1_T2_T3_mmT4_T5_P12ihipStream_tbEUlRKsE_EESK_SO_SP_mSQ_ST_bEUlT_E_NS1_11comp_targetILNS1_3genE3ELNS1_11target_archE908ELNS1_3gpuE7ELNS1_3repE0EEENS1_30default_config_static_selectorELNS0_4arch9wavefront6targetE1EEEvSN_,comdat
.Lfunc_end82:
	.size	_ZN7rocprim17ROCPRIM_400000_NS6detail17trampoline_kernelINS0_14default_configENS1_27lower_bound_config_selectorIslEEZNS1_14transform_implILb0ES3_S5_N6thrust23THRUST_200600_302600_NS17counting_iteratorIsNS8_11use_defaultESA_SA_EEPlZNS1_13binary_searchIS3_S5_PsSB_SC_NS1_21lower_bound_search_opENS8_6detail16wrapped_functionI11custom_lessbEEEE10hipError_tPvRmT1_T2_T3_mmT4_T5_P12ihipStream_tbEUlRKsE_EESK_SO_SP_mSQ_ST_bEUlT_E_NS1_11comp_targetILNS1_3genE3ELNS1_11target_archE908ELNS1_3gpuE7ELNS1_3repE0EEENS1_30default_config_static_selectorELNS0_4arch9wavefront6targetE1EEEvSN_, .Lfunc_end82-_ZN7rocprim17ROCPRIM_400000_NS6detail17trampoline_kernelINS0_14default_configENS1_27lower_bound_config_selectorIslEEZNS1_14transform_implILb0ES3_S5_N6thrust23THRUST_200600_302600_NS17counting_iteratorIsNS8_11use_defaultESA_SA_EEPlZNS1_13binary_searchIS3_S5_PsSB_SC_NS1_21lower_bound_search_opENS8_6detail16wrapped_functionI11custom_lessbEEEE10hipError_tPvRmT1_T2_T3_mmT4_T5_P12ihipStream_tbEUlRKsE_EESK_SO_SP_mSQ_ST_bEUlT_E_NS1_11comp_targetILNS1_3genE3ELNS1_11target_archE908ELNS1_3gpuE7ELNS1_3repE0EEENS1_30default_config_static_selectorELNS0_4arch9wavefront6targetE1EEEvSN_
                                        ; -- End function
	.section	.AMDGPU.csdata,"",@progbits
; Kernel info:
; codeLenInByte = 0
; NumSgprs: 4
; NumVgprs: 0
; NumAgprs: 0
; TotalNumVgprs: 0
; ScratchSize: 0
; MemoryBound: 0
; FloatMode: 240
; IeeeMode: 1
; LDSByteSize: 0 bytes/workgroup (compile time only)
; SGPRBlocks: 0
; VGPRBlocks: 0
; NumSGPRsForWavesPerEU: 4
; NumVGPRsForWavesPerEU: 1
; AccumOffset: 4
; Occupancy: 8
; WaveLimiterHint : 0
; COMPUTE_PGM_RSRC2:SCRATCH_EN: 0
; COMPUTE_PGM_RSRC2:USER_SGPR: 6
; COMPUTE_PGM_RSRC2:TRAP_HANDLER: 0
; COMPUTE_PGM_RSRC2:TGID_X_EN: 1
; COMPUTE_PGM_RSRC2:TGID_Y_EN: 0
; COMPUTE_PGM_RSRC2:TGID_Z_EN: 0
; COMPUTE_PGM_RSRC2:TIDIG_COMP_CNT: 0
; COMPUTE_PGM_RSRC3_GFX90A:ACCUM_OFFSET: 0
; COMPUTE_PGM_RSRC3_GFX90A:TG_SPLIT: 0
	.section	.text._ZN7rocprim17ROCPRIM_400000_NS6detail17trampoline_kernelINS0_14default_configENS1_27lower_bound_config_selectorIslEEZNS1_14transform_implILb0ES3_S5_N6thrust23THRUST_200600_302600_NS17counting_iteratorIsNS8_11use_defaultESA_SA_EEPlZNS1_13binary_searchIS3_S5_PsSB_SC_NS1_21lower_bound_search_opENS8_6detail16wrapped_functionI11custom_lessbEEEE10hipError_tPvRmT1_T2_T3_mmT4_T5_P12ihipStream_tbEUlRKsE_EESK_SO_SP_mSQ_ST_bEUlT_E_NS1_11comp_targetILNS1_3genE2ELNS1_11target_archE906ELNS1_3gpuE6ELNS1_3repE0EEENS1_30default_config_static_selectorELNS0_4arch9wavefront6targetE1EEEvSN_,"axG",@progbits,_ZN7rocprim17ROCPRIM_400000_NS6detail17trampoline_kernelINS0_14default_configENS1_27lower_bound_config_selectorIslEEZNS1_14transform_implILb0ES3_S5_N6thrust23THRUST_200600_302600_NS17counting_iteratorIsNS8_11use_defaultESA_SA_EEPlZNS1_13binary_searchIS3_S5_PsSB_SC_NS1_21lower_bound_search_opENS8_6detail16wrapped_functionI11custom_lessbEEEE10hipError_tPvRmT1_T2_T3_mmT4_T5_P12ihipStream_tbEUlRKsE_EESK_SO_SP_mSQ_ST_bEUlT_E_NS1_11comp_targetILNS1_3genE2ELNS1_11target_archE906ELNS1_3gpuE6ELNS1_3repE0EEENS1_30default_config_static_selectorELNS0_4arch9wavefront6targetE1EEEvSN_,comdat
	.protected	_ZN7rocprim17ROCPRIM_400000_NS6detail17trampoline_kernelINS0_14default_configENS1_27lower_bound_config_selectorIslEEZNS1_14transform_implILb0ES3_S5_N6thrust23THRUST_200600_302600_NS17counting_iteratorIsNS8_11use_defaultESA_SA_EEPlZNS1_13binary_searchIS3_S5_PsSB_SC_NS1_21lower_bound_search_opENS8_6detail16wrapped_functionI11custom_lessbEEEE10hipError_tPvRmT1_T2_T3_mmT4_T5_P12ihipStream_tbEUlRKsE_EESK_SO_SP_mSQ_ST_bEUlT_E_NS1_11comp_targetILNS1_3genE2ELNS1_11target_archE906ELNS1_3gpuE6ELNS1_3repE0EEENS1_30default_config_static_selectorELNS0_4arch9wavefront6targetE1EEEvSN_ ; -- Begin function _ZN7rocprim17ROCPRIM_400000_NS6detail17trampoline_kernelINS0_14default_configENS1_27lower_bound_config_selectorIslEEZNS1_14transform_implILb0ES3_S5_N6thrust23THRUST_200600_302600_NS17counting_iteratorIsNS8_11use_defaultESA_SA_EEPlZNS1_13binary_searchIS3_S5_PsSB_SC_NS1_21lower_bound_search_opENS8_6detail16wrapped_functionI11custom_lessbEEEE10hipError_tPvRmT1_T2_T3_mmT4_T5_P12ihipStream_tbEUlRKsE_EESK_SO_SP_mSQ_ST_bEUlT_E_NS1_11comp_targetILNS1_3genE2ELNS1_11target_archE906ELNS1_3gpuE6ELNS1_3repE0EEENS1_30default_config_static_selectorELNS0_4arch9wavefront6targetE1EEEvSN_
	.globl	_ZN7rocprim17ROCPRIM_400000_NS6detail17trampoline_kernelINS0_14default_configENS1_27lower_bound_config_selectorIslEEZNS1_14transform_implILb0ES3_S5_N6thrust23THRUST_200600_302600_NS17counting_iteratorIsNS8_11use_defaultESA_SA_EEPlZNS1_13binary_searchIS3_S5_PsSB_SC_NS1_21lower_bound_search_opENS8_6detail16wrapped_functionI11custom_lessbEEEE10hipError_tPvRmT1_T2_T3_mmT4_T5_P12ihipStream_tbEUlRKsE_EESK_SO_SP_mSQ_ST_bEUlT_E_NS1_11comp_targetILNS1_3genE2ELNS1_11target_archE906ELNS1_3gpuE6ELNS1_3repE0EEENS1_30default_config_static_selectorELNS0_4arch9wavefront6targetE1EEEvSN_
	.p2align	8
	.type	_ZN7rocprim17ROCPRIM_400000_NS6detail17trampoline_kernelINS0_14default_configENS1_27lower_bound_config_selectorIslEEZNS1_14transform_implILb0ES3_S5_N6thrust23THRUST_200600_302600_NS17counting_iteratorIsNS8_11use_defaultESA_SA_EEPlZNS1_13binary_searchIS3_S5_PsSB_SC_NS1_21lower_bound_search_opENS8_6detail16wrapped_functionI11custom_lessbEEEE10hipError_tPvRmT1_T2_T3_mmT4_T5_P12ihipStream_tbEUlRKsE_EESK_SO_SP_mSQ_ST_bEUlT_E_NS1_11comp_targetILNS1_3genE2ELNS1_11target_archE906ELNS1_3gpuE6ELNS1_3repE0EEENS1_30default_config_static_selectorELNS0_4arch9wavefront6targetE1EEEvSN_,@function
_ZN7rocprim17ROCPRIM_400000_NS6detail17trampoline_kernelINS0_14default_configENS1_27lower_bound_config_selectorIslEEZNS1_14transform_implILb0ES3_S5_N6thrust23THRUST_200600_302600_NS17counting_iteratorIsNS8_11use_defaultESA_SA_EEPlZNS1_13binary_searchIS3_S5_PsSB_SC_NS1_21lower_bound_search_opENS8_6detail16wrapped_functionI11custom_lessbEEEE10hipError_tPvRmT1_T2_T3_mmT4_T5_P12ihipStream_tbEUlRKsE_EESK_SO_SP_mSQ_ST_bEUlT_E_NS1_11comp_targetILNS1_3genE2ELNS1_11target_archE906ELNS1_3gpuE6ELNS1_3repE0EEENS1_30default_config_static_selectorELNS0_4arch9wavefront6targetE1EEEvSN_: ; @_ZN7rocprim17ROCPRIM_400000_NS6detail17trampoline_kernelINS0_14default_configENS1_27lower_bound_config_selectorIslEEZNS1_14transform_implILb0ES3_S5_N6thrust23THRUST_200600_302600_NS17counting_iteratorIsNS8_11use_defaultESA_SA_EEPlZNS1_13binary_searchIS3_S5_PsSB_SC_NS1_21lower_bound_search_opENS8_6detail16wrapped_functionI11custom_lessbEEEE10hipError_tPvRmT1_T2_T3_mmT4_T5_P12ihipStream_tbEUlRKsE_EESK_SO_SP_mSQ_ST_bEUlT_E_NS1_11comp_targetILNS1_3genE2ELNS1_11target_archE906ELNS1_3gpuE6ELNS1_3repE0EEENS1_30default_config_static_selectorELNS0_4arch9wavefront6targetE1EEEvSN_
; %bb.0:
	.section	.rodata,"a",@progbits
	.p2align	6, 0x0
	.amdhsa_kernel _ZN7rocprim17ROCPRIM_400000_NS6detail17trampoline_kernelINS0_14default_configENS1_27lower_bound_config_selectorIslEEZNS1_14transform_implILb0ES3_S5_N6thrust23THRUST_200600_302600_NS17counting_iteratorIsNS8_11use_defaultESA_SA_EEPlZNS1_13binary_searchIS3_S5_PsSB_SC_NS1_21lower_bound_search_opENS8_6detail16wrapped_functionI11custom_lessbEEEE10hipError_tPvRmT1_T2_T3_mmT4_T5_P12ihipStream_tbEUlRKsE_EESK_SO_SP_mSQ_ST_bEUlT_E_NS1_11comp_targetILNS1_3genE2ELNS1_11target_archE906ELNS1_3gpuE6ELNS1_3repE0EEENS1_30default_config_static_selectorELNS0_4arch9wavefront6targetE1EEEvSN_
		.amdhsa_group_segment_fixed_size 0
		.amdhsa_private_segment_fixed_size 0
		.amdhsa_kernarg_size 56
		.amdhsa_user_sgpr_count 6
		.amdhsa_user_sgpr_private_segment_buffer 1
		.amdhsa_user_sgpr_dispatch_ptr 0
		.amdhsa_user_sgpr_queue_ptr 0
		.amdhsa_user_sgpr_kernarg_segment_ptr 1
		.amdhsa_user_sgpr_dispatch_id 0
		.amdhsa_user_sgpr_flat_scratch_init 0
		.amdhsa_user_sgpr_kernarg_preload_length 0
		.amdhsa_user_sgpr_kernarg_preload_offset 0
		.amdhsa_user_sgpr_private_segment_size 0
		.amdhsa_uses_dynamic_stack 0
		.amdhsa_system_sgpr_private_segment_wavefront_offset 0
		.amdhsa_system_sgpr_workgroup_id_x 1
		.amdhsa_system_sgpr_workgroup_id_y 0
		.amdhsa_system_sgpr_workgroup_id_z 0
		.amdhsa_system_sgpr_workgroup_info 0
		.amdhsa_system_vgpr_workitem_id 0
		.amdhsa_next_free_vgpr 1
		.amdhsa_next_free_sgpr 0
		.amdhsa_accum_offset 4
		.amdhsa_reserve_vcc 0
		.amdhsa_reserve_flat_scratch 0
		.amdhsa_float_round_mode_32 0
		.amdhsa_float_round_mode_16_64 0
		.amdhsa_float_denorm_mode_32 3
		.amdhsa_float_denorm_mode_16_64 3
		.amdhsa_dx10_clamp 1
		.amdhsa_ieee_mode 1
		.amdhsa_fp16_overflow 0
		.amdhsa_tg_split 0
		.amdhsa_exception_fp_ieee_invalid_op 0
		.amdhsa_exception_fp_denorm_src 0
		.amdhsa_exception_fp_ieee_div_zero 0
		.amdhsa_exception_fp_ieee_overflow 0
		.amdhsa_exception_fp_ieee_underflow 0
		.amdhsa_exception_fp_ieee_inexact 0
		.amdhsa_exception_int_div_zero 0
	.end_amdhsa_kernel
	.section	.text._ZN7rocprim17ROCPRIM_400000_NS6detail17trampoline_kernelINS0_14default_configENS1_27lower_bound_config_selectorIslEEZNS1_14transform_implILb0ES3_S5_N6thrust23THRUST_200600_302600_NS17counting_iteratorIsNS8_11use_defaultESA_SA_EEPlZNS1_13binary_searchIS3_S5_PsSB_SC_NS1_21lower_bound_search_opENS8_6detail16wrapped_functionI11custom_lessbEEEE10hipError_tPvRmT1_T2_T3_mmT4_T5_P12ihipStream_tbEUlRKsE_EESK_SO_SP_mSQ_ST_bEUlT_E_NS1_11comp_targetILNS1_3genE2ELNS1_11target_archE906ELNS1_3gpuE6ELNS1_3repE0EEENS1_30default_config_static_selectorELNS0_4arch9wavefront6targetE1EEEvSN_,"axG",@progbits,_ZN7rocprim17ROCPRIM_400000_NS6detail17trampoline_kernelINS0_14default_configENS1_27lower_bound_config_selectorIslEEZNS1_14transform_implILb0ES3_S5_N6thrust23THRUST_200600_302600_NS17counting_iteratorIsNS8_11use_defaultESA_SA_EEPlZNS1_13binary_searchIS3_S5_PsSB_SC_NS1_21lower_bound_search_opENS8_6detail16wrapped_functionI11custom_lessbEEEE10hipError_tPvRmT1_T2_T3_mmT4_T5_P12ihipStream_tbEUlRKsE_EESK_SO_SP_mSQ_ST_bEUlT_E_NS1_11comp_targetILNS1_3genE2ELNS1_11target_archE906ELNS1_3gpuE6ELNS1_3repE0EEENS1_30default_config_static_selectorELNS0_4arch9wavefront6targetE1EEEvSN_,comdat
.Lfunc_end83:
	.size	_ZN7rocprim17ROCPRIM_400000_NS6detail17trampoline_kernelINS0_14default_configENS1_27lower_bound_config_selectorIslEEZNS1_14transform_implILb0ES3_S5_N6thrust23THRUST_200600_302600_NS17counting_iteratorIsNS8_11use_defaultESA_SA_EEPlZNS1_13binary_searchIS3_S5_PsSB_SC_NS1_21lower_bound_search_opENS8_6detail16wrapped_functionI11custom_lessbEEEE10hipError_tPvRmT1_T2_T3_mmT4_T5_P12ihipStream_tbEUlRKsE_EESK_SO_SP_mSQ_ST_bEUlT_E_NS1_11comp_targetILNS1_3genE2ELNS1_11target_archE906ELNS1_3gpuE6ELNS1_3repE0EEENS1_30default_config_static_selectorELNS0_4arch9wavefront6targetE1EEEvSN_, .Lfunc_end83-_ZN7rocprim17ROCPRIM_400000_NS6detail17trampoline_kernelINS0_14default_configENS1_27lower_bound_config_selectorIslEEZNS1_14transform_implILb0ES3_S5_N6thrust23THRUST_200600_302600_NS17counting_iteratorIsNS8_11use_defaultESA_SA_EEPlZNS1_13binary_searchIS3_S5_PsSB_SC_NS1_21lower_bound_search_opENS8_6detail16wrapped_functionI11custom_lessbEEEE10hipError_tPvRmT1_T2_T3_mmT4_T5_P12ihipStream_tbEUlRKsE_EESK_SO_SP_mSQ_ST_bEUlT_E_NS1_11comp_targetILNS1_3genE2ELNS1_11target_archE906ELNS1_3gpuE6ELNS1_3repE0EEENS1_30default_config_static_selectorELNS0_4arch9wavefront6targetE1EEEvSN_
                                        ; -- End function
	.section	.AMDGPU.csdata,"",@progbits
; Kernel info:
; codeLenInByte = 0
; NumSgprs: 4
; NumVgprs: 0
; NumAgprs: 0
; TotalNumVgprs: 0
; ScratchSize: 0
; MemoryBound: 0
; FloatMode: 240
; IeeeMode: 1
; LDSByteSize: 0 bytes/workgroup (compile time only)
; SGPRBlocks: 0
; VGPRBlocks: 0
; NumSGPRsForWavesPerEU: 4
; NumVGPRsForWavesPerEU: 1
; AccumOffset: 4
; Occupancy: 8
; WaveLimiterHint : 0
; COMPUTE_PGM_RSRC2:SCRATCH_EN: 0
; COMPUTE_PGM_RSRC2:USER_SGPR: 6
; COMPUTE_PGM_RSRC2:TRAP_HANDLER: 0
; COMPUTE_PGM_RSRC2:TGID_X_EN: 1
; COMPUTE_PGM_RSRC2:TGID_Y_EN: 0
; COMPUTE_PGM_RSRC2:TGID_Z_EN: 0
; COMPUTE_PGM_RSRC2:TIDIG_COMP_CNT: 0
; COMPUTE_PGM_RSRC3_GFX90A:ACCUM_OFFSET: 0
; COMPUTE_PGM_RSRC3_GFX90A:TG_SPLIT: 0
	.section	.text._ZN7rocprim17ROCPRIM_400000_NS6detail17trampoline_kernelINS0_14default_configENS1_27lower_bound_config_selectorIslEEZNS1_14transform_implILb0ES3_S5_N6thrust23THRUST_200600_302600_NS17counting_iteratorIsNS8_11use_defaultESA_SA_EEPlZNS1_13binary_searchIS3_S5_PsSB_SC_NS1_21lower_bound_search_opENS8_6detail16wrapped_functionI11custom_lessbEEEE10hipError_tPvRmT1_T2_T3_mmT4_T5_P12ihipStream_tbEUlRKsE_EESK_SO_SP_mSQ_ST_bEUlT_E_NS1_11comp_targetILNS1_3genE10ELNS1_11target_archE1201ELNS1_3gpuE5ELNS1_3repE0EEENS1_30default_config_static_selectorELNS0_4arch9wavefront6targetE1EEEvSN_,"axG",@progbits,_ZN7rocprim17ROCPRIM_400000_NS6detail17trampoline_kernelINS0_14default_configENS1_27lower_bound_config_selectorIslEEZNS1_14transform_implILb0ES3_S5_N6thrust23THRUST_200600_302600_NS17counting_iteratorIsNS8_11use_defaultESA_SA_EEPlZNS1_13binary_searchIS3_S5_PsSB_SC_NS1_21lower_bound_search_opENS8_6detail16wrapped_functionI11custom_lessbEEEE10hipError_tPvRmT1_T2_T3_mmT4_T5_P12ihipStream_tbEUlRKsE_EESK_SO_SP_mSQ_ST_bEUlT_E_NS1_11comp_targetILNS1_3genE10ELNS1_11target_archE1201ELNS1_3gpuE5ELNS1_3repE0EEENS1_30default_config_static_selectorELNS0_4arch9wavefront6targetE1EEEvSN_,comdat
	.protected	_ZN7rocprim17ROCPRIM_400000_NS6detail17trampoline_kernelINS0_14default_configENS1_27lower_bound_config_selectorIslEEZNS1_14transform_implILb0ES3_S5_N6thrust23THRUST_200600_302600_NS17counting_iteratorIsNS8_11use_defaultESA_SA_EEPlZNS1_13binary_searchIS3_S5_PsSB_SC_NS1_21lower_bound_search_opENS8_6detail16wrapped_functionI11custom_lessbEEEE10hipError_tPvRmT1_T2_T3_mmT4_T5_P12ihipStream_tbEUlRKsE_EESK_SO_SP_mSQ_ST_bEUlT_E_NS1_11comp_targetILNS1_3genE10ELNS1_11target_archE1201ELNS1_3gpuE5ELNS1_3repE0EEENS1_30default_config_static_selectorELNS0_4arch9wavefront6targetE1EEEvSN_ ; -- Begin function _ZN7rocprim17ROCPRIM_400000_NS6detail17trampoline_kernelINS0_14default_configENS1_27lower_bound_config_selectorIslEEZNS1_14transform_implILb0ES3_S5_N6thrust23THRUST_200600_302600_NS17counting_iteratorIsNS8_11use_defaultESA_SA_EEPlZNS1_13binary_searchIS3_S5_PsSB_SC_NS1_21lower_bound_search_opENS8_6detail16wrapped_functionI11custom_lessbEEEE10hipError_tPvRmT1_T2_T3_mmT4_T5_P12ihipStream_tbEUlRKsE_EESK_SO_SP_mSQ_ST_bEUlT_E_NS1_11comp_targetILNS1_3genE10ELNS1_11target_archE1201ELNS1_3gpuE5ELNS1_3repE0EEENS1_30default_config_static_selectorELNS0_4arch9wavefront6targetE1EEEvSN_
	.globl	_ZN7rocprim17ROCPRIM_400000_NS6detail17trampoline_kernelINS0_14default_configENS1_27lower_bound_config_selectorIslEEZNS1_14transform_implILb0ES3_S5_N6thrust23THRUST_200600_302600_NS17counting_iteratorIsNS8_11use_defaultESA_SA_EEPlZNS1_13binary_searchIS3_S5_PsSB_SC_NS1_21lower_bound_search_opENS8_6detail16wrapped_functionI11custom_lessbEEEE10hipError_tPvRmT1_T2_T3_mmT4_T5_P12ihipStream_tbEUlRKsE_EESK_SO_SP_mSQ_ST_bEUlT_E_NS1_11comp_targetILNS1_3genE10ELNS1_11target_archE1201ELNS1_3gpuE5ELNS1_3repE0EEENS1_30default_config_static_selectorELNS0_4arch9wavefront6targetE1EEEvSN_
	.p2align	8
	.type	_ZN7rocprim17ROCPRIM_400000_NS6detail17trampoline_kernelINS0_14default_configENS1_27lower_bound_config_selectorIslEEZNS1_14transform_implILb0ES3_S5_N6thrust23THRUST_200600_302600_NS17counting_iteratorIsNS8_11use_defaultESA_SA_EEPlZNS1_13binary_searchIS3_S5_PsSB_SC_NS1_21lower_bound_search_opENS8_6detail16wrapped_functionI11custom_lessbEEEE10hipError_tPvRmT1_T2_T3_mmT4_T5_P12ihipStream_tbEUlRKsE_EESK_SO_SP_mSQ_ST_bEUlT_E_NS1_11comp_targetILNS1_3genE10ELNS1_11target_archE1201ELNS1_3gpuE5ELNS1_3repE0EEENS1_30default_config_static_selectorELNS0_4arch9wavefront6targetE1EEEvSN_,@function
_ZN7rocprim17ROCPRIM_400000_NS6detail17trampoline_kernelINS0_14default_configENS1_27lower_bound_config_selectorIslEEZNS1_14transform_implILb0ES3_S5_N6thrust23THRUST_200600_302600_NS17counting_iteratorIsNS8_11use_defaultESA_SA_EEPlZNS1_13binary_searchIS3_S5_PsSB_SC_NS1_21lower_bound_search_opENS8_6detail16wrapped_functionI11custom_lessbEEEE10hipError_tPvRmT1_T2_T3_mmT4_T5_P12ihipStream_tbEUlRKsE_EESK_SO_SP_mSQ_ST_bEUlT_E_NS1_11comp_targetILNS1_3genE10ELNS1_11target_archE1201ELNS1_3gpuE5ELNS1_3repE0EEENS1_30default_config_static_selectorELNS0_4arch9wavefront6targetE1EEEvSN_: ; @_ZN7rocprim17ROCPRIM_400000_NS6detail17trampoline_kernelINS0_14default_configENS1_27lower_bound_config_selectorIslEEZNS1_14transform_implILb0ES3_S5_N6thrust23THRUST_200600_302600_NS17counting_iteratorIsNS8_11use_defaultESA_SA_EEPlZNS1_13binary_searchIS3_S5_PsSB_SC_NS1_21lower_bound_search_opENS8_6detail16wrapped_functionI11custom_lessbEEEE10hipError_tPvRmT1_T2_T3_mmT4_T5_P12ihipStream_tbEUlRKsE_EESK_SO_SP_mSQ_ST_bEUlT_E_NS1_11comp_targetILNS1_3genE10ELNS1_11target_archE1201ELNS1_3gpuE5ELNS1_3repE0EEENS1_30default_config_static_selectorELNS0_4arch9wavefront6targetE1EEEvSN_
; %bb.0:
	.section	.rodata,"a",@progbits
	.p2align	6, 0x0
	.amdhsa_kernel _ZN7rocprim17ROCPRIM_400000_NS6detail17trampoline_kernelINS0_14default_configENS1_27lower_bound_config_selectorIslEEZNS1_14transform_implILb0ES3_S5_N6thrust23THRUST_200600_302600_NS17counting_iteratorIsNS8_11use_defaultESA_SA_EEPlZNS1_13binary_searchIS3_S5_PsSB_SC_NS1_21lower_bound_search_opENS8_6detail16wrapped_functionI11custom_lessbEEEE10hipError_tPvRmT1_T2_T3_mmT4_T5_P12ihipStream_tbEUlRKsE_EESK_SO_SP_mSQ_ST_bEUlT_E_NS1_11comp_targetILNS1_3genE10ELNS1_11target_archE1201ELNS1_3gpuE5ELNS1_3repE0EEENS1_30default_config_static_selectorELNS0_4arch9wavefront6targetE1EEEvSN_
		.amdhsa_group_segment_fixed_size 0
		.amdhsa_private_segment_fixed_size 0
		.amdhsa_kernarg_size 56
		.amdhsa_user_sgpr_count 6
		.amdhsa_user_sgpr_private_segment_buffer 1
		.amdhsa_user_sgpr_dispatch_ptr 0
		.amdhsa_user_sgpr_queue_ptr 0
		.amdhsa_user_sgpr_kernarg_segment_ptr 1
		.amdhsa_user_sgpr_dispatch_id 0
		.amdhsa_user_sgpr_flat_scratch_init 0
		.amdhsa_user_sgpr_kernarg_preload_length 0
		.amdhsa_user_sgpr_kernarg_preload_offset 0
		.amdhsa_user_sgpr_private_segment_size 0
		.amdhsa_uses_dynamic_stack 0
		.amdhsa_system_sgpr_private_segment_wavefront_offset 0
		.amdhsa_system_sgpr_workgroup_id_x 1
		.amdhsa_system_sgpr_workgroup_id_y 0
		.amdhsa_system_sgpr_workgroup_id_z 0
		.amdhsa_system_sgpr_workgroup_info 0
		.amdhsa_system_vgpr_workitem_id 0
		.amdhsa_next_free_vgpr 1
		.amdhsa_next_free_sgpr 0
		.amdhsa_accum_offset 4
		.amdhsa_reserve_vcc 0
		.amdhsa_reserve_flat_scratch 0
		.amdhsa_float_round_mode_32 0
		.amdhsa_float_round_mode_16_64 0
		.amdhsa_float_denorm_mode_32 3
		.amdhsa_float_denorm_mode_16_64 3
		.amdhsa_dx10_clamp 1
		.amdhsa_ieee_mode 1
		.amdhsa_fp16_overflow 0
		.amdhsa_tg_split 0
		.amdhsa_exception_fp_ieee_invalid_op 0
		.amdhsa_exception_fp_denorm_src 0
		.amdhsa_exception_fp_ieee_div_zero 0
		.amdhsa_exception_fp_ieee_overflow 0
		.amdhsa_exception_fp_ieee_underflow 0
		.amdhsa_exception_fp_ieee_inexact 0
		.amdhsa_exception_int_div_zero 0
	.end_amdhsa_kernel
	.section	.text._ZN7rocprim17ROCPRIM_400000_NS6detail17trampoline_kernelINS0_14default_configENS1_27lower_bound_config_selectorIslEEZNS1_14transform_implILb0ES3_S5_N6thrust23THRUST_200600_302600_NS17counting_iteratorIsNS8_11use_defaultESA_SA_EEPlZNS1_13binary_searchIS3_S5_PsSB_SC_NS1_21lower_bound_search_opENS8_6detail16wrapped_functionI11custom_lessbEEEE10hipError_tPvRmT1_T2_T3_mmT4_T5_P12ihipStream_tbEUlRKsE_EESK_SO_SP_mSQ_ST_bEUlT_E_NS1_11comp_targetILNS1_3genE10ELNS1_11target_archE1201ELNS1_3gpuE5ELNS1_3repE0EEENS1_30default_config_static_selectorELNS0_4arch9wavefront6targetE1EEEvSN_,"axG",@progbits,_ZN7rocprim17ROCPRIM_400000_NS6detail17trampoline_kernelINS0_14default_configENS1_27lower_bound_config_selectorIslEEZNS1_14transform_implILb0ES3_S5_N6thrust23THRUST_200600_302600_NS17counting_iteratorIsNS8_11use_defaultESA_SA_EEPlZNS1_13binary_searchIS3_S5_PsSB_SC_NS1_21lower_bound_search_opENS8_6detail16wrapped_functionI11custom_lessbEEEE10hipError_tPvRmT1_T2_T3_mmT4_T5_P12ihipStream_tbEUlRKsE_EESK_SO_SP_mSQ_ST_bEUlT_E_NS1_11comp_targetILNS1_3genE10ELNS1_11target_archE1201ELNS1_3gpuE5ELNS1_3repE0EEENS1_30default_config_static_selectorELNS0_4arch9wavefront6targetE1EEEvSN_,comdat
.Lfunc_end84:
	.size	_ZN7rocprim17ROCPRIM_400000_NS6detail17trampoline_kernelINS0_14default_configENS1_27lower_bound_config_selectorIslEEZNS1_14transform_implILb0ES3_S5_N6thrust23THRUST_200600_302600_NS17counting_iteratorIsNS8_11use_defaultESA_SA_EEPlZNS1_13binary_searchIS3_S5_PsSB_SC_NS1_21lower_bound_search_opENS8_6detail16wrapped_functionI11custom_lessbEEEE10hipError_tPvRmT1_T2_T3_mmT4_T5_P12ihipStream_tbEUlRKsE_EESK_SO_SP_mSQ_ST_bEUlT_E_NS1_11comp_targetILNS1_3genE10ELNS1_11target_archE1201ELNS1_3gpuE5ELNS1_3repE0EEENS1_30default_config_static_selectorELNS0_4arch9wavefront6targetE1EEEvSN_, .Lfunc_end84-_ZN7rocprim17ROCPRIM_400000_NS6detail17trampoline_kernelINS0_14default_configENS1_27lower_bound_config_selectorIslEEZNS1_14transform_implILb0ES3_S5_N6thrust23THRUST_200600_302600_NS17counting_iteratorIsNS8_11use_defaultESA_SA_EEPlZNS1_13binary_searchIS3_S5_PsSB_SC_NS1_21lower_bound_search_opENS8_6detail16wrapped_functionI11custom_lessbEEEE10hipError_tPvRmT1_T2_T3_mmT4_T5_P12ihipStream_tbEUlRKsE_EESK_SO_SP_mSQ_ST_bEUlT_E_NS1_11comp_targetILNS1_3genE10ELNS1_11target_archE1201ELNS1_3gpuE5ELNS1_3repE0EEENS1_30default_config_static_selectorELNS0_4arch9wavefront6targetE1EEEvSN_
                                        ; -- End function
	.section	.AMDGPU.csdata,"",@progbits
; Kernel info:
; codeLenInByte = 0
; NumSgprs: 4
; NumVgprs: 0
; NumAgprs: 0
; TotalNumVgprs: 0
; ScratchSize: 0
; MemoryBound: 0
; FloatMode: 240
; IeeeMode: 1
; LDSByteSize: 0 bytes/workgroup (compile time only)
; SGPRBlocks: 0
; VGPRBlocks: 0
; NumSGPRsForWavesPerEU: 4
; NumVGPRsForWavesPerEU: 1
; AccumOffset: 4
; Occupancy: 8
; WaveLimiterHint : 0
; COMPUTE_PGM_RSRC2:SCRATCH_EN: 0
; COMPUTE_PGM_RSRC2:USER_SGPR: 6
; COMPUTE_PGM_RSRC2:TRAP_HANDLER: 0
; COMPUTE_PGM_RSRC2:TGID_X_EN: 1
; COMPUTE_PGM_RSRC2:TGID_Y_EN: 0
; COMPUTE_PGM_RSRC2:TGID_Z_EN: 0
; COMPUTE_PGM_RSRC2:TIDIG_COMP_CNT: 0
; COMPUTE_PGM_RSRC3_GFX90A:ACCUM_OFFSET: 0
; COMPUTE_PGM_RSRC3_GFX90A:TG_SPLIT: 0
	.section	.text._ZN7rocprim17ROCPRIM_400000_NS6detail17trampoline_kernelINS0_14default_configENS1_27lower_bound_config_selectorIslEEZNS1_14transform_implILb0ES3_S5_N6thrust23THRUST_200600_302600_NS17counting_iteratorIsNS8_11use_defaultESA_SA_EEPlZNS1_13binary_searchIS3_S5_PsSB_SC_NS1_21lower_bound_search_opENS8_6detail16wrapped_functionI11custom_lessbEEEE10hipError_tPvRmT1_T2_T3_mmT4_T5_P12ihipStream_tbEUlRKsE_EESK_SO_SP_mSQ_ST_bEUlT_E_NS1_11comp_targetILNS1_3genE10ELNS1_11target_archE1200ELNS1_3gpuE4ELNS1_3repE0EEENS1_30default_config_static_selectorELNS0_4arch9wavefront6targetE1EEEvSN_,"axG",@progbits,_ZN7rocprim17ROCPRIM_400000_NS6detail17trampoline_kernelINS0_14default_configENS1_27lower_bound_config_selectorIslEEZNS1_14transform_implILb0ES3_S5_N6thrust23THRUST_200600_302600_NS17counting_iteratorIsNS8_11use_defaultESA_SA_EEPlZNS1_13binary_searchIS3_S5_PsSB_SC_NS1_21lower_bound_search_opENS8_6detail16wrapped_functionI11custom_lessbEEEE10hipError_tPvRmT1_T2_T3_mmT4_T5_P12ihipStream_tbEUlRKsE_EESK_SO_SP_mSQ_ST_bEUlT_E_NS1_11comp_targetILNS1_3genE10ELNS1_11target_archE1200ELNS1_3gpuE4ELNS1_3repE0EEENS1_30default_config_static_selectorELNS0_4arch9wavefront6targetE1EEEvSN_,comdat
	.protected	_ZN7rocprim17ROCPRIM_400000_NS6detail17trampoline_kernelINS0_14default_configENS1_27lower_bound_config_selectorIslEEZNS1_14transform_implILb0ES3_S5_N6thrust23THRUST_200600_302600_NS17counting_iteratorIsNS8_11use_defaultESA_SA_EEPlZNS1_13binary_searchIS3_S5_PsSB_SC_NS1_21lower_bound_search_opENS8_6detail16wrapped_functionI11custom_lessbEEEE10hipError_tPvRmT1_T2_T3_mmT4_T5_P12ihipStream_tbEUlRKsE_EESK_SO_SP_mSQ_ST_bEUlT_E_NS1_11comp_targetILNS1_3genE10ELNS1_11target_archE1200ELNS1_3gpuE4ELNS1_3repE0EEENS1_30default_config_static_selectorELNS0_4arch9wavefront6targetE1EEEvSN_ ; -- Begin function _ZN7rocprim17ROCPRIM_400000_NS6detail17trampoline_kernelINS0_14default_configENS1_27lower_bound_config_selectorIslEEZNS1_14transform_implILb0ES3_S5_N6thrust23THRUST_200600_302600_NS17counting_iteratorIsNS8_11use_defaultESA_SA_EEPlZNS1_13binary_searchIS3_S5_PsSB_SC_NS1_21lower_bound_search_opENS8_6detail16wrapped_functionI11custom_lessbEEEE10hipError_tPvRmT1_T2_T3_mmT4_T5_P12ihipStream_tbEUlRKsE_EESK_SO_SP_mSQ_ST_bEUlT_E_NS1_11comp_targetILNS1_3genE10ELNS1_11target_archE1200ELNS1_3gpuE4ELNS1_3repE0EEENS1_30default_config_static_selectorELNS0_4arch9wavefront6targetE1EEEvSN_
	.globl	_ZN7rocprim17ROCPRIM_400000_NS6detail17trampoline_kernelINS0_14default_configENS1_27lower_bound_config_selectorIslEEZNS1_14transform_implILb0ES3_S5_N6thrust23THRUST_200600_302600_NS17counting_iteratorIsNS8_11use_defaultESA_SA_EEPlZNS1_13binary_searchIS3_S5_PsSB_SC_NS1_21lower_bound_search_opENS8_6detail16wrapped_functionI11custom_lessbEEEE10hipError_tPvRmT1_T2_T3_mmT4_T5_P12ihipStream_tbEUlRKsE_EESK_SO_SP_mSQ_ST_bEUlT_E_NS1_11comp_targetILNS1_3genE10ELNS1_11target_archE1200ELNS1_3gpuE4ELNS1_3repE0EEENS1_30default_config_static_selectorELNS0_4arch9wavefront6targetE1EEEvSN_
	.p2align	8
	.type	_ZN7rocprim17ROCPRIM_400000_NS6detail17trampoline_kernelINS0_14default_configENS1_27lower_bound_config_selectorIslEEZNS1_14transform_implILb0ES3_S5_N6thrust23THRUST_200600_302600_NS17counting_iteratorIsNS8_11use_defaultESA_SA_EEPlZNS1_13binary_searchIS3_S5_PsSB_SC_NS1_21lower_bound_search_opENS8_6detail16wrapped_functionI11custom_lessbEEEE10hipError_tPvRmT1_T2_T3_mmT4_T5_P12ihipStream_tbEUlRKsE_EESK_SO_SP_mSQ_ST_bEUlT_E_NS1_11comp_targetILNS1_3genE10ELNS1_11target_archE1200ELNS1_3gpuE4ELNS1_3repE0EEENS1_30default_config_static_selectorELNS0_4arch9wavefront6targetE1EEEvSN_,@function
_ZN7rocprim17ROCPRIM_400000_NS6detail17trampoline_kernelINS0_14default_configENS1_27lower_bound_config_selectorIslEEZNS1_14transform_implILb0ES3_S5_N6thrust23THRUST_200600_302600_NS17counting_iteratorIsNS8_11use_defaultESA_SA_EEPlZNS1_13binary_searchIS3_S5_PsSB_SC_NS1_21lower_bound_search_opENS8_6detail16wrapped_functionI11custom_lessbEEEE10hipError_tPvRmT1_T2_T3_mmT4_T5_P12ihipStream_tbEUlRKsE_EESK_SO_SP_mSQ_ST_bEUlT_E_NS1_11comp_targetILNS1_3genE10ELNS1_11target_archE1200ELNS1_3gpuE4ELNS1_3repE0EEENS1_30default_config_static_selectorELNS0_4arch9wavefront6targetE1EEEvSN_: ; @_ZN7rocprim17ROCPRIM_400000_NS6detail17trampoline_kernelINS0_14default_configENS1_27lower_bound_config_selectorIslEEZNS1_14transform_implILb0ES3_S5_N6thrust23THRUST_200600_302600_NS17counting_iteratorIsNS8_11use_defaultESA_SA_EEPlZNS1_13binary_searchIS3_S5_PsSB_SC_NS1_21lower_bound_search_opENS8_6detail16wrapped_functionI11custom_lessbEEEE10hipError_tPvRmT1_T2_T3_mmT4_T5_P12ihipStream_tbEUlRKsE_EESK_SO_SP_mSQ_ST_bEUlT_E_NS1_11comp_targetILNS1_3genE10ELNS1_11target_archE1200ELNS1_3gpuE4ELNS1_3repE0EEENS1_30default_config_static_selectorELNS0_4arch9wavefront6targetE1EEEvSN_
; %bb.0:
	.section	.rodata,"a",@progbits
	.p2align	6, 0x0
	.amdhsa_kernel _ZN7rocprim17ROCPRIM_400000_NS6detail17trampoline_kernelINS0_14default_configENS1_27lower_bound_config_selectorIslEEZNS1_14transform_implILb0ES3_S5_N6thrust23THRUST_200600_302600_NS17counting_iteratorIsNS8_11use_defaultESA_SA_EEPlZNS1_13binary_searchIS3_S5_PsSB_SC_NS1_21lower_bound_search_opENS8_6detail16wrapped_functionI11custom_lessbEEEE10hipError_tPvRmT1_T2_T3_mmT4_T5_P12ihipStream_tbEUlRKsE_EESK_SO_SP_mSQ_ST_bEUlT_E_NS1_11comp_targetILNS1_3genE10ELNS1_11target_archE1200ELNS1_3gpuE4ELNS1_3repE0EEENS1_30default_config_static_selectorELNS0_4arch9wavefront6targetE1EEEvSN_
		.amdhsa_group_segment_fixed_size 0
		.amdhsa_private_segment_fixed_size 0
		.amdhsa_kernarg_size 56
		.amdhsa_user_sgpr_count 6
		.amdhsa_user_sgpr_private_segment_buffer 1
		.amdhsa_user_sgpr_dispatch_ptr 0
		.amdhsa_user_sgpr_queue_ptr 0
		.amdhsa_user_sgpr_kernarg_segment_ptr 1
		.amdhsa_user_sgpr_dispatch_id 0
		.amdhsa_user_sgpr_flat_scratch_init 0
		.amdhsa_user_sgpr_kernarg_preload_length 0
		.amdhsa_user_sgpr_kernarg_preload_offset 0
		.amdhsa_user_sgpr_private_segment_size 0
		.amdhsa_uses_dynamic_stack 0
		.amdhsa_system_sgpr_private_segment_wavefront_offset 0
		.amdhsa_system_sgpr_workgroup_id_x 1
		.amdhsa_system_sgpr_workgroup_id_y 0
		.amdhsa_system_sgpr_workgroup_id_z 0
		.amdhsa_system_sgpr_workgroup_info 0
		.amdhsa_system_vgpr_workitem_id 0
		.amdhsa_next_free_vgpr 1
		.amdhsa_next_free_sgpr 0
		.amdhsa_accum_offset 4
		.amdhsa_reserve_vcc 0
		.amdhsa_reserve_flat_scratch 0
		.amdhsa_float_round_mode_32 0
		.amdhsa_float_round_mode_16_64 0
		.amdhsa_float_denorm_mode_32 3
		.amdhsa_float_denorm_mode_16_64 3
		.amdhsa_dx10_clamp 1
		.amdhsa_ieee_mode 1
		.amdhsa_fp16_overflow 0
		.amdhsa_tg_split 0
		.amdhsa_exception_fp_ieee_invalid_op 0
		.amdhsa_exception_fp_denorm_src 0
		.amdhsa_exception_fp_ieee_div_zero 0
		.amdhsa_exception_fp_ieee_overflow 0
		.amdhsa_exception_fp_ieee_underflow 0
		.amdhsa_exception_fp_ieee_inexact 0
		.amdhsa_exception_int_div_zero 0
	.end_amdhsa_kernel
	.section	.text._ZN7rocprim17ROCPRIM_400000_NS6detail17trampoline_kernelINS0_14default_configENS1_27lower_bound_config_selectorIslEEZNS1_14transform_implILb0ES3_S5_N6thrust23THRUST_200600_302600_NS17counting_iteratorIsNS8_11use_defaultESA_SA_EEPlZNS1_13binary_searchIS3_S5_PsSB_SC_NS1_21lower_bound_search_opENS8_6detail16wrapped_functionI11custom_lessbEEEE10hipError_tPvRmT1_T2_T3_mmT4_T5_P12ihipStream_tbEUlRKsE_EESK_SO_SP_mSQ_ST_bEUlT_E_NS1_11comp_targetILNS1_3genE10ELNS1_11target_archE1200ELNS1_3gpuE4ELNS1_3repE0EEENS1_30default_config_static_selectorELNS0_4arch9wavefront6targetE1EEEvSN_,"axG",@progbits,_ZN7rocprim17ROCPRIM_400000_NS6detail17trampoline_kernelINS0_14default_configENS1_27lower_bound_config_selectorIslEEZNS1_14transform_implILb0ES3_S5_N6thrust23THRUST_200600_302600_NS17counting_iteratorIsNS8_11use_defaultESA_SA_EEPlZNS1_13binary_searchIS3_S5_PsSB_SC_NS1_21lower_bound_search_opENS8_6detail16wrapped_functionI11custom_lessbEEEE10hipError_tPvRmT1_T2_T3_mmT4_T5_P12ihipStream_tbEUlRKsE_EESK_SO_SP_mSQ_ST_bEUlT_E_NS1_11comp_targetILNS1_3genE10ELNS1_11target_archE1200ELNS1_3gpuE4ELNS1_3repE0EEENS1_30default_config_static_selectorELNS0_4arch9wavefront6targetE1EEEvSN_,comdat
.Lfunc_end85:
	.size	_ZN7rocprim17ROCPRIM_400000_NS6detail17trampoline_kernelINS0_14default_configENS1_27lower_bound_config_selectorIslEEZNS1_14transform_implILb0ES3_S5_N6thrust23THRUST_200600_302600_NS17counting_iteratorIsNS8_11use_defaultESA_SA_EEPlZNS1_13binary_searchIS3_S5_PsSB_SC_NS1_21lower_bound_search_opENS8_6detail16wrapped_functionI11custom_lessbEEEE10hipError_tPvRmT1_T2_T3_mmT4_T5_P12ihipStream_tbEUlRKsE_EESK_SO_SP_mSQ_ST_bEUlT_E_NS1_11comp_targetILNS1_3genE10ELNS1_11target_archE1200ELNS1_3gpuE4ELNS1_3repE0EEENS1_30default_config_static_selectorELNS0_4arch9wavefront6targetE1EEEvSN_, .Lfunc_end85-_ZN7rocprim17ROCPRIM_400000_NS6detail17trampoline_kernelINS0_14default_configENS1_27lower_bound_config_selectorIslEEZNS1_14transform_implILb0ES3_S5_N6thrust23THRUST_200600_302600_NS17counting_iteratorIsNS8_11use_defaultESA_SA_EEPlZNS1_13binary_searchIS3_S5_PsSB_SC_NS1_21lower_bound_search_opENS8_6detail16wrapped_functionI11custom_lessbEEEE10hipError_tPvRmT1_T2_T3_mmT4_T5_P12ihipStream_tbEUlRKsE_EESK_SO_SP_mSQ_ST_bEUlT_E_NS1_11comp_targetILNS1_3genE10ELNS1_11target_archE1200ELNS1_3gpuE4ELNS1_3repE0EEENS1_30default_config_static_selectorELNS0_4arch9wavefront6targetE1EEEvSN_
                                        ; -- End function
	.section	.AMDGPU.csdata,"",@progbits
; Kernel info:
; codeLenInByte = 0
; NumSgprs: 4
; NumVgprs: 0
; NumAgprs: 0
; TotalNumVgprs: 0
; ScratchSize: 0
; MemoryBound: 0
; FloatMode: 240
; IeeeMode: 1
; LDSByteSize: 0 bytes/workgroup (compile time only)
; SGPRBlocks: 0
; VGPRBlocks: 0
; NumSGPRsForWavesPerEU: 4
; NumVGPRsForWavesPerEU: 1
; AccumOffset: 4
; Occupancy: 8
; WaveLimiterHint : 0
; COMPUTE_PGM_RSRC2:SCRATCH_EN: 0
; COMPUTE_PGM_RSRC2:USER_SGPR: 6
; COMPUTE_PGM_RSRC2:TRAP_HANDLER: 0
; COMPUTE_PGM_RSRC2:TGID_X_EN: 1
; COMPUTE_PGM_RSRC2:TGID_Y_EN: 0
; COMPUTE_PGM_RSRC2:TGID_Z_EN: 0
; COMPUTE_PGM_RSRC2:TIDIG_COMP_CNT: 0
; COMPUTE_PGM_RSRC3_GFX90A:ACCUM_OFFSET: 0
; COMPUTE_PGM_RSRC3_GFX90A:TG_SPLIT: 0
	.section	.text._ZN7rocprim17ROCPRIM_400000_NS6detail17trampoline_kernelINS0_14default_configENS1_27lower_bound_config_selectorIslEEZNS1_14transform_implILb0ES3_S5_N6thrust23THRUST_200600_302600_NS17counting_iteratorIsNS8_11use_defaultESA_SA_EEPlZNS1_13binary_searchIS3_S5_PsSB_SC_NS1_21lower_bound_search_opENS8_6detail16wrapped_functionI11custom_lessbEEEE10hipError_tPvRmT1_T2_T3_mmT4_T5_P12ihipStream_tbEUlRKsE_EESK_SO_SP_mSQ_ST_bEUlT_E_NS1_11comp_targetILNS1_3genE9ELNS1_11target_archE1100ELNS1_3gpuE3ELNS1_3repE0EEENS1_30default_config_static_selectorELNS0_4arch9wavefront6targetE1EEEvSN_,"axG",@progbits,_ZN7rocprim17ROCPRIM_400000_NS6detail17trampoline_kernelINS0_14default_configENS1_27lower_bound_config_selectorIslEEZNS1_14transform_implILb0ES3_S5_N6thrust23THRUST_200600_302600_NS17counting_iteratorIsNS8_11use_defaultESA_SA_EEPlZNS1_13binary_searchIS3_S5_PsSB_SC_NS1_21lower_bound_search_opENS8_6detail16wrapped_functionI11custom_lessbEEEE10hipError_tPvRmT1_T2_T3_mmT4_T5_P12ihipStream_tbEUlRKsE_EESK_SO_SP_mSQ_ST_bEUlT_E_NS1_11comp_targetILNS1_3genE9ELNS1_11target_archE1100ELNS1_3gpuE3ELNS1_3repE0EEENS1_30default_config_static_selectorELNS0_4arch9wavefront6targetE1EEEvSN_,comdat
	.protected	_ZN7rocprim17ROCPRIM_400000_NS6detail17trampoline_kernelINS0_14default_configENS1_27lower_bound_config_selectorIslEEZNS1_14transform_implILb0ES3_S5_N6thrust23THRUST_200600_302600_NS17counting_iteratorIsNS8_11use_defaultESA_SA_EEPlZNS1_13binary_searchIS3_S5_PsSB_SC_NS1_21lower_bound_search_opENS8_6detail16wrapped_functionI11custom_lessbEEEE10hipError_tPvRmT1_T2_T3_mmT4_T5_P12ihipStream_tbEUlRKsE_EESK_SO_SP_mSQ_ST_bEUlT_E_NS1_11comp_targetILNS1_3genE9ELNS1_11target_archE1100ELNS1_3gpuE3ELNS1_3repE0EEENS1_30default_config_static_selectorELNS0_4arch9wavefront6targetE1EEEvSN_ ; -- Begin function _ZN7rocprim17ROCPRIM_400000_NS6detail17trampoline_kernelINS0_14default_configENS1_27lower_bound_config_selectorIslEEZNS1_14transform_implILb0ES3_S5_N6thrust23THRUST_200600_302600_NS17counting_iteratorIsNS8_11use_defaultESA_SA_EEPlZNS1_13binary_searchIS3_S5_PsSB_SC_NS1_21lower_bound_search_opENS8_6detail16wrapped_functionI11custom_lessbEEEE10hipError_tPvRmT1_T2_T3_mmT4_T5_P12ihipStream_tbEUlRKsE_EESK_SO_SP_mSQ_ST_bEUlT_E_NS1_11comp_targetILNS1_3genE9ELNS1_11target_archE1100ELNS1_3gpuE3ELNS1_3repE0EEENS1_30default_config_static_selectorELNS0_4arch9wavefront6targetE1EEEvSN_
	.globl	_ZN7rocprim17ROCPRIM_400000_NS6detail17trampoline_kernelINS0_14default_configENS1_27lower_bound_config_selectorIslEEZNS1_14transform_implILb0ES3_S5_N6thrust23THRUST_200600_302600_NS17counting_iteratorIsNS8_11use_defaultESA_SA_EEPlZNS1_13binary_searchIS3_S5_PsSB_SC_NS1_21lower_bound_search_opENS8_6detail16wrapped_functionI11custom_lessbEEEE10hipError_tPvRmT1_T2_T3_mmT4_T5_P12ihipStream_tbEUlRKsE_EESK_SO_SP_mSQ_ST_bEUlT_E_NS1_11comp_targetILNS1_3genE9ELNS1_11target_archE1100ELNS1_3gpuE3ELNS1_3repE0EEENS1_30default_config_static_selectorELNS0_4arch9wavefront6targetE1EEEvSN_
	.p2align	8
	.type	_ZN7rocprim17ROCPRIM_400000_NS6detail17trampoline_kernelINS0_14default_configENS1_27lower_bound_config_selectorIslEEZNS1_14transform_implILb0ES3_S5_N6thrust23THRUST_200600_302600_NS17counting_iteratorIsNS8_11use_defaultESA_SA_EEPlZNS1_13binary_searchIS3_S5_PsSB_SC_NS1_21lower_bound_search_opENS8_6detail16wrapped_functionI11custom_lessbEEEE10hipError_tPvRmT1_T2_T3_mmT4_T5_P12ihipStream_tbEUlRKsE_EESK_SO_SP_mSQ_ST_bEUlT_E_NS1_11comp_targetILNS1_3genE9ELNS1_11target_archE1100ELNS1_3gpuE3ELNS1_3repE0EEENS1_30default_config_static_selectorELNS0_4arch9wavefront6targetE1EEEvSN_,@function
_ZN7rocprim17ROCPRIM_400000_NS6detail17trampoline_kernelINS0_14default_configENS1_27lower_bound_config_selectorIslEEZNS1_14transform_implILb0ES3_S5_N6thrust23THRUST_200600_302600_NS17counting_iteratorIsNS8_11use_defaultESA_SA_EEPlZNS1_13binary_searchIS3_S5_PsSB_SC_NS1_21lower_bound_search_opENS8_6detail16wrapped_functionI11custom_lessbEEEE10hipError_tPvRmT1_T2_T3_mmT4_T5_P12ihipStream_tbEUlRKsE_EESK_SO_SP_mSQ_ST_bEUlT_E_NS1_11comp_targetILNS1_3genE9ELNS1_11target_archE1100ELNS1_3gpuE3ELNS1_3repE0EEENS1_30default_config_static_selectorELNS0_4arch9wavefront6targetE1EEEvSN_: ; @_ZN7rocprim17ROCPRIM_400000_NS6detail17trampoline_kernelINS0_14default_configENS1_27lower_bound_config_selectorIslEEZNS1_14transform_implILb0ES3_S5_N6thrust23THRUST_200600_302600_NS17counting_iteratorIsNS8_11use_defaultESA_SA_EEPlZNS1_13binary_searchIS3_S5_PsSB_SC_NS1_21lower_bound_search_opENS8_6detail16wrapped_functionI11custom_lessbEEEE10hipError_tPvRmT1_T2_T3_mmT4_T5_P12ihipStream_tbEUlRKsE_EESK_SO_SP_mSQ_ST_bEUlT_E_NS1_11comp_targetILNS1_3genE9ELNS1_11target_archE1100ELNS1_3gpuE3ELNS1_3repE0EEENS1_30default_config_static_selectorELNS0_4arch9wavefront6targetE1EEEvSN_
; %bb.0:
	.section	.rodata,"a",@progbits
	.p2align	6, 0x0
	.amdhsa_kernel _ZN7rocprim17ROCPRIM_400000_NS6detail17trampoline_kernelINS0_14default_configENS1_27lower_bound_config_selectorIslEEZNS1_14transform_implILb0ES3_S5_N6thrust23THRUST_200600_302600_NS17counting_iteratorIsNS8_11use_defaultESA_SA_EEPlZNS1_13binary_searchIS3_S5_PsSB_SC_NS1_21lower_bound_search_opENS8_6detail16wrapped_functionI11custom_lessbEEEE10hipError_tPvRmT1_T2_T3_mmT4_T5_P12ihipStream_tbEUlRKsE_EESK_SO_SP_mSQ_ST_bEUlT_E_NS1_11comp_targetILNS1_3genE9ELNS1_11target_archE1100ELNS1_3gpuE3ELNS1_3repE0EEENS1_30default_config_static_selectorELNS0_4arch9wavefront6targetE1EEEvSN_
		.amdhsa_group_segment_fixed_size 0
		.amdhsa_private_segment_fixed_size 0
		.amdhsa_kernarg_size 56
		.amdhsa_user_sgpr_count 6
		.amdhsa_user_sgpr_private_segment_buffer 1
		.amdhsa_user_sgpr_dispatch_ptr 0
		.amdhsa_user_sgpr_queue_ptr 0
		.amdhsa_user_sgpr_kernarg_segment_ptr 1
		.amdhsa_user_sgpr_dispatch_id 0
		.amdhsa_user_sgpr_flat_scratch_init 0
		.amdhsa_user_sgpr_kernarg_preload_length 0
		.amdhsa_user_sgpr_kernarg_preload_offset 0
		.amdhsa_user_sgpr_private_segment_size 0
		.amdhsa_uses_dynamic_stack 0
		.amdhsa_system_sgpr_private_segment_wavefront_offset 0
		.amdhsa_system_sgpr_workgroup_id_x 1
		.amdhsa_system_sgpr_workgroup_id_y 0
		.amdhsa_system_sgpr_workgroup_id_z 0
		.amdhsa_system_sgpr_workgroup_info 0
		.amdhsa_system_vgpr_workitem_id 0
		.amdhsa_next_free_vgpr 1
		.amdhsa_next_free_sgpr 0
		.amdhsa_accum_offset 4
		.amdhsa_reserve_vcc 0
		.amdhsa_reserve_flat_scratch 0
		.amdhsa_float_round_mode_32 0
		.amdhsa_float_round_mode_16_64 0
		.amdhsa_float_denorm_mode_32 3
		.amdhsa_float_denorm_mode_16_64 3
		.amdhsa_dx10_clamp 1
		.amdhsa_ieee_mode 1
		.amdhsa_fp16_overflow 0
		.amdhsa_tg_split 0
		.amdhsa_exception_fp_ieee_invalid_op 0
		.amdhsa_exception_fp_denorm_src 0
		.amdhsa_exception_fp_ieee_div_zero 0
		.amdhsa_exception_fp_ieee_overflow 0
		.amdhsa_exception_fp_ieee_underflow 0
		.amdhsa_exception_fp_ieee_inexact 0
		.amdhsa_exception_int_div_zero 0
	.end_amdhsa_kernel
	.section	.text._ZN7rocprim17ROCPRIM_400000_NS6detail17trampoline_kernelINS0_14default_configENS1_27lower_bound_config_selectorIslEEZNS1_14transform_implILb0ES3_S5_N6thrust23THRUST_200600_302600_NS17counting_iteratorIsNS8_11use_defaultESA_SA_EEPlZNS1_13binary_searchIS3_S5_PsSB_SC_NS1_21lower_bound_search_opENS8_6detail16wrapped_functionI11custom_lessbEEEE10hipError_tPvRmT1_T2_T3_mmT4_T5_P12ihipStream_tbEUlRKsE_EESK_SO_SP_mSQ_ST_bEUlT_E_NS1_11comp_targetILNS1_3genE9ELNS1_11target_archE1100ELNS1_3gpuE3ELNS1_3repE0EEENS1_30default_config_static_selectorELNS0_4arch9wavefront6targetE1EEEvSN_,"axG",@progbits,_ZN7rocprim17ROCPRIM_400000_NS6detail17trampoline_kernelINS0_14default_configENS1_27lower_bound_config_selectorIslEEZNS1_14transform_implILb0ES3_S5_N6thrust23THRUST_200600_302600_NS17counting_iteratorIsNS8_11use_defaultESA_SA_EEPlZNS1_13binary_searchIS3_S5_PsSB_SC_NS1_21lower_bound_search_opENS8_6detail16wrapped_functionI11custom_lessbEEEE10hipError_tPvRmT1_T2_T3_mmT4_T5_P12ihipStream_tbEUlRKsE_EESK_SO_SP_mSQ_ST_bEUlT_E_NS1_11comp_targetILNS1_3genE9ELNS1_11target_archE1100ELNS1_3gpuE3ELNS1_3repE0EEENS1_30default_config_static_selectorELNS0_4arch9wavefront6targetE1EEEvSN_,comdat
.Lfunc_end86:
	.size	_ZN7rocprim17ROCPRIM_400000_NS6detail17trampoline_kernelINS0_14default_configENS1_27lower_bound_config_selectorIslEEZNS1_14transform_implILb0ES3_S5_N6thrust23THRUST_200600_302600_NS17counting_iteratorIsNS8_11use_defaultESA_SA_EEPlZNS1_13binary_searchIS3_S5_PsSB_SC_NS1_21lower_bound_search_opENS8_6detail16wrapped_functionI11custom_lessbEEEE10hipError_tPvRmT1_T2_T3_mmT4_T5_P12ihipStream_tbEUlRKsE_EESK_SO_SP_mSQ_ST_bEUlT_E_NS1_11comp_targetILNS1_3genE9ELNS1_11target_archE1100ELNS1_3gpuE3ELNS1_3repE0EEENS1_30default_config_static_selectorELNS0_4arch9wavefront6targetE1EEEvSN_, .Lfunc_end86-_ZN7rocprim17ROCPRIM_400000_NS6detail17trampoline_kernelINS0_14default_configENS1_27lower_bound_config_selectorIslEEZNS1_14transform_implILb0ES3_S5_N6thrust23THRUST_200600_302600_NS17counting_iteratorIsNS8_11use_defaultESA_SA_EEPlZNS1_13binary_searchIS3_S5_PsSB_SC_NS1_21lower_bound_search_opENS8_6detail16wrapped_functionI11custom_lessbEEEE10hipError_tPvRmT1_T2_T3_mmT4_T5_P12ihipStream_tbEUlRKsE_EESK_SO_SP_mSQ_ST_bEUlT_E_NS1_11comp_targetILNS1_3genE9ELNS1_11target_archE1100ELNS1_3gpuE3ELNS1_3repE0EEENS1_30default_config_static_selectorELNS0_4arch9wavefront6targetE1EEEvSN_
                                        ; -- End function
	.section	.AMDGPU.csdata,"",@progbits
; Kernel info:
; codeLenInByte = 0
; NumSgprs: 4
; NumVgprs: 0
; NumAgprs: 0
; TotalNumVgprs: 0
; ScratchSize: 0
; MemoryBound: 0
; FloatMode: 240
; IeeeMode: 1
; LDSByteSize: 0 bytes/workgroup (compile time only)
; SGPRBlocks: 0
; VGPRBlocks: 0
; NumSGPRsForWavesPerEU: 4
; NumVGPRsForWavesPerEU: 1
; AccumOffset: 4
; Occupancy: 8
; WaveLimiterHint : 0
; COMPUTE_PGM_RSRC2:SCRATCH_EN: 0
; COMPUTE_PGM_RSRC2:USER_SGPR: 6
; COMPUTE_PGM_RSRC2:TRAP_HANDLER: 0
; COMPUTE_PGM_RSRC2:TGID_X_EN: 1
; COMPUTE_PGM_RSRC2:TGID_Y_EN: 0
; COMPUTE_PGM_RSRC2:TGID_Z_EN: 0
; COMPUTE_PGM_RSRC2:TIDIG_COMP_CNT: 0
; COMPUTE_PGM_RSRC3_GFX90A:ACCUM_OFFSET: 0
; COMPUTE_PGM_RSRC3_GFX90A:TG_SPLIT: 0
	.section	.text._ZN7rocprim17ROCPRIM_400000_NS6detail17trampoline_kernelINS0_14default_configENS1_27lower_bound_config_selectorIslEEZNS1_14transform_implILb0ES3_S5_N6thrust23THRUST_200600_302600_NS17counting_iteratorIsNS8_11use_defaultESA_SA_EEPlZNS1_13binary_searchIS3_S5_PsSB_SC_NS1_21lower_bound_search_opENS8_6detail16wrapped_functionI11custom_lessbEEEE10hipError_tPvRmT1_T2_T3_mmT4_T5_P12ihipStream_tbEUlRKsE_EESK_SO_SP_mSQ_ST_bEUlT_E_NS1_11comp_targetILNS1_3genE8ELNS1_11target_archE1030ELNS1_3gpuE2ELNS1_3repE0EEENS1_30default_config_static_selectorELNS0_4arch9wavefront6targetE1EEEvSN_,"axG",@progbits,_ZN7rocprim17ROCPRIM_400000_NS6detail17trampoline_kernelINS0_14default_configENS1_27lower_bound_config_selectorIslEEZNS1_14transform_implILb0ES3_S5_N6thrust23THRUST_200600_302600_NS17counting_iteratorIsNS8_11use_defaultESA_SA_EEPlZNS1_13binary_searchIS3_S5_PsSB_SC_NS1_21lower_bound_search_opENS8_6detail16wrapped_functionI11custom_lessbEEEE10hipError_tPvRmT1_T2_T3_mmT4_T5_P12ihipStream_tbEUlRKsE_EESK_SO_SP_mSQ_ST_bEUlT_E_NS1_11comp_targetILNS1_3genE8ELNS1_11target_archE1030ELNS1_3gpuE2ELNS1_3repE0EEENS1_30default_config_static_selectorELNS0_4arch9wavefront6targetE1EEEvSN_,comdat
	.protected	_ZN7rocprim17ROCPRIM_400000_NS6detail17trampoline_kernelINS0_14default_configENS1_27lower_bound_config_selectorIslEEZNS1_14transform_implILb0ES3_S5_N6thrust23THRUST_200600_302600_NS17counting_iteratorIsNS8_11use_defaultESA_SA_EEPlZNS1_13binary_searchIS3_S5_PsSB_SC_NS1_21lower_bound_search_opENS8_6detail16wrapped_functionI11custom_lessbEEEE10hipError_tPvRmT1_T2_T3_mmT4_T5_P12ihipStream_tbEUlRKsE_EESK_SO_SP_mSQ_ST_bEUlT_E_NS1_11comp_targetILNS1_3genE8ELNS1_11target_archE1030ELNS1_3gpuE2ELNS1_3repE0EEENS1_30default_config_static_selectorELNS0_4arch9wavefront6targetE1EEEvSN_ ; -- Begin function _ZN7rocprim17ROCPRIM_400000_NS6detail17trampoline_kernelINS0_14default_configENS1_27lower_bound_config_selectorIslEEZNS1_14transform_implILb0ES3_S5_N6thrust23THRUST_200600_302600_NS17counting_iteratorIsNS8_11use_defaultESA_SA_EEPlZNS1_13binary_searchIS3_S5_PsSB_SC_NS1_21lower_bound_search_opENS8_6detail16wrapped_functionI11custom_lessbEEEE10hipError_tPvRmT1_T2_T3_mmT4_T5_P12ihipStream_tbEUlRKsE_EESK_SO_SP_mSQ_ST_bEUlT_E_NS1_11comp_targetILNS1_3genE8ELNS1_11target_archE1030ELNS1_3gpuE2ELNS1_3repE0EEENS1_30default_config_static_selectorELNS0_4arch9wavefront6targetE1EEEvSN_
	.globl	_ZN7rocprim17ROCPRIM_400000_NS6detail17trampoline_kernelINS0_14default_configENS1_27lower_bound_config_selectorIslEEZNS1_14transform_implILb0ES3_S5_N6thrust23THRUST_200600_302600_NS17counting_iteratorIsNS8_11use_defaultESA_SA_EEPlZNS1_13binary_searchIS3_S5_PsSB_SC_NS1_21lower_bound_search_opENS8_6detail16wrapped_functionI11custom_lessbEEEE10hipError_tPvRmT1_T2_T3_mmT4_T5_P12ihipStream_tbEUlRKsE_EESK_SO_SP_mSQ_ST_bEUlT_E_NS1_11comp_targetILNS1_3genE8ELNS1_11target_archE1030ELNS1_3gpuE2ELNS1_3repE0EEENS1_30default_config_static_selectorELNS0_4arch9wavefront6targetE1EEEvSN_
	.p2align	8
	.type	_ZN7rocprim17ROCPRIM_400000_NS6detail17trampoline_kernelINS0_14default_configENS1_27lower_bound_config_selectorIslEEZNS1_14transform_implILb0ES3_S5_N6thrust23THRUST_200600_302600_NS17counting_iteratorIsNS8_11use_defaultESA_SA_EEPlZNS1_13binary_searchIS3_S5_PsSB_SC_NS1_21lower_bound_search_opENS8_6detail16wrapped_functionI11custom_lessbEEEE10hipError_tPvRmT1_T2_T3_mmT4_T5_P12ihipStream_tbEUlRKsE_EESK_SO_SP_mSQ_ST_bEUlT_E_NS1_11comp_targetILNS1_3genE8ELNS1_11target_archE1030ELNS1_3gpuE2ELNS1_3repE0EEENS1_30default_config_static_selectorELNS0_4arch9wavefront6targetE1EEEvSN_,@function
_ZN7rocprim17ROCPRIM_400000_NS6detail17trampoline_kernelINS0_14default_configENS1_27lower_bound_config_selectorIslEEZNS1_14transform_implILb0ES3_S5_N6thrust23THRUST_200600_302600_NS17counting_iteratorIsNS8_11use_defaultESA_SA_EEPlZNS1_13binary_searchIS3_S5_PsSB_SC_NS1_21lower_bound_search_opENS8_6detail16wrapped_functionI11custom_lessbEEEE10hipError_tPvRmT1_T2_T3_mmT4_T5_P12ihipStream_tbEUlRKsE_EESK_SO_SP_mSQ_ST_bEUlT_E_NS1_11comp_targetILNS1_3genE8ELNS1_11target_archE1030ELNS1_3gpuE2ELNS1_3repE0EEENS1_30default_config_static_selectorELNS0_4arch9wavefront6targetE1EEEvSN_: ; @_ZN7rocprim17ROCPRIM_400000_NS6detail17trampoline_kernelINS0_14default_configENS1_27lower_bound_config_selectorIslEEZNS1_14transform_implILb0ES3_S5_N6thrust23THRUST_200600_302600_NS17counting_iteratorIsNS8_11use_defaultESA_SA_EEPlZNS1_13binary_searchIS3_S5_PsSB_SC_NS1_21lower_bound_search_opENS8_6detail16wrapped_functionI11custom_lessbEEEE10hipError_tPvRmT1_T2_T3_mmT4_T5_P12ihipStream_tbEUlRKsE_EESK_SO_SP_mSQ_ST_bEUlT_E_NS1_11comp_targetILNS1_3genE8ELNS1_11target_archE1030ELNS1_3gpuE2ELNS1_3repE0EEENS1_30default_config_static_selectorELNS0_4arch9wavefront6targetE1EEEvSN_
; %bb.0:
	.section	.rodata,"a",@progbits
	.p2align	6, 0x0
	.amdhsa_kernel _ZN7rocprim17ROCPRIM_400000_NS6detail17trampoline_kernelINS0_14default_configENS1_27lower_bound_config_selectorIslEEZNS1_14transform_implILb0ES3_S5_N6thrust23THRUST_200600_302600_NS17counting_iteratorIsNS8_11use_defaultESA_SA_EEPlZNS1_13binary_searchIS3_S5_PsSB_SC_NS1_21lower_bound_search_opENS8_6detail16wrapped_functionI11custom_lessbEEEE10hipError_tPvRmT1_T2_T3_mmT4_T5_P12ihipStream_tbEUlRKsE_EESK_SO_SP_mSQ_ST_bEUlT_E_NS1_11comp_targetILNS1_3genE8ELNS1_11target_archE1030ELNS1_3gpuE2ELNS1_3repE0EEENS1_30default_config_static_selectorELNS0_4arch9wavefront6targetE1EEEvSN_
		.amdhsa_group_segment_fixed_size 0
		.amdhsa_private_segment_fixed_size 0
		.amdhsa_kernarg_size 56
		.amdhsa_user_sgpr_count 6
		.amdhsa_user_sgpr_private_segment_buffer 1
		.amdhsa_user_sgpr_dispatch_ptr 0
		.amdhsa_user_sgpr_queue_ptr 0
		.amdhsa_user_sgpr_kernarg_segment_ptr 1
		.amdhsa_user_sgpr_dispatch_id 0
		.amdhsa_user_sgpr_flat_scratch_init 0
		.amdhsa_user_sgpr_kernarg_preload_length 0
		.amdhsa_user_sgpr_kernarg_preload_offset 0
		.amdhsa_user_sgpr_private_segment_size 0
		.amdhsa_uses_dynamic_stack 0
		.amdhsa_system_sgpr_private_segment_wavefront_offset 0
		.amdhsa_system_sgpr_workgroup_id_x 1
		.amdhsa_system_sgpr_workgroup_id_y 0
		.amdhsa_system_sgpr_workgroup_id_z 0
		.amdhsa_system_sgpr_workgroup_info 0
		.amdhsa_system_vgpr_workitem_id 0
		.amdhsa_next_free_vgpr 1
		.amdhsa_next_free_sgpr 0
		.amdhsa_accum_offset 4
		.amdhsa_reserve_vcc 0
		.amdhsa_reserve_flat_scratch 0
		.amdhsa_float_round_mode_32 0
		.amdhsa_float_round_mode_16_64 0
		.amdhsa_float_denorm_mode_32 3
		.amdhsa_float_denorm_mode_16_64 3
		.amdhsa_dx10_clamp 1
		.amdhsa_ieee_mode 1
		.amdhsa_fp16_overflow 0
		.amdhsa_tg_split 0
		.amdhsa_exception_fp_ieee_invalid_op 0
		.amdhsa_exception_fp_denorm_src 0
		.amdhsa_exception_fp_ieee_div_zero 0
		.amdhsa_exception_fp_ieee_overflow 0
		.amdhsa_exception_fp_ieee_underflow 0
		.amdhsa_exception_fp_ieee_inexact 0
		.amdhsa_exception_int_div_zero 0
	.end_amdhsa_kernel
	.section	.text._ZN7rocprim17ROCPRIM_400000_NS6detail17trampoline_kernelINS0_14default_configENS1_27lower_bound_config_selectorIslEEZNS1_14transform_implILb0ES3_S5_N6thrust23THRUST_200600_302600_NS17counting_iteratorIsNS8_11use_defaultESA_SA_EEPlZNS1_13binary_searchIS3_S5_PsSB_SC_NS1_21lower_bound_search_opENS8_6detail16wrapped_functionI11custom_lessbEEEE10hipError_tPvRmT1_T2_T3_mmT4_T5_P12ihipStream_tbEUlRKsE_EESK_SO_SP_mSQ_ST_bEUlT_E_NS1_11comp_targetILNS1_3genE8ELNS1_11target_archE1030ELNS1_3gpuE2ELNS1_3repE0EEENS1_30default_config_static_selectorELNS0_4arch9wavefront6targetE1EEEvSN_,"axG",@progbits,_ZN7rocprim17ROCPRIM_400000_NS6detail17trampoline_kernelINS0_14default_configENS1_27lower_bound_config_selectorIslEEZNS1_14transform_implILb0ES3_S5_N6thrust23THRUST_200600_302600_NS17counting_iteratorIsNS8_11use_defaultESA_SA_EEPlZNS1_13binary_searchIS3_S5_PsSB_SC_NS1_21lower_bound_search_opENS8_6detail16wrapped_functionI11custom_lessbEEEE10hipError_tPvRmT1_T2_T3_mmT4_T5_P12ihipStream_tbEUlRKsE_EESK_SO_SP_mSQ_ST_bEUlT_E_NS1_11comp_targetILNS1_3genE8ELNS1_11target_archE1030ELNS1_3gpuE2ELNS1_3repE0EEENS1_30default_config_static_selectorELNS0_4arch9wavefront6targetE1EEEvSN_,comdat
.Lfunc_end87:
	.size	_ZN7rocprim17ROCPRIM_400000_NS6detail17trampoline_kernelINS0_14default_configENS1_27lower_bound_config_selectorIslEEZNS1_14transform_implILb0ES3_S5_N6thrust23THRUST_200600_302600_NS17counting_iteratorIsNS8_11use_defaultESA_SA_EEPlZNS1_13binary_searchIS3_S5_PsSB_SC_NS1_21lower_bound_search_opENS8_6detail16wrapped_functionI11custom_lessbEEEE10hipError_tPvRmT1_T2_T3_mmT4_T5_P12ihipStream_tbEUlRKsE_EESK_SO_SP_mSQ_ST_bEUlT_E_NS1_11comp_targetILNS1_3genE8ELNS1_11target_archE1030ELNS1_3gpuE2ELNS1_3repE0EEENS1_30default_config_static_selectorELNS0_4arch9wavefront6targetE1EEEvSN_, .Lfunc_end87-_ZN7rocprim17ROCPRIM_400000_NS6detail17trampoline_kernelINS0_14default_configENS1_27lower_bound_config_selectorIslEEZNS1_14transform_implILb0ES3_S5_N6thrust23THRUST_200600_302600_NS17counting_iteratorIsNS8_11use_defaultESA_SA_EEPlZNS1_13binary_searchIS3_S5_PsSB_SC_NS1_21lower_bound_search_opENS8_6detail16wrapped_functionI11custom_lessbEEEE10hipError_tPvRmT1_T2_T3_mmT4_T5_P12ihipStream_tbEUlRKsE_EESK_SO_SP_mSQ_ST_bEUlT_E_NS1_11comp_targetILNS1_3genE8ELNS1_11target_archE1030ELNS1_3gpuE2ELNS1_3repE0EEENS1_30default_config_static_selectorELNS0_4arch9wavefront6targetE1EEEvSN_
                                        ; -- End function
	.section	.AMDGPU.csdata,"",@progbits
; Kernel info:
; codeLenInByte = 0
; NumSgprs: 4
; NumVgprs: 0
; NumAgprs: 0
; TotalNumVgprs: 0
; ScratchSize: 0
; MemoryBound: 0
; FloatMode: 240
; IeeeMode: 1
; LDSByteSize: 0 bytes/workgroup (compile time only)
; SGPRBlocks: 0
; VGPRBlocks: 0
; NumSGPRsForWavesPerEU: 4
; NumVGPRsForWavesPerEU: 1
; AccumOffset: 4
; Occupancy: 8
; WaveLimiterHint : 0
; COMPUTE_PGM_RSRC2:SCRATCH_EN: 0
; COMPUTE_PGM_RSRC2:USER_SGPR: 6
; COMPUTE_PGM_RSRC2:TRAP_HANDLER: 0
; COMPUTE_PGM_RSRC2:TGID_X_EN: 1
; COMPUTE_PGM_RSRC2:TGID_Y_EN: 0
; COMPUTE_PGM_RSRC2:TGID_Z_EN: 0
; COMPUTE_PGM_RSRC2:TIDIG_COMP_CNT: 0
; COMPUTE_PGM_RSRC3_GFX90A:ACCUM_OFFSET: 0
; COMPUTE_PGM_RSRC3_GFX90A:TG_SPLIT: 0
	.section	.text._Z18upper_bound_kernelIdEvmPT_Pl,"axG",@progbits,_Z18upper_bound_kernelIdEvmPT_Pl,comdat
	.protected	_Z18upper_bound_kernelIdEvmPT_Pl ; -- Begin function _Z18upper_bound_kernelIdEvmPT_Pl
	.globl	_Z18upper_bound_kernelIdEvmPT_Pl
	.p2align	8
	.type	_Z18upper_bound_kernelIdEvmPT_Pl,@function
_Z18upper_bound_kernelIdEvmPT_Pl:       ; @_Z18upper_bound_kernelIdEvmPT_Pl
; %bb.0:
	s_load_dwordx4 s[8:11], s[4:5], 0x0
	s_load_dwordx2 s[2:3], s[4:5], 0x10
	s_mov_b32 s4, 0
	v_pk_mov_b32 v[0:1], 0, 0
	v_mov_b32_e32 v2, 0
	s_waitcnt lgkmcnt(0)
	v_cmp_gt_i64_e64 s[0:1], s[8:9], 0
	v_cndmask_b32_e64 v3, 0, 1, s[0:1]
	v_cmp_ne_u32_e64 s[0:1], 1, v3
	s_mov_b32 s5, 0x40240000
	s_movk_i32 s14, 0xffe0
	s_branch .LBB88_2
.LBB88_1:                               ;   in Loop: Header=BB88_2 Depth=1
	v_pk_mov_b32 v[4:5], s[6:7], s[6:7] op_sel:[0,1]
	v_add_f64 v[0:1], v[0:1], 1.0
	global_store_dwordx2 v2, v[4:5], s[2:3]
	v_add_f64 v[4:5], -v[0:1], s[4:5]
	v_trunc_f64_e32 v[4:5], v[4:5]
	v_ldexp_f64 v[6:7], v[4:5], s14
	v_floor_f64_e32 v[6:7], v[6:7]
	v_fmac_f64_e32 v[4:5], 0xc1f00000, v[6:7]
	v_cvt_u32_f64_e32 v4, v[4:5]
	v_cvt_i32_f64_e32 v5, v[6:7]
	s_add_u32 s2, s2, 8
	v_cmp_ne_u64_e32 vcc, 0, v[4:5]
	s_addc_u32 s3, s3, 0
	s_cbranch_vccz .LBB88_5
.LBB88_2:                               ; =>This Loop Header: Depth=1
                                        ;     Child Loop BB88_4 Depth 2
	s_and_b64 vcc, exec, s[0:1]
	s_mov_b64 s[6:7], 0
	s_cbranch_vccnz .LBB88_1
; %bb.3:                                ;   in Loop: Header=BB88_2 Depth=1
	s_mov_b64 s[12:13], s[8:9]
.LBB88_4:                               ;   Parent Loop BB88_2 Depth=1
                                        ; =>  This Inner Loop Header: Depth=2
	s_sub_u32 s15, s12, s6
	s_subb_u32 s17, s13, s7
	s_lshr_b32 s16, s17, 31
	s_add_u32 s16, s15, s16
	s_addc_u32 s17, s17, 0
	s_ashr_i64 s[16:17], s[16:17], 1
	s_add_u32 s16, s16, s6
	s_addc_u32 s17, s17, s7
	s_lshl_b64 s[18:19], s[16:17], 3
	s_add_u32 s18, s10, s18
	s_addc_u32 s19, s11, s19
	s_load_dwordx2 s[18:19], s[18:19], 0x0
	s_add_u32 s15, s16, 1
	s_addc_u32 s20, s17, 0
	s_waitcnt lgkmcnt(0)
	v_cmp_gt_f64_e32 vcc, s[18:19], v[0:1]
	s_and_b64 s[18:19], vcc, exec
	s_cselect_b32 s13, s17, s13
	s_cselect_b32 s12, s16, s12
	;; [unrolled: 1-line block ×4, first 2 shown]
	v_pk_mov_b32 v[4:5], s[12:13], s[12:13] op_sel:[0,1]
	v_cmp_lt_i64_e32 vcc, s[6:7], v[4:5]
	s_cbranch_vccnz .LBB88_4
	s_branch .LBB88_1
.LBB88_5:
	s_endpgm
	.section	.rodata,"a",@progbits
	.p2align	6, 0x0
	.amdhsa_kernel _Z18upper_bound_kernelIdEvmPT_Pl
		.amdhsa_group_segment_fixed_size 0
		.amdhsa_private_segment_fixed_size 0
		.amdhsa_kernarg_size 24
		.amdhsa_user_sgpr_count 6
		.amdhsa_user_sgpr_private_segment_buffer 1
		.amdhsa_user_sgpr_dispatch_ptr 0
		.amdhsa_user_sgpr_queue_ptr 0
		.amdhsa_user_sgpr_kernarg_segment_ptr 1
		.amdhsa_user_sgpr_dispatch_id 0
		.amdhsa_user_sgpr_flat_scratch_init 0
		.amdhsa_user_sgpr_kernarg_preload_length 0
		.amdhsa_user_sgpr_kernarg_preload_offset 0
		.amdhsa_user_sgpr_private_segment_size 0
		.amdhsa_uses_dynamic_stack 0
		.amdhsa_system_sgpr_private_segment_wavefront_offset 0
		.amdhsa_system_sgpr_workgroup_id_x 1
		.amdhsa_system_sgpr_workgroup_id_y 0
		.amdhsa_system_sgpr_workgroup_id_z 0
		.amdhsa_system_sgpr_workgroup_info 0
		.amdhsa_system_vgpr_workitem_id 0
		.amdhsa_next_free_vgpr 8
		.amdhsa_next_free_sgpr 21
		.amdhsa_accum_offset 8
		.amdhsa_reserve_vcc 1
		.amdhsa_reserve_flat_scratch 0
		.amdhsa_float_round_mode_32 0
		.amdhsa_float_round_mode_16_64 0
		.amdhsa_float_denorm_mode_32 3
		.amdhsa_float_denorm_mode_16_64 3
		.amdhsa_dx10_clamp 1
		.amdhsa_ieee_mode 1
		.amdhsa_fp16_overflow 0
		.amdhsa_tg_split 0
		.amdhsa_exception_fp_ieee_invalid_op 0
		.amdhsa_exception_fp_denorm_src 0
		.amdhsa_exception_fp_ieee_div_zero 0
		.amdhsa_exception_fp_ieee_overflow 0
		.amdhsa_exception_fp_ieee_underflow 0
		.amdhsa_exception_fp_ieee_inexact 0
		.amdhsa_exception_int_div_zero 0
	.end_amdhsa_kernel
	.section	.text._Z18upper_bound_kernelIdEvmPT_Pl,"axG",@progbits,_Z18upper_bound_kernelIdEvmPT_Pl,comdat
.Lfunc_end88:
	.size	_Z18upper_bound_kernelIdEvmPT_Pl, .Lfunc_end88-_Z18upper_bound_kernelIdEvmPT_Pl
                                        ; -- End function
	.section	.AMDGPU.csdata,"",@progbits
; Kernel info:
; codeLenInByte = 284
; NumSgprs: 25
; NumVgprs: 8
; NumAgprs: 0
; TotalNumVgprs: 8
; ScratchSize: 0
; MemoryBound: 0
; FloatMode: 240
; IeeeMode: 1
; LDSByteSize: 0 bytes/workgroup (compile time only)
; SGPRBlocks: 3
; VGPRBlocks: 0
; NumSGPRsForWavesPerEU: 25
; NumVGPRsForWavesPerEU: 8
; AccumOffset: 8
; Occupancy: 8
; WaveLimiterHint : 0
; COMPUTE_PGM_RSRC2:SCRATCH_EN: 0
; COMPUTE_PGM_RSRC2:USER_SGPR: 6
; COMPUTE_PGM_RSRC2:TRAP_HANDLER: 0
; COMPUTE_PGM_RSRC2:TGID_X_EN: 1
; COMPUTE_PGM_RSRC2:TGID_Y_EN: 0
; COMPUTE_PGM_RSRC2:TGID_Z_EN: 0
; COMPUTE_PGM_RSRC2:TIDIG_COMP_CNT: 0
; COMPUTE_PGM_RSRC3_GFX90A:ACCUM_OFFSET: 1
; COMPUTE_PGM_RSRC3_GFX90A:TG_SPLIT: 0
	.section	.text._ZN7rocprim17ROCPRIM_400000_NS6detail17trampoline_kernelINS0_14default_configENS1_27upper_bound_config_selectorIdlEEZNS1_14transform_implILb0ES3_S5_N6thrust23THRUST_200600_302600_NS17counting_iteratorIdNS8_11use_defaultESA_SA_EEPlZNS1_13binary_searchIS3_S5_PdSB_SC_NS1_21upper_bound_search_opENS8_6detail16wrapped_functionINS0_4lessIvEEbEEEE10hipError_tPvRmT1_T2_T3_mmT4_T5_P12ihipStream_tbEUlRKdE_EESL_SP_SQ_mSR_SU_bEUlT_E_NS1_11comp_targetILNS1_3genE0ELNS1_11target_archE4294967295ELNS1_3gpuE0ELNS1_3repE0EEENS1_30default_config_static_selectorELNS0_4arch9wavefront6targetE1EEEvSO_,"axG",@progbits,_ZN7rocprim17ROCPRIM_400000_NS6detail17trampoline_kernelINS0_14default_configENS1_27upper_bound_config_selectorIdlEEZNS1_14transform_implILb0ES3_S5_N6thrust23THRUST_200600_302600_NS17counting_iteratorIdNS8_11use_defaultESA_SA_EEPlZNS1_13binary_searchIS3_S5_PdSB_SC_NS1_21upper_bound_search_opENS8_6detail16wrapped_functionINS0_4lessIvEEbEEEE10hipError_tPvRmT1_T2_T3_mmT4_T5_P12ihipStream_tbEUlRKdE_EESL_SP_SQ_mSR_SU_bEUlT_E_NS1_11comp_targetILNS1_3genE0ELNS1_11target_archE4294967295ELNS1_3gpuE0ELNS1_3repE0EEENS1_30default_config_static_selectorELNS0_4arch9wavefront6targetE1EEEvSO_,comdat
	.protected	_ZN7rocprim17ROCPRIM_400000_NS6detail17trampoline_kernelINS0_14default_configENS1_27upper_bound_config_selectorIdlEEZNS1_14transform_implILb0ES3_S5_N6thrust23THRUST_200600_302600_NS17counting_iteratorIdNS8_11use_defaultESA_SA_EEPlZNS1_13binary_searchIS3_S5_PdSB_SC_NS1_21upper_bound_search_opENS8_6detail16wrapped_functionINS0_4lessIvEEbEEEE10hipError_tPvRmT1_T2_T3_mmT4_T5_P12ihipStream_tbEUlRKdE_EESL_SP_SQ_mSR_SU_bEUlT_E_NS1_11comp_targetILNS1_3genE0ELNS1_11target_archE4294967295ELNS1_3gpuE0ELNS1_3repE0EEENS1_30default_config_static_selectorELNS0_4arch9wavefront6targetE1EEEvSO_ ; -- Begin function _ZN7rocprim17ROCPRIM_400000_NS6detail17trampoline_kernelINS0_14default_configENS1_27upper_bound_config_selectorIdlEEZNS1_14transform_implILb0ES3_S5_N6thrust23THRUST_200600_302600_NS17counting_iteratorIdNS8_11use_defaultESA_SA_EEPlZNS1_13binary_searchIS3_S5_PdSB_SC_NS1_21upper_bound_search_opENS8_6detail16wrapped_functionINS0_4lessIvEEbEEEE10hipError_tPvRmT1_T2_T3_mmT4_T5_P12ihipStream_tbEUlRKdE_EESL_SP_SQ_mSR_SU_bEUlT_E_NS1_11comp_targetILNS1_3genE0ELNS1_11target_archE4294967295ELNS1_3gpuE0ELNS1_3repE0EEENS1_30default_config_static_selectorELNS0_4arch9wavefront6targetE1EEEvSO_
	.globl	_ZN7rocprim17ROCPRIM_400000_NS6detail17trampoline_kernelINS0_14default_configENS1_27upper_bound_config_selectorIdlEEZNS1_14transform_implILb0ES3_S5_N6thrust23THRUST_200600_302600_NS17counting_iteratorIdNS8_11use_defaultESA_SA_EEPlZNS1_13binary_searchIS3_S5_PdSB_SC_NS1_21upper_bound_search_opENS8_6detail16wrapped_functionINS0_4lessIvEEbEEEE10hipError_tPvRmT1_T2_T3_mmT4_T5_P12ihipStream_tbEUlRKdE_EESL_SP_SQ_mSR_SU_bEUlT_E_NS1_11comp_targetILNS1_3genE0ELNS1_11target_archE4294967295ELNS1_3gpuE0ELNS1_3repE0EEENS1_30default_config_static_selectorELNS0_4arch9wavefront6targetE1EEEvSO_
	.p2align	8
	.type	_ZN7rocprim17ROCPRIM_400000_NS6detail17trampoline_kernelINS0_14default_configENS1_27upper_bound_config_selectorIdlEEZNS1_14transform_implILb0ES3_S5_N6thrust23THRUST_200600_302600_NS17counting_iteratorIdNS8_11use_defaultESA_SA_EEPlZNS1_13binary_searchIS3_S5_PdSB_SC_NS1_21upper_bound_search_opENS8_6detail16wrapped_functionINS0_4lessIvEEbEEEE10hipError_tPvRmT1_T2_T3_mmT4_T5_P12ihipStream_tbEUlRKdE_EESL_SP_SQ_mSR_SU_bEUlT_E_NS1_11comp_targetILNS1_3genE0ELNS1_11target_archE4294967295ELNS1_3gpuE0ELNS1_3repE0EEENS1_30default_config_static_selectorELNS0_4arch9wavefront6targetE1EEEvSO_,@function
_ZN7rocprim17ROCPRIM_400000_NS6detail17trampoline_kernelINS0_14default_configENS1_27upper_bound_config_selectorIdlEEZNS1_14transform_implILb0ES3_S5_N6thrust23THRUST_200600_302600_NS17counting_iteratorIdNS8_11use_defaultESA_SA_EEPlZNS1_13binary_searchIS3_S5_PdSB_SC_NS1_21upper_bound_search_opENS8_6detail16wrapped_functionINS0_4lessIvEEbEEEE10hipError_tPvRmT1_T2_T3_mmT4_T5_P12ihipStream_tbEUlRKdE_EESL_SP_SQ_mSR_SU_bEUlT_E_NS1_11comp_targetILNS1_3genE0ELNS1_11target_archE4294967295ELNS1_3gpuE0ELNS1_3repE0EEENS1_30default_config_static_selectorELNS0_4arch9wavefront6targetE1EEEvSO_: ; @_ZN7rocprim17ROCPRIM_400000_NS6detail17trampoline_kernelINS0_14default_configENS1_27upper_bound_config_selectorIdlEEZNS1_14transform_implILb0ES3_S5_N6thrust23THRUST_200600_302600_NS17counting_iteratorIdNS8_11use_defaultESA_SA_EEPlZNS1_13binary_searchIS3_S5_PdSB_SC_NS1_21upper_bound_search_opENS8_6detail16wrapped_functionINS0_4lessIvEEbEEEE10hipError_tPvRmT1_T2_T3_mmT4_T5_P12ihipStream_tbEUlRKdE_EESL_SP_SQ_mSR_SU_bEUlT_E_NS1_11comp_targetILNS1_3genE0ELNS1_11target_archE4294967295ELNS1_3gpuE0ELNS1_3repE0EEENS1_30default_config_static_selectorELNS0_4arch9wavefront6targetE1EEEvSO_
; %bb.0:
	.section	.rodata,"a",@progbits
	.p2align	6, 0x0
	.amdhsa_kernel _ZN7rocprim17ROCPRIM_400000_NS6detail17trampoline_kernelINS0_14default_configENS1_27upper_bound_config_selectorIdlEEZNS1_14transform_implILb0ES3_S5_N6thrust23THRUST_200600_302600_NS17counting_iteratorIdNS8_11use_defaultESA_SA_EEPlZNS1_13binary_searchIS3_S5_PdSB_SC_NS1_21upper_bound_search_opENS8_6detail16wrapped_functionINS0_4lessIvEEbEEEE10hipError_tPvRmT1_T2_T3_mmT4_T5_P12ihipStream_tbEUlRKdE_EESL_SP_SQ_mSR_SU_bEUlT_E_NS1_11comp_targetILNS1_3genE0ELNS1_11target_archE4294967295ELNS1_3gpuE0ELNS1_3repE0EEENS1_30default_config_static_selectorELNS0_4arch9wavefront6targetE1EEEvSO_
		.amdhsa_group_segment_fixed_size 0
		.amdhsa_private_segment_fixed_size 0
		.amdhsa_kernarg_size 56
		.amdhsa_user_sgpr_count 6
		.amdhsa_user_sgpr_private_segment_buffer 1
		.amdhsa_user_sgpr_dispatch_ptr 0
		.amdhsa_user_sgpr_queue_ptr 0
		.amdhsa_user_sgpr_kernarg_segment_ptr 1
		.amdhsa_user_sgpr_dispatch_id 0
		.amdhsa_user_sgpr_flat_scratch_init 0
		.amdhsa_user_sgpr_kernarg_preload_length 0
		.amdhsa_user_sgpr_kernarg_preload_offset 0
		.amdhsa_user_sgpr_private_segment_size 0
		.amdhsa_uses_dynamic_stack 0
		.amdhsa_system_sgpr_private_segment_wavefront_offset 0
		.amdhsa_system_sgpr_workgroup_id_x 1
		.amdhsa_system_sgpr_workgroup_id_y 0
		.amdhsa_system_sgpr_workgroup_id_z 0
		.amdhsa_system_sgpr_workgroup_info 0
		.amdhsa_system_vgpr_workitem_id 0
		.amdhsa_next_free_vgpr 1
		.amdhsa_next_free_sgpr 0
		.amdhsa_accum_offset 4
		.amdhsa_reserve_vcc 0
		.amdhsa_reserve_flat_scratch 0
		.amdhsa_float_round_mode_32 0
		.amdhsa_float_round_mode_16_64 0
		.amdhsa_float_denorm_mode_32 3
		.amdhsa_float_denorm_mode_16_64 3
		.amdhsa_dx10_clamp 1
		.amdhsa_ieee_mode 1
		.amdhsa_fp16_overflow 0
		.amdhsa_tg_split 0
		.amdhsa_exception_fp_ieee_invalid_op 0
		.amdhsa_exception_fp_denorm_src 0
		.amdhsa_exception_fp_ieee_div_zero 0
		.amdhsa_exception_fp_ieee_overflow 0
		.amdhsa_exception_fp_ieee_underflow 0
		.amdhsa_exception_fp_ieee_inexact 0
		.amdhsa_exception_int_div_zero 0
	.end_amdhsa_kernel
	.section	.text._ZN7rocprim17ROCPRIM_400000_NS6detail17trampoline_kernelINS0_14default_configENS1_27upper_bound_config_selectorIdlEEZNS1_14transform_implILb0ES3_S5_N6thrust23THRUST_200600_302600_NS17counting_iteratorIdNS8_11use_defaultESA_SA_EEPlZNS1_13binary_searchIS3_S5_PdSB_SC_NS1_21upper_bound_search_opENS8_6detail16wrapped_functionINS0_4lessIvEEbEEEE10hipError_tPvRmT1_T2_T3_mmT4_T5_P12ihipStream_tbEUlRKdE_EESL_SP_SQ_mSR_SU_bEUlT_E_NS1_11comp_targetILNS1_3genE0ELNS1_11target_archE4294967295ELNS1_3gpuE0ELNS1_3repE0EEENS1_30default_config_static_selectorELNS0_4arch9wavefront6targetE1EEEvSO_,"axG",@progbits,_ZN7rocprim17ROCPRIM_400000_NS6detail17trampoline_kernelINS0_14default_configENS1_27upper_bound_config_selectorIdlEEZNS1_14transform_implILb0ES3_S5_N6thrust23THRUST_200600_302600_NS17counting_iteratorIdNS8_11use_defaultESA_SA_EEPlZNS1_13binary_searchIS3_S5_PdSB_SC_NS1_21upper_bound_search_opENS8_6detail16wrapped_functionINS0_4lessIvEEbEEEE10hipError_tPvRmT1_T2_T3_mmT4_T5_P12ihipStream_tbEUlRKdE_EESL_SP_SQ_mSR_SU_bEUlT_E_NS1_11comp_targetILNS1_3genE0ELNS1_11target_archE4294967295ELNS1_3gpuE0ELNS1_3repE0EEENS1_30default_config_static_selectorELNS0_4arch9wavefront6targetE1EEEvSO_,comdat
.Lfunc_end89:
	.size	_ZN7rocprim17ROCPRIM_400000_NS6detail17trampoline_kernelINS0_14default_configENS1_27upper_bound_config_selectorIdlEEZNS1_14transform_implILb0ES3_S5_N6thrust23THRUST_200600_302600_NS17counting_iteratorIdNS8_11use_defaultESA_SA_EEPlZNS1_13binary_searchIS3_S5_PdSB_SC_NS1_21upper_bound_search_opENS8_6detail16wrapped_functionINS0_4lessIvEEbEEEE10hipError_tPvRmT1_T2_T3_mmT4_T5_P12ihipStream_tbEUlRKdE_EESL_SP_SQ_mSR_SU_bEUlT_E_NS1_11comp_targetILNS1_3genE0ELNS1_11target_archE4294967295ELNS1_3gpuE0ELNS1_3repE0EEENS1_30default_config_static_selectorELNS0_4arch9wavefront6targetE1EEEvSO_, .Lfunc_end89-_ZN7rocprim17ROCPRIM_400000_NS6detail17trampoline_kernelINS0_14default_configENS1_27upper_bound_config_selectorIdlEEZNS1_14transform_implILb0ES3_S5_N6thrust23THRUST_200600_302600_NS17counting_iteratorIdNS8_11use_defaultESA_SA_EEPlZNS1_13binary_searchIS3_S5_PdSB_SC_NS1_21upper_bound_search_opENS8_6detail16wrapped_functionINS0_4lessIvEEbEEEE10hipError_tPvRmT1_T2_T3_mmT4_T5_P12ihipStream_tbEUlRKdE_EESL_SP_SQ_mSR_SU_bEUlT_E_NS1_11comp_targetILNS1_3genE0ELNS1_11target_archE4294967295ELNS1_3gpuE0ELNS1_3repE0EEENS1_30default_config_static_selectorELNS0_4arch9wavefront6targetE1EEEvSO_
                                        ; -- End function
	.section	.AMDGPU.csdata,"",@progbits
; Kernel info:
; codeLenInByte = 0
; NumSgprs: 4
; NumVgprs: 0
; NumAgprs: 0
; TotalNumVgprs: 0
; ScratchSize: 0
; MemoryBound: 0
; FloatMode: 240
; IeeeMode: 1
; LDSByteSize: 0 bytes/workgroup (compile time only)
; SGPRBlocks: 0
; VGPRBlocks: 0
; NumSGPRsForWavesPerEU: 4
; NumVGPRsForWavesPerEU: 1
; AccumOffset: 4
; Occupancy: 8
; WaveLimiterHint : 0
; COMPUTE_PGM_RSRC2:SCRATCH_EN: 0
; COMPUTE_PGM_RSRC2:USER_SGPR: 6
; COMPUTE_PGM_RSRC2:TRAP_HANDLER: 0
; COMPUTE_PGM_RSRC2:TGID_X_EN: 1
; COMPUTE_PGM_RSRC2:TGID_Y_EN: 0
; COMPUTE_PGM_RSRC2:TGID_Z_EN: 0
; COMPUTE_PGM_RSRC2:TIDIG_COMP_CNT: 0
; COMPUTE_PGM_RSRC3_GFX90A:ACCUM_OFFSET: 0
; COMPUTE_PGM_RSRC3_GFX90A:TG_SPLIT: 0
	.section	.text._ZN7rocprim17ROCPRIM_400000_NS6detail17trampoline_kernelINS0_14default_configENS1_27upper_bound_config_selectorIdlEEZNS1_14transform_implILb0ES3_S5_N6thrust23THRUST_200600_302600_NS17counting_iteratorIdNS8_11use_defaultESA_SA_EEPlZNS1_13binary_searchIS3_S5_PdSB_SC_NS1_21upper_bound_search_opENS8_6detail16wrapped_functionINS0_4lessIvEEbEEEE10hipError_tPvRmT1_T2_T3_mmT4_T5_P12ihipStream_tbEUlRKdE_EESL_SP_SQ_mSR_SU_bEUlT_E_NS1_11comp_targetILNS1_3genE5ELNS1_11target_archE942ELNS1_3gpuE9ELNS1_3repE0EEENS1_30default_config_static_selectorELNS0_4arch9wavefront6targetE1EEEvSO_,"axG",@progbits,_ZN7rocprim17ROCPRIM_400000_NS6detail17trampoline_kernelINS0_14default_configENS1_27upper_bound_config_selectorIdlEEZNS1_14transform_implILb0ES3_S5_N6thrust23THRUST_200600_302600_NS17counting_iteratorIdNS8_11use_defaultESA_SA_EEPlZNS1_13binary_searchIS3_S5_PdSB_SC_NS1_21upper_bound_search_opENS8_6detail16wrapped_functionINS0_4lessIvEEbEEEE10hipError_tPvRmT1_T2_T3_mmT4_T5_P12ihipStream_tbEUlRKdE_EESL_SP_SQ_mSR_SU_bEUlT_E_NS1_11comp_targetILNS1_3genE5ELNS1_11target_archE942ELNS1_3gpuE9ELNS1_3repE0EEENS1_30default_config_static_selectorELNS0_4arch9wavefront6targetE1EEEvSO_,comdat
	.protected	_ZN7rocprim17ROCPRIM_400000_NS6detail17trampoline_kernelINS0_14default_configENS1_27upper_bound_config_selectorIdlEEZNS1_14transform_implILb0ES3_S5_N6thrust23THRUST_200600_302600_NS17counting_iteratorIdNS8_11use_defaultESA_SA_EEPlZNS1_13binary_searchIS3_S5_PdSB_SC_NS1_21upper_bound_search_opENS8_6detail16wrapped_functionINS0_4lessIvEEbEEEE10hipError_tPvRmT1_T2_T3_mmT4_T5_P12ihipStream_tbEUlRKdE_EESL_SP_SQ_mSR_SU_bEUlT_E_NS1_11comp_targetILNS1_3genE5ELNS1_11target_archE942ELNS1_3gpuE9ELNS1_3repE0EEENS1_30default_config_static_selectorELNS0_4arch9wavefront6targetE1EEEvSO_ ; -- Begin function _ZN7rocprim17ROCPRIM_400000_NS6detail17trampoline_kernelINS0_14default_configENS1_27upper_bound_config_selectorIdlEEZNS1_14transform_implILb0ES3_S5_N6thrust23THRUST_200600_302600_NS17counting_iteratorIdNS8_11use_defaultESA_SA_EEPlZNS1_13binary_searchIS3_S5_PdSB_SC_NS1_21upper_bound_search_opENS8_6detail16wrapped_functionINS0_4lessIvEEbEEEE10hipError_tPvRmT1_T2_T3_mmT4_T5_P12ihipStream_tbEUlRKdE_EESL_SP_SQ_mSR_SU_bEUlT_E_NS1_11comp_targetILNS1_3genE5ELNS1_11target_archE942ELNS1_3gpuE9ELNS1_3repE0EEENS1_30default_config_static_selectorELNS0_4arch9wavefront6targetE1EEEvSO_
	.globl	_ZN7rocprim17ROCPRIM_400000_NS6detail17trampoline_kernelINS0_14default_configENS1_27upper_bound_config_selectorIdlEEZNS1_14transform_implILb0ES3_S5_N6thrust23THRUST_200600_302600_NS17counting_iteratorIdNS8_11use_defaultESA_SA_EEPlZNS1_13binary_searchIS3_S5_PdSB_SC_NS1_21upper_bound_search_opENS8_6detail16wrapped_functionINS0_4lessIvEEbEEEE10hipError_tPvRmT1_T2_T3_mmT4_T5_P12ihipStream_tbEUlRKdE_EESL_SP_SQ_mSR_SU_bEUlT_E_NS1_11comp_targetILNS1_3genE5ELNS1_11target_archE942ELNS1_3gpuE9ELNS1_3repE0EEENS1_30default_config_static_selectorELNS0_4arch9wavefront6targetE1EEEvSO_
	.p2align	8
	.type	_ZN7rocprim17ROCPRIM_400000_NS6detail17trampoline_kernelINS0_14default_configENS1_27upper_bound_config_selectorIdlEEZNS1_14transform_implILb0ES3_S5_N6thrust23THRUST_200600_302600_NS17counting_iteratorIdNS8_11use_defaultESA_SA_EEPlZNS1_13binary_searchIS3_S5_PdSB_SC_NS1_21upper_bound_search_opENS8_6detail16wrapped_functionINS0_4lessIvEEbEEEE10hipError_tPvRmT1_T2_T3_mmT4_T5_P12ihipStream_tbEUlRKdE_EESL_SP_SQ_mSR_SU_bEUlT_E_NS1_11comp_targetILNS1_3genE5ELNS1_11target_archE942ELNS1_3gpuE9ELNS1_3repE0EEENS1_30default_config_static_selectorELNS0_4arch9wavefront6targetE1EEEvSO_,@function
_ZN7rocprim17ROCPRIM_400000_NS6detail17trampoline_kernelINS0_14default_configENS1_27upper_bound_config_selectorIdlEEZNS1_14transform_implILb0ES3_S5_N6thrust23THRUST_200600_302600_NS17counting_iteratorIdNS8_11use_defaultESA_SA_EEPlZNS1_13binary_searchIS3_S5_PdSB_SC_NS1_21upper_bound_search_opENS8_6detail16wrapped_functionINS0_4lessIvEEbEEEE10hipError_tPvRmT1_T2_T3_mmT4_T5_P12ihipStream_tbEUlRKdE_EESL_SP_SQ_mSR_SU_bEUlT_E_NS1_11comp_targetILNS1_3genE5ELNS1_11target_archE942ELNS1_3gpuE9ELNS1_3repE0EEENS1_30default_config_static_selectorELNS0_4arch9wavefront6targetE1EEEvSO_: ; @_ZN7rocprim17ROCPRIM_400000_NS6detail17trampoline_kernelINS0_14default_configENS1_27upper_bound_config_selectorIdlEEZNS1_14transform_implILb0ES3_S5_N6thrust23THRUST_200600_302600_NS17counting_iteratorIdNS8_11use_defaultESA_SA_EEPlZNS1_13binary_searchIS3_S5_PdSB_SC_NS1_21upper_bound_search_opENS8_6detail16wrapped_functionINS0_4lessIvEEbEEEE10hipError_tPvRmT1_T2_T3_mmT4_T5_P12ihipStream_tbEUlRKdE_EESL_SP_SQ_mSR_SU_bEUlT_E_NS1_11comp_targetILNS1_3genE5ELNS1_11target_archE942ELNS1_3gpuE9ELNS1_3repE0EEENS1_30default_config_static_selectorELNS0_4arch9wavefront6targetE1EEEvSO_
; %bb.0:
	.section	.rodata,"a",@progbits
	.p2align	6, 0x0
	.amdhsa_kernel _ZN7rocprim17ROCPRIM_400000_NS6detail17trampoline_kernelINS0_14default_configENS1_27upper_bound_config_selectorIdlEEZNS1_14transform_implILb0ES3_S5_N6thrust23THRUST_200600_302600_NS17counting_iteratorIdNS8_11use_defaultESA_SA_EEPlZNS1_13binary_searchIS3_S5_PdSB_SC_NS1_21upper_bound_search_opENS8_6detail16wrapped_functionINS0_4lessIvEEbEEEE10hipError_tPvRmT1_T2_T3_mmT4_T5_P12ihipStream_tbEUlRKdE_EESL_SP_SQ_mSR_SU_bEUlT_E_NS1_11comp_targetILNS1_3genE5ELNS1_11target_archE942ELNS1_3gpuE9ELNS1_3repE0EEENS1_30default_config_static_selectorELNS0_4arch9wavefront6targetE1EEEvSO_
		.amdhsa_group_segment_fixed_size 0
		.amdhsa_private_segment_fixed_size 0
		.amdhsa_kernarg_size 56
		.amdhsa_user_sgpr_count 6
		.amdhsa_user_sgpr_private_segment_buffer 1
		.amdhsa_user_sgpr_dispatch_ptr 0
		.amdhsa_user_sgpr_queue_ptr 0
		.amdhsa_user_sgpr_kernarg_segment_ptr 1
		.amdhsa_user_sgpr_dispatch_id 0
		.amdhsa_user_sgpr_flat_scratch_init 0
		.amdhsa_user_sgpr_kernarg_preload_length 0
		.amdhsa_user_sgpr_kernarg_preload_offset 0
		.amdhsa_user_sgpr_private_segment_size 0
		.amdhsa_uses_dynamic_stack 0
		.amdhsa_system_sgpr_private_segment_wavefront_offset 0
		.amdhsa_system_sgpr_workgroup_id_x 1
		.amdhsa_system_sgpr_workgroup_id_y 0
		.amdhsa_system_sgpr_workgroup_id_z 0
		.amdhsa_system_sgpr_workgroup_info 0
		.amdhsa_system_vgpr_workitem_id 0
		.amdhsa_next_free_vgpr 1
		.amdhsa_next_free_sgpr 0
		.amdhsa_accum_offset 4
		.amdhsa_reserve_vcc 0
		.amdhsa_reserve_flat_scratch 0
		.amdhsa_float_round_mode_32 0
		.amdhsa_float_round_mode_16_64 0
		.amdhsa_float_denorm_mode_32 3
		.amdhsa_float_denorm_mode_16_64 3
		.amdhsa_dx10_clamp 1
		.amdhsa_ieee_mode 1
		.amdhsa_fp16_overflow 0
		.amdhsa_tg_split 0
		.amdhsa_exception_fp_ieee_invalid_op 0
		.amdhsa_exception_fp_denorm_src 0
		.amdhsa_exception_fp_ieee_div_zero 0
		.amdhsa_exception_fp_ieee_overflow 0
		.amdhsa_exception_fp_ieee_underflow 0
		.amdhsa_exception_fp_ieee_inexact 0
		.amdhsa_exception_int_div_zero 0
	.end_amdhsa_kernel
	.section	.text._ZN7rocprim17ROCPRIM_400000_NS6detail17trampoline_kernelINS0_14default_configENS1_27upper_bound_config_selectorIdlEEZNS1_14transform_implILb0ES3_S5_N6thrust23THRUST_200600_302600_NS17counting_iteratorIdNS8_11use_defaultESA_SA_EEPlZNS1_13binary_searchIS3_S5_PdSB_SC_NS1_21upper_bound_search_opENS8_6detail16wrapped_functionINS0_4lessIvEEbEEEE10hipError_tPvRmT1_T2_T3_mmT4_T5_P12ihipStream_tbEUlRKdE_EESL_SP_SQ_mSR_SU_bEUlT_E_NS1_11comp_targetILNS1_3genE5ELNS1_11target_archE942ELNS1_3gpuE9ELNS1_3repE0EEENS1_30default_config_static_selectorELNS0_4arch9wavefront6targetE1EEEvSO_,"axG",@progbits,_ZN7rocprim17ROCPRIM_400000_NS6detail17trampoline_kernelINS0_14default_configENS1_27upper_bound_config_selectorIdlEEZNS1_14transform_implILb0ES3_S5_N6thrust23THRUST_200600_302600_NS17counting_iteratorIdNS8_11use_defaultESA_SA_EEPlZNS1_13binary_searchIS3_S5_PdSB_SC_NS1_21upper_bound_search_opENS8_6detail16wrapped_functionINS0_4lessIvEEbEEEE10hipError_tPvRmT1_T2_T3_mmT4_T5_P12ihipStream_tbEUlRKdE_EESL_SP_SQ_mSR_SU_bEUlT_E_NS1_11comp_targetILNS1_3genE5ELNS1_11target_archE942ELNS1_3gpuE9ELNS1_3repE0EEENS1_30default_config_static_selectorELNS0_4arch9wavefront6targetE1EEEvSO_,comdat
.Lfunc_end90:
	.size	_ZN7rocprim17ROCPRIM_400000_NS6detail17trampoline_kernelINS0_14default_configENS1_27upper_bound_config_selectorIdlEEZNS1_14transform_implILb0ES3_S5_N6thrust23THRUST_200600_302600_NS17counting_iteratorIdNS8_11use_defaultESA_SA_EEPlZNS1_13binary_searchIS3_S5_PdSB_SC_NS1_21upper_bound_search_opENS8_6detail16wrapped_functionINS0_4lessIvEEbEEEE10hipError_tPvRmT1_T2_T3_mmT4_T5_P12ihipStream_tbEUlRKdE_EESL_SP_SQ_mSR_SU_bEUlT_E_NS1_11comp_targetILNS1_3genE5ELNS1_11target_archE942ELNS1_3gpuE9ELNS1_3repE0EEENS1_30default_config_static_selectorELNS0_4arch9wavefront6targetE1EEEvSO_, .Lfunc_end90-_ZN7rocprim17ROCPRIM_400000_NS6detail17trampoline_kernelINS0_14default_configENS1_27upper_bound_config_selectorIdlEEZNS1_14transform_implILb0ES3_S5_N6thrust23THRUST_200600_302600_NS17counting_iteratorIdNS8_11use_defaultESA_SA_EEPlZNS1_13binary_searchIS3_S5_PdSB_SC_NS1_21upper_bound_search_opENS8_6detail16wrapped_functionINS0_4lessIvEEbEEEE10hipError_tPvRmT1_T2_T3_mmT4_T5_P12ihipStream_tbEUlRKdE_EESL_SP_SQ_mSR_SU_bEUlT_E_NS1_11comp_targetILNS1_3genE5ELNS1_11target_archE942ELNS1_3gpuE9ELNS1_3repE0EEENS1_30default_config_static_selectorELNS0_4arch9wavefront6targetE1EEEvSO_
                                        ; -- End function
	.section	.AMDGPU.csdata,"",@progbits
; Kernel info:
; codeLenInByte = 0
; NumSgprs: 4
; NumVgprs: 0
; NumAgprs: 0
; TotalNumVgprs: 0
; ScratchSize: 0
; MemoryBound: 0
; FloatMode: 240
; IeeeMode: 1
; LDSByteSize: 0 bytes/workgroup (compile time only)
; SGPRBlocks: 0
; VGPRBlocks: 0
; NumSGPRsForWavesPerEU: 4
; NumVGPRsForWavesPerEU: 1
; AccumOffset: 4
; Occupancy: 8
; WaveLimiterHint : 0
; COMPUTE_PGM_RSRC2:SCRATCH_EN: 0
; COMPUTE_PGM_RSRC2:USER_SGPR: 6
; COMPUTE_PGM_RSRC2:TRAP_HANDLER: 0
; COMPUTE_PGM_RSRC2:TGID_X_EN: 1
; COMPUTE_PGM_RSRC2:TGID_Y_EN: 0
; COMPUTE_PGM_RSRC2:TGID_Z_EN: 0
; COMPUTE_PGM_RSRC2:TIDIG_COMP_CNT: 0
; COMPUTE_PGM_RSRC3_GFX90A:ACCUM_OFFSET: 0
; COMPUTE_PGM_RSRC3_GFX90A:TG_SPLIT: 0
	.section	.text._ZN7rocprim17ROCPRIM_400000_NS6detail17trampoline_kernelINS0_14default_configENS1_27upper_bound_config_selectorIdlEEZNS1_14transform_implILb0ES3_S5_N6thrust23THRUST_200600_302600_NS17counting_iteratorIdNS8_11use_defaultESA_SA_EEPlZNS1_13binary_searchIS3_S5_PdSB_SC_NS1_21upper_bound_search_opENS8_6detail16wrapped_functionINS0_4lessIvEEbEEEE10hipError_tPvRmT1_T2_T3_mmT4_T5_P12ihipStream_tbEUlRKdE_EESL_SP_SQ_mSR_SU_bEUlT_E_NS1_11comp_targetILNS1_3genE4ELNS1_11target_archE910ELNS1_3gpuE8ELNS1_3repE0EEENS1_30default_config_static_selectorELNS0_4arch9wavefront6targetE1EEEvSO_,"axG",@progbits,_ZN7rocprim17ROCPRIM_400000_NS6detail17trampoline_kernelINS0_14default_configENS1_27upper_bound_config_selectorIdlEEZNS1_14transform_implILb0ES3_S5_N6thrust23THRUST_200600_302600_NS17counting_iteratorIdNS8_11use_defaultESA_SA_EEPlZNS1_13binary_searchIS3_S5_PdSB_SC_NS1_21upper_bound_search_opENS8_6detail16wrapped_functionINS0_4lessIvEEbEEEE10hipError_tPvRmT1_T2_T3_mmT4_T5_P12ihipStream_tbEUlRKdE_EESL_SP_SQ_mSR_SU_bEUlT_E_NS1_11comp_targetILNS1_3genE4ELNS1_11target_archE910ELNS1_3gpuE8ELNS1_3repE0EEENS1_30default_config_static_selectorELNS0_4arch9wavefront6targetE1EEEvSO_,comdat
	.protected	_ZN7rocprim17ROCPRIM_400000_NS6detail17trampoline_kernelINS0_14default_configENS1_27upper_bound_config_selectorIdlEEZNS1_14transform_implILb0ES3_S5_N6thrust23THRUST_200600_302600_NS17counting_iteratorIdNS8_11use_defaultESA_SA_EEPlZNS1_13binary_searchIS3_S5_PdSB_SC_NS1_21upper_bound_search_opENS8_6detail16wrapped_functionINS0_4lessIvEEbEEEE10hipError_tPvRmT1_T2_T3_mmT4_T5_P12ihipStream_tbEUlRKdE_EESL_SP_SQ_mSR_SU_bEUlT_E_NS1_11comp_targetILNS1_3genE4ELNS1_11target_archE910ELNS1_3gpuE8ELNS1_3repE0EEENS1_30default_config_static_selectorELNS0_4arch9wavefront6targetE1EEEvSO_ ; -- Begin function _ZN7rocprim17ROCPRIM_400000_NS6detail17trampoline_kernelINS0_14default_configENS1_27upper_bound_config_selectorIdlEEZNS1_14transform_implILb0ES3_S5_N6thrust23THRUST_200600_302600_NS17counting_iteratorIdNS8_11use_defaultESA_SA_EEPlZNS1_13binary_searchIS3_S5_PdSB_SC_NS1_21upper_bound_search_opENS8_6detail16wrapped_functionINS0_4lessIvEEbEEEE10hipError_tPvRmT1_T2_T3_mmT4_T5_P12ihipStream_tbEUlRKdE_EESL_SP_SQ_mSR_SU_bEUlT_E_NS1_11comp_targetILNS1_3genE4ELNS1_11target_archE910ELNS1_3gpuE8ELNS1_3repE0EEENS1_30default_config_static_selectorELNS0_4arch9wavefront6targetE1EEEvSO_
	.globl	_ZN7rocprim17ROCPRIM_400000_NS6detail17trampoline_kernelINS0_14default_configENS1_27upper_bound_config_selectorIdlEEZNS1_14transform_implILb0ES3_S5_N6thrust23THRUST_200600_302600_NS17counting_iteratorIdNS8_11use_defaultESA_SA_EEPlZNS1_13binary_searchIS3_S5_PdSB_SC_NS1_21upper_bound_search_opENS8_6detail16wrapped_functionINS0_4lessIvEEbEEEE10hipError_tPvRmT1_T2_T3_mmT4_T5_P12ihipStream_tbEUlRKdE_EESL_SP_SQ_mSR_SU_bEUlT_E_NS1_11comp_targetILNS1_3genE4ELNS1_11target_archE910ELNS1_3gpuE8ELNS1_3repE0EEENS1_30default_config_static_selectorELNS0_4arch9wavefront6targetE1EEEvSO_
	.p2align	8
	.type	_ZN7rocprim17ROCPRIM_400000_NS6detail17trampoline_kernelINS0_14default_configENS1_27upper_bound_config_selectorIdlEEZNS1_14transform_implILb0ES3_S5_N6thrust23THRUST_200600_302600_NS17counting_iteratorIdNS8_11use_defaultESA_SA_EEPlZNS1_13binary_searchIS3_S5_PdSB_SC_NS1_21upper_bound_search_opENS8_6detail16wrapped_functionINS0_4lessIvEEbEEEE10hipError_tPvRmT1_T2_T3_mmT4_T5_P12ihipStream_tbEUlRKdE_EESL_SP_SQ_mSR_SU_bEUlT_E_NS1_11comp_targetILNS1_3genE4ELNS1_11target_archE910ELNS1_3gpuE8ELNS1_3repE0EEENS1_30default_config_static_selectorELNS0_4arch9wavefront6targetE1EEEvSO_,@function
_ZN7rocprim17ROCPRIM_400000_NS6detail17trampoline_kernelINS0_14default_configENS1_27upper_bound_config_selectorIdlEEZNS1_14transform_implILb0ES3_S5_N6thrust23THRUST_200600_302600_NS17counting_iteratorIdNS8_11use_defaultESA_SA_EEPlZNS1_13binary_searchIS3_S5_PdSB_SC_NS1_21upper_bound_search_opENS8_6detail16wrapped_functionINS0_4lessIvEEbEEEE10hipError_tPvRmT1_T2_T3_mmT4_T5_P12ihipStream_tbEUlRKdE_EESL_SP_SQ_mSR_SU_bEUlT_E_NS1_11comp_targetILNS1_3genE4ELNS1_11target_archE910ELNS1_3gpuE8ELNS1_3repE0EEENS1_30default_config_static_selectorELNS0_4arch9wavefront6targetE1EEEvSO_: ; @_ZN7rocprim17ROCPRIM_400000_NS6detail17trampoline_kernelINS0_14default_configENS1_27upper_bound_config_selectorIdlEEZNS1_14transform_implILb0ES3_S5_N6thrust23THRUST_200600_302600_NS17counting_iteratorIdNS8_11use_defaultESA_SA_EEPlZNS1_13binary_searchIS3_S5_PdSB_SC_NS1_21upper_bound_search_opENS8_6detail16wrapped_functionINS0_4lessIvEEbEEEE10hipError_tPvRmT1_T2_T3_mmT4_T5_P12ihipStream_tbEUlRKdE_EESL_SP_SQ_mSR_SU_bEUlT_E_NS1_11comp_targetILNS1_3genE4ELNS1_11target_archE910ELNS1_3gpuE8ELNS1_3repE0EEENS1_30default_config_static_selectorELNS0_4arch9wavefront6targetE1EEEvSO_
; %bb.0:
	s_load_dwordx4 s[8:11], s[4:5], 0x0
	s_load_dwordx4 s[0:3], s[4:5], 0x18
	s_load_dwordx2 s[12:13], s[4:5], 0x28
	s_load_dword s7, s[4:5], 0x38
	s_waitcnt lgkmcnt(0)
	v_cvt_f64_i32_e32 v[2:3], s11
	v_ldexp_f64 v[2:3], v[2:3], 32
	v_cvt_f64_u32_e32 v[4:5], s10
	v_add_f64 v[2:3], v[2:3], v[4:5]
	v_add_f64 v[4:5], s[8:9], v[2:3]
	s_lshl_b32 s8, s6, 6
	s_add_i32 s7, s7, -1
	s_cmp_lg_u32 s6, s7
	s_mov_b32 s9, 0
	s_cbranch_scc0 .LBB91_6
; %bb.1:
	s_mov_b64 s[14:15], 0
	s_cmp_eq_u64 s[12:13], 0
	v_pk_mov_b32 v[2:3], 0, 0
	s_cbranch_scc1 .LBB91_5
; %bb.2:
	v_cvt_f64_u32_e32 v[2:3], s8
	v_add_f64 v[2:3], v[4:5], v[2:3]
	v_cvt_f64_u32_e32 v[6:7], v0
	v_add_f64 v[6:7], v[2:3], v[6:7]
	s_mov_b64 s[6:7], 0
	v_pk_mov_b32 v[2:3], 0, 0
	v_pk_mov_b32 v[8:9], s[12:13], s[12:13] op_sel:[0,1]
	v_mov_b32_e32 v1, s3
.LBB91_3:                               ; =>This Inner Loop Header: Depth=1
	v_sub_co_u32_e32 v10, vcc, v8, v2
	v_subb_co_u32_e32 v11, vcc, v9, v3, vcc
	v_lshrrev_b64 v[12:13], 1, v[10:11]
	v_add_co_u32_e32 v12, vcc, v12, v2
	v_lshrrev_b64 v[10:11], 6, v[10:11]
	v_addc_co_u32_e32 v13, vcc, v13, v3, vcc
	v_add_co_u32_e32 v10, vcc, v12, v10
	v_addc_co_u32_e32 v11, vcc, v13, v11, vcc
	v_lshlrev_b64 v[12:13], 3, v[10:11]
	v_add_co_u32_e32 v12, vcc, s2, v12
	v_addc_co_u32_e32 v13, vcc, v1, v13, vcc
	global_load_dwordx2 v[12:13], v[12:13], off
	v_add_co_u32_e32 v14, vcc, 1, v10
	v_addc_co_u32_e32 v15, vcc, 0, v11, vcc
	s_waitcnt vmcnt(0)
	v_cmp_gt_f64_e32 vcc, v[12:13], v[6:7]
	v_cndmask_b32_e32 v9, v9, v11, vcc
	v_cndmask_b32_e32 v8, v8, v10, vcc
	;; [unrolled: 1-line block ×4, first 2 shown]
	v_cmp_ge_u64_e32 vcc, v[2:3], v[8:9]
	s_or_b64 s[6:7], vcc, s[6:7]
	s_andn2_b64 exec, exec, s[6:7]
	s_cbranch_execnz .LBB91_3
; %bb.4:
	s_or_b64 exec, exec, s[6:7]
.LBB91_5:
	s_mov_b64 s[6:7], -1
	s_andn2_b64 vcc, exec, s[14:15]
	s_cbranch_vccz .LBB91_7
	s_branch .LBB91_13
.LBB91_6:
	s_mov_b64 s[6:7], 0
                                        ; implicit-def: $vgpr2_vgpr3
.LBB91_7:
	s_load_dword s4, s[4:5], 0x10
                                        ; implicit-def: $vgpr2_vgpr3
	s_waitcnt lgkmcnt(0)
	s_sub_i32 s4, s4, s8
	v_cmp_gt_u32_e64 s[6:7], s4, v0
	s_and_saveexec_b64 s[4:5], s[6:7]
	s_cbranch_execz .LBB91_12
; %bb.8:
	s_mov_b64 s[14:15], 0
	s_cmp_eq_u64 s[12:13], 0
	v_pk_mov_b32 v[2:3], 0, 0
	s_cbranch_scc1 .LBB91_12
; %bb.9:
	v_cvt_f64_u32_e32 v[2:3], s8
	v_add_f64 v[2:3], v[4:5], v[2:3]
	v_cvt_f64_u32_e32 v[4:5], v0
	v_add_f64 v[4:5], v[2:3], v[4:5]
	v_pk_mov_b32 v[2:3], 0, 0
	v_pk_mov_b32 v[6:7], s[12:13], s[12:13] op_sel:[0,1]
	v_mov_b32_e32 v1, s3
.LBB91_10:                              ; =>This Inner Loop Header: Depth=1
	v_sub_co_u32_e32 v8, vcc, v6, v2
	v_subb_co_u32_e32 v9, vcc, v7, v3, vcc
	v_lshrrev_b64 v[10:11], 1, v[8:9]
	v_add_co_u32_e32 v10, vcc, v10, v2
	v_lshrrev_b64 v[8:9], 6, v[8:9]
	v_addc_co_u32_e32 v11, vcc, v11, v3, vcc
	v_add_co_u32_e32 v8, vcc, v10, v8
	v_addc_co_u32_e32 v9, vcc, v11, v9, vcc
	v_lshlrev_b64 v[10:11], 3, v[8:9]
	v_add_co_u32_e32 v10, vcc, s2, v10
	v_addc_co_u32_e32 v11, vcc, v1, v11, vcc
	global_load_dwordx2 v[10:11], v[10:11], off
	v_add_co_u32_e32 v12, vcc, 1, v8
	v_addc_co_u32_e32 v13, vcc, 0, v9, vcc
	s_waitcnt vmcnt(0)
	v_cmp_gt_f64_e32 vcc, v[10:11], v[4:5]
	v_cndmask_b32_e32 v7, v7, v9, vcc
	v_cndmask_b32_e32 v6, v6, v8, vcc
	;; [unrolled: 1-line block ×4, first 2 shown]
	v_cmp_ge_u64_e32 vcc, v[2:3], v[6:7]
	s_or_b64 s[14:15], vcc, s[14:15]
	s_andn2_b64 exec, exec, s[14:15]
	s_cbranch_execnz .LBB91_10
; %bb.11:
	s_or_b64 exec, exec, s[14:15]
.LBB91_12:
	s_or_b64 exec, exec, s[4:5]
.LBB91_13:
	s_and_saveexec_b64 s[2:3], s[6:7]
	s_cbranch_execnz .LBB91_15
; %bb.14:
	s_endpgm
.LBB91_15:
	s_lshl_b64 s[2:3], s[10:11], 3
	s_add_u32 s2, s0, s2
	s_addc_u32 s3, s1, s3
	s_lshl_b64 s[0:1], s[8:9], 3
	s_add_u32 s0, s2, s0
	s_addc_u32 s1, s3, s1
	v_lshlrev_b32_e32 v0, 3, v0
	global_store_dwordx2 v0, v[2:3], s[0:1]
	s_endpgm
	.section	.rodata,"a",@progbits
	.p2align	6, 0x0
	.amdhsa_kernel _ZN7rocprim17ROCPRIM_400000_NS6detail17trampoline_kernelINS0_14default_configENS1_27upper_bound_config_selectorIdlEEZNS1_14transform_implILb0ES3_S5_N6thrust23THRUST_200600_302600_NS17counting_iteratorIdNS8_11use_defaultESA_SA_EEPlZNS1_13binary_searchIS3_S5_PdSB_SC_NS1_21upper_bound_search_opENS8_6detail16wrapped_functionINS0_4lessIvEEbEEEE10hipError_tPvRmT1_T2_T3_mmT4_T5_P12ihipStream_tbEUlRKdE_EESL_SP_SQ_mSR_SU_bEUlT_E_NS1_11comp_targetILNS1_3genE4ELNS1_11target_archE910ELNS1_3gpuE8ELNS1_3repE0EEENS1_30default_config_static_selectorELNS0_4arch9wavefront6targetE1EEEvSO_
		.amdhsa_group_segment_fixed_size 0
		.amdhsa_private_segment_fixed_size 0
		.amdhsa_kernarg_size 312
		.amdhsa_user_sgpr_count 6
		.amdhsa_user_sgpr_private_segment_buffer 1
		.amdhsa_user_sgpr_dispatch_ptr 0
		.amdhsa_user_sgpr_queue_ptr 0
		.amdhsa_user_sgpr_kernarg_segment_ptr 1
		.amdhsa_user_sgpr_dispatch_id 0
		.amdhsa_user_sgpr_flat_scratch_init 0
		.amdhsa_user_sgpr_kernarg_preload_length 0
		.amdhsa_user_sgpr_kernarg_preload_offset 0
		.amdhsa_user_sgpr_private_segment_size 0
		.amdhsa_uses_dynamic_stack 0
		.amdhsa_system_sgpr_private_segment_wavefront_offset 0
		.amdhsa_system_sgpr_workgroup_id_x 1
		.amdhsa_system_sgpr_workgroup_id_y 0
		.amdhsa_system_sgpr_workgroup_id_z 0
		.amdhsa_system_sgpr_workgroup_info 0
		.amdhsa_system_vgpr_workitem_id 0
		.amdhsa_next_free_vgpr 16
		.amdhsa_next_free_sgpr 16
		.amdhsa_accum_offset 16
		.amdhsa_reserve_vcc 1
		.amdhsa_reserve_flat_scratch 0
		.amdhsa_float_round_mode_32 0
		.amdhsa_float_round_mode_16_64 0
		.amdhsa_float_denorm_mode_32 3
		.amdhsa_float_denorm_mode_16_64 3
		.amdhsa_dx10_clamp 1
		.amdhsa_ieee_mode 1
		.amdhsa_fp16_overflow 0
		.amdhsa_tg_split 0
		.amdhsa_exception_fp_ieee_invalid_op 0
		.amdhsa_exception_fp_denorm_src 0
		.amdhsa_exception_fp_ieee_div_zero 0
		.amdhsa_exception_fp_ieee_overflow 0
		.amdhsa_exception_fp_ieee_underflow 0
		.amdhsa_exception_fp_ieee_inexact 0
		.amdhsa_exception_int_div_zero 0
	.end_amdhsa_kernel
	.section	.text._ZN7rocprim17ROCPRIM_400000_NS6detail17trampoline_kernelINS0_14default_configENS1_27upper_bound_config_selectorIdlEEZNS1_14transform_implILb0ES3_S5_N6thrust23THRUST_200600_302600_NS17counting_iteratorIdNS8_11use_defaultESA_SA_EEPlZNS1_13binary_searchIS3_S5_PdSB_SC_NS1_21upper_bound_search_opENS8_6detail16wrapped_functionINS0_4lessIvEEbEEEE10hipError_tPvRmT1_T2_T3_mmT4_T5_P12ihipStream_tbEUlRKdE_EESL_SP_SQ_mSR_SU_bEUlT_E_NS1_11comp_targetILNS1_3genE4ELNS1_11target_archE910ELNS1_3gpuE8ELNS1_3repE0EEENS1_30default_config_static_selectorELNS0_4arch9wavefront6targetE1EEEvSO_,"axG",@progbits,_ZN7rocprim17ROCPRIM_400000_NS6detail17trampoline_kernelINS0_14default_configENS1_27upper_bound_config_selectorIdlEEZNS1_14transform_implILb0ES3_S5_N6thrust23THRUST_200600_302600_NS17counting_iteratorIdNS8_11use_defaultESA_SA_EEPlZNS1_13binary_searchIS3_S5_PdSB_SC_NS1_21upper_bound_search_opENS8_6detail16wrapped_functionINS0_4lessIvEEbEEEE10hipError_tPvRmT1_T2_T3_mmT4_T5_P12ihipStream_tbEUlRKdE_EESL_SP_SQ_mSR_SU_bEUlT_E_NS1_11comp_targetILNS1_3genE4ELNS1_11target_archE910ELNS1_3gpuE8ELNS1_3repE0EEENS1_30default_config_static_selectorELNS0_4arch9wavefront6targetE1EEEvSO_,comdat
.Lfunc_end91:
	.size	_ZN7rocprim17ROCPRIM_400000_NS6detail17trampoline_kernelINS0_14default_configENS1_27upper_bound_config_selectorIdlEEZNS1_14transform_implILb0ES3_S5_N6thrust23THRUST_200600_302600_NS17counting_iteratorIdNS8_11use_defaultESA_SA_EEPlZNS1_13binary_searchIS3_S5_PdSB_SC_NS1_21upper_bound_search_opENS8_6detail16wrapped_functionINS0_4lessIvEEbEEEE10hipError_tPvRmT1_T2_T3_mmT4_T5_P12ihipStream_tbEUlRKdE_EESL_SP_SQ_mSR_SU_bEUlT_E_NS1_11comp_targetILNS1_3genE4ELNS1_11target_archE910ELNS1_3gpuE8ELNS1_3repE0EEENS1_30default_config_static_selectorELNS0_4arch9wavefront6targetE1EEEvSO_, .Lfunc_end91-_ZN7rocprim17ROCPRIM_400000_NS6detail17trampoline_kernelINS0_14default_configENS1_27upper_bound_config_selectorIdlEEZNS1_14transform_implILb0ES3_S5_N6thrust23THRUST_200600_302600_NS17counting_iteratorIdNS8_11use_defaultESA_SA_EEPlZNS1_13binary_searchIS3_S5_PdSB_SC_NS1_21upper_bound_search_opENS8_6detail16wrapped_functionINS0_4lessIvEEbEEEE10hipError_tPvRmT1_T2_T3_mmT4_T5_P12ihipStream_tbEUlRKdE_EESL_SP_SQ_mSR_SU_bEUlT_E_NS1_11comp_targetILNS1_3genE4ELNS1_11target_archE910ELNS1_3gpuE8ELNS1_3repE0EEENS1_30default_config_static_selectorELNS0_4arch9wavefront6targetE1EEEvSO_
                                        ; -- End function
	.section	.AMDGPU.csdata,"",@progbits
; Kernel info:
; codeLenInByte = 560
; NumSgprs: 20
; NumVgprs: 16
; NumAgprs: 0
; TotalNumVgprs: 16
; ScratchSize: 0
; MemoryBound: 0
; FloatMode: 240
; IeeeMode: 1
; LDSByteSize: 0 bytes/workgroup (compile time only)
; SGPRBlocks: 2
; VGPRBlocks: 1
; NumSGPRsForWavesPerEU: 20
; NumVGPRsForWavesPerEU: 16
; AccumOffset: 16
; Occupancy: 8
; WaveLimiterHint : 0
; COMPUTE_PGM_RSRC2:SCRATCH_EN: 0
; COMPUTE_PGM_RSRC2:USER_SGPR: 6
; COMPUTE_PGM_RSRC2:TRAP_HANDLER: 0
; COMPUTE_PGM_RSRC2:TGID_X_EN: 1
; COMPUTE_PGM_RSRC2:TGID_Y_EN: 0
; COMPUTE_PGM_RSRC2:TGID_Z_EN: 0
; COMPUTE_PGM_RSRC2:TIDIG_COMP_CNT: 0
; COMPUTE_PGM_RSRC3_GFX90A:ACCUM_OFFSET: 3
; COMPUTE_PGM_RSRC3_GFX90A:TG_SPLIT: 0
	.section	.text._ZN7rocprim17ROCPRIM_400000_NS6detail17trampoline_kernelINS0_14default_configENS1_27upper_bound_config_selectorIdlEEZNS1_14transform_implILb0ES3_S5_N6thrust23THRUST_200600_302600_NS17counting_iteratorIdNS8_11use_defaultESA_SA_EEPlZNS1_13binary_searchIS3_S5_PdSB_SC_NS1_21upper_bound_search_opENS8_6detail16wrapped_functionINS0_4lessIvEEbEEEE10hipError_tPvRmT1_T2_T3_mmT4_T5_P12ihipStream_tbEUlRKdE_EESL_SP_SQ_mSR_SU_bEUlT_E_NS1_11comp_targetILNS1_3genE3ELNS1_11target_archE908ELNS1_3gpuE7ELNS1_3repE0EEENS1_30default_config_static_selectorELNS0_4arch9wavefront6targetE1EEEvSO_,"axG",@progbits,_ZN7rocprim17ROCPRIM_400000_NS6detail17trampoline_kernelINS0_14default_configENS1_27upper_bound_config_selectorIdlEEZNS1_14transform_implILb0ES3_S5_N6thrust23THRUST_200600_302600_NS17counting_iteratorIdNS8_11use_defaultESA_SA_EEPlZNS1_13binary_searchIS3_S5_PdSB_SC_NS1_21upper_bound_search_opENS8_6detail16wrapped_functionINS0_4lessIvEEbEEEE10hipError_tPvRmT1_T2_T3_mmT4_T5_P12ihipStream_tbEUlRKdE_EESL_SP_SQ_mSR_SU_bEUlT_E_NS1_11comp_targetILNS1_3genE3ELNS1_11target_archE908ELNS1_3gpuE7ELNS1_3repE0EEENS1_30default_config_static_selectorELNS0_4arch9wavefront6targetE1EEEvSO_,comdat
	.protected	_ZN7rocprim17ROCPRIM_400000_NS6detail17trampoline_kernelINS0_14default_configENS1_27upper_bound_config_selectorIdlEEZNS1_14transform_implILb0ES3_S5_N6thrust23THRUST_200600_302600_NS17counting_iteratorIdNS8_11use_defaultESA_SA_EEPlZNS1_13binary_searchIS3_S5_PdSB_SC_NS1_21upper_bound_search_opENS8_6detail16wrapped_functionINS0_4lessIvEEbEEEE10hipError_tPvRmT1_T2_T3_mmT4_T5_P12ihipStream_tbEUlRKdE_EESL_SP_SQ_mSR_SU_bEUlT_E_NS1_11comp_targetILNS1_3genE3ELNS1_11target_archE908ELNS1_3gpuE7ELNS1_3repE0EEENS1_30default_config_static_selectorELNS0_4arch9wavefront6targetE1EEEvSO_ ; -- Begin function _ZN7rocprim17ROCPRIM_400000_NS6detail17trampoline_kernelINS0_14default_configENS1_27upper_bound_config_selectorIdlEEZNS1_14transform_implILb0ES3_S5_N6thrust23THRUST_200600_302600_NS17counting_iteratorIdNS8_11use_defaultESA_SA_EEPlZNS1_13binary_searchIS3_S5_PdSB_SC_NS1_21upper_bound_search_opENS8_6detail16wrapped_functionINS0_4lessIvEEbEEEE10hipError_tPvRmT1_T2_T3_mmT4_T5_P12ihipStream_tbEUlRKdE_EESL_SP_SQ_mSR_SU_bEUlT_E_NS1_11comp_targetILNS1_3genE3ELNS1_11target_archE908ELNS1_3gpuE7ELNS1_3repE0EEENS1_30default_config_static_selectorELNS0_4arch9wavefront6targetE1EEEvSO_
	.globl	_ZN7rocprim17ROCPRIM_400000_NS6detail17trampoline_kernelINS0_14default_configENS1_27upper_bound_config_selectorIdlEEZNS1_14transform_implILb0ES3_S5_N6thrust23THRUST_200600_302600_NS17counting_iteratorIdNS8_11use_defaultESA_SA_EEPlZNS1_13binary_searchIS3_S5_PdSB_SC_NS1_21upper_bound_search_opENS8_6detail16wrapped_functionINS0_4lessIvEEbEEEE10hipError_tPvRmT1_T2_T3_mmT4_T5_P12ihipStream_tbEUlRKdE_EESL_SP_SQ_mSR_SU_bEUlT_E_NS1_11comp_targetILNS1_3genE3ELNS1_11target_archE908ELNS1_3gpuE7ELNS1_3repE0EEENS1_30default_config_static_selectorELNS0_4arch9wavefront6targetE1EEEvSO_
	.p2align	8
	.type	_ZN7rocprim17ROCPRIM_400000_NS6detail17trampoline_kernelINS0_14default_configENS1_27upper_bound_config_selectorIdlEEZNS1_14transform_implILb0ES3_S5_N6thrust23THRUST_200600_302600_NS17counting_iteratorIdNS8_11use_defaultESA_SA_EEPlZNS1_13binary_searchIS3_S5_PdSB_SC_NS1_21upper_bound_search_opENS8_6detail16wrapped_functionINS0_4lessIvEEbEEEE10hipError_tPvRmT1_T2_T3_mmT4_T5_P12ihipStream_tbEUlRKdE_EESL_SP_SQ_mSR_SU_bEUlT_E_NS1_11comp_targetILNS1_3genE3ELNS1_11target_archE908ELNS1_3gpuE7ELNS1_3repE0EEENS1_30default_config_static_selectorELNS0_4arch9wavefront6targetE1EEEvSO_,@function
_ZN7rocprim17ROCPRIM_400000_NS6detail17trampoline_kernelINS0_14default_configENS1_27upper_bound_config_selectorIdlEEZNS1_14transform_implILb0ES3_S5_N6thrust23THRUST_200600_302600_NS17counting_iteratorIdNS8_11use_defaultESA_SA_EEPlZNS1_13binary_searchIS3_S5_PdSB_SC_NS1_21upper_bound_search_opENS8_6detail16wrapped_functionINS0_4lessIvEEbEEEE10hipError_tPvRmT1_T2_T3_mmT4_T5_P12ihipStream_tbEUlRKdE_EESL_SP_SQ_mSR_SU_bEUlT_E_NS1_11comp_targetILNS1_3genE3ELNS1_11target_archE908ELNS1_3gpuE7ELNS1_3repE0EEENS1_30default_config_static_selectorELNS0_4arch9wavefront6targetE1EEEvSO_: ; @_ZN7rocprim17ROCPRIM_400000_NS6detail17trampoline_kernelINS0_14default_configENS1_27upper_bound_config_selectorIdlEEZNS1_14transform_implILb0ES3_S5_N6thrust23THRUST_200600_302600_NS17counting_iteratorIdNS8_11use_defaultESA_SA_EEPlZNS1_13binary_searchIS3_S5_PdSB_SC_NS1_21upper_bound_search_opENS8_6detail16wrapped_functionINS0_4lessIvEEbEEEE10hipError_tPvRmT1_T2_T3_mmT4_T5_P12ihipStream_tbEUlRKdE_EESL_SP_SQ_mSR_SU_bEUlT_E_NS1_11comp_targetILNS1_3genE3ELNS1_11target_archE908ELNS1_3gpuE7ELNS1_3repE0EEENS1_30default_config_static_selectorELNS0_4arch9wavefront6targetE1EEEvSO_
; %bb.0:
	.section	.rodata,"a",@progbits
	.p2align	6, 0x0
	.amdhsa_kernel _ZN7rocprim17ROCPRIM_400000_NS6detail17trampoline_kernelINS0_14default_configENS1_27upper_bound_config_selectorIdlEEZNS1_14transform_implILb0ES3_S5_N6thrust23THRUST_200600_302600_NS17counting_iteratorIdNS8_11use_defaultESA_SA_EEPlZNS1_13binary_searchIS3_S5_PdSB_SC_NS1_21upper_bound_search_opENS8_6detail16wrapped_functionINS0_4lessIvEEbEEEE10hipError_tPvRmT1_T2_T3_mmT4_T5_P12ihipStream_tbEUlRKdE_EESL_SP_SQ_mSR_SU_bEUlT_E_NS1_11comp_targetILNS1_3genE3ELNS1_11target_archE908ELNS1_3gpuE7ELNS1_3repE0EEENS1_30default_config_static_selectorELNS0_4arch9wavefront6targetE1EEEvSO_
		.amdhsa_group_segment_fixed_size 0
		.amdhsa_private_segment_fixed_size 0
		.amdhsa_kernarg_size 56
		.amdhsa_user_sgpr_count 6
		.amdhsa_user_sgpr_private_segment_buffer 1
		.amdhsa_user_sgpr_dispatch_ptr 0
		.amdhsa_user_sgpr_queue_ptr 0
		.amdhsa_user_sgpr_kernarg_segment_ptr 1
		.amdhsa_user_sgpr_dispatch_id 0
		.amdhsa_user_sgpr_flat_scratch_init 0
		.amdhsa_user_sgpr_kernarg_preload_length 0
		.amdhsa_user_sgpr_kernarg_preload_offset 0
		.amdhsa_user_sgpr_private_segment_size 0
		.amdhsa_uses_dynamic_stack 0
		.amdhsa_system_sgpr_private_segment_wavefront_offset 0
		.amdhsa_system_sgpr_workgroup_id_x 1
		.amdhsa_system_sgpr_workgroup_id_y 0
		.amdhsa_system_sgpr_workgroup_id_z 0
		.amdhsa_system_sgpr_workgroup_info 0
		.amdhsa_system_vgpr_workitem_id 0
		.amdhsa_next_free_vgpr 1
		.amdhsa_next_free_sgpr 0
		.amdhsa_accum_offset 4
		.amdhsa_reserve_vcc 0
		.amdhsa_reserve_flat_scratch 0
		.amdhsa_float_round_mode_32 0
		.amdhsa_float_round_mode_16_64 0
		.amdhsa_float_denorm_mode_32 3
		.amdhsa_float_denorm_mode_16_64 3
		.amdhsa_dx10_clamp 1
		.amdhsa_ieee_mode 1
		.amdhsa_fp16_overflow 0
		.amdhsa_tg_split 0
		.amdhsa_exception_fp_ieee_invalid_op 0
		.amdhsa_exception_fp_denorm_src 0
		.amdhsa_exception_fp_ieee_div_zero 0
		.amdhsa_exception_fp_ieee_overflow 0
		.amdhsa_exception_fp_ieee_underflow 0
		.amdhsa_exception_fp_ieee_inexact 0
		.amdhsa_exception_int_div_zero 0
	.end_amdhsa_kernel
	.section	.text._ZN7rocprim17ROCPRIM_400000_NS6detail17trampoline_kernelINS0_14default_configENS1_27upper_bound_config_selectorIdlEEZNS1_14transform_implILb0ES3_S5_N6thrust23THRUST_200600_302600_NS17counting_iteratorIdNS8_11use_defaultESA_SA_EEPlZNS1_13binary_searchIS3_S5_PdSB_SC_NS1_21upper_bound_search_opENS8_6detail16wrapped_functionINS0_4lessIvEEbEEEE10hipError_tPvRmT1_T2_T3_mmT4_T5_P12ihipStream_tbEUlRKdE_EESL_SP_SQ_mSR_SU_bEUlT_E_NS1_11comp_targetILNS1_3genE3ELNS1_11target_archE908ELNS1_3gpuE7ELNS1_3repE0EEENS1_30default_config_static_selectorELNS0_4arch9wavefront6targetE1EEEvSO_,"axG",@progbits,_ZN7rocprim17ROCPRIM_400000_NS6detail17trampoline_kernelINS0_14default_configENS1_27upper_bound_config_selectorIdlEEZNS1_14transform_implILb0ES3_S5_N6thrust23THRUST_200600_302600_NS17counting_iteratorIdNS8_11use_defaultESA_SA_EEPlZNS1_13binary_searchIS3_S5_PdSB_SC_NS1_21upper_bound_search_opENS8_6detail16wrapped_functionINS0_4lessIvEEbEEEE10hipError_tPvRmT1_T2_T3_mmT4_T5_P12ihipStream_tbEUlRKdE_EESL_SP_SQ_mSR_SU_bEUlT_E_NS1_11comp_targetILNS1_3genE3ELNS1_11target_archE908ELNS1_3gpuE7ELNS1_3repE0EEENS1_30default_config_static_selectorELNS0_4arch9wavefront6targetE1EEEvSO_,comdat
.Lfunc_end92:
	.size	_ZN7rocprim17ROCPRIM_400000_NS6detail17trampoline_kernelINS0_14default_configENS1_27upper_bound_config_selectorIdlEEZNS1_14transform_implILb0ES3_S5_N6thrust23THRUST_200600_302600_NS17counting_iteratorIdNS8_11use_defaultESA_SA_EEPlZNS1_13binary_searchIS3_S5_PdSB_SC_NS1_21upper_bound_search_opENS8_6detail16wrapped_functionINS0_4lessIvEEbEEEE10hipError_tPvRmT1_T2_T3_mmT4_T5_P12ihipStream_tbEUlRKdE_EESL_SP_SQ_mSR_SU_bEUlT_E_NS1_11comp_targetILNS1_3genE3ELNS1_11target_archE908ELNS1_3gpuE7ELNS1_3repE0EEENS1_30default_config_static_selectorELNS0_4arch9wavefront6targetE1EEEvSO_, .Lfunc_end92-_ZN7rocprim17ROCPRIM_400000_NS6detail17trampoline_kernelINS0_14default_configENS1_27upper_bound_config_selectorIdlEEZNS1_14transform_implILb0ES3_S5_N6thrust23THRUST_200600_302600_NS17counting_iteratorIdNS8_11use_defaultESA_SA_EEPlZNS1_13binary_searchIS3_S5_PdSB_SC_NS1_21upper_bound_search_opENS8_6detail16wrapped_functionINS0_4lessIvEEbEEEE10hipError_tPvRmT1_T2_T3_mmT4_T5_P12ihipStream_tbEUlRKdE_EESL_SP_SQ_mSR_SU_bEUlT_E_NS1_11comp_targetILNS1_3genE3ELNS1_11target_archE908ELNS1_3gpuE7ELNS1_3repE0EEENS1_30default_config_static_selectorELNS0_4arch9wavefront6targetE1EEEvSO_
                                        ; -- End function
	.section	.AMDGPU.csdata,"",@progbits
; Kernel info:
; codeLenInByte = 0
; NumSgprs: 4
; NumVgprs: 0
; NumAgprs: 0
; TotalNumVgprs: 0
; ScratchSize: 0
; MemoryBound: 0
; FloatMode: 240
; IeeeMode: 1
; LDSByteSize: 0 bytes/workgroup (compile time only)
; SGPRBlocks: 0
; VGPRBlocks: 0
; NumSGPRsForWavesPerEU: 4
; NumVGPRsForWavesPerEU: 1
; AccumOffset: 4
; Occupancy: 8
; WaveLimiterHint : 0
; COMPUTE_PGM_RSRC2:SCRATCH_EN: 0
; COMPUTE_PGM_RSRC2:USER_SGPR: 6
; COMPUTE_PGM_RSRC2:TRAP_HANDLER: 0
; COMPUTE_PGM_RSRC2:TGID_X_EN: 1
; COMPUTE_PGM_RSRC2:TGID_Y_EN: 0
; COMPUTE_PGM_RSRC2:TGID_Z_EN: 0
; COMPUTE_PGM_RSRC2:TIDIG_COMP_CNT: 0
; COMPUTE_PGM_RSRC3_GFX90A:ACCUM_OFFSET: 0
; COMPUTE_PGM_RSRC3_GFX90A:TG_SPLIT: 0
	.section	.text._ZN7rocprim17ROCPRIM_400000_NS6detail17trampoline_kernelINS0_14default_configENS1_27upper_bound_config_selectorIdlEEZNS1_14transform_implILb0ES3_S5_N6thrust23THRUST_200600_302600_NS17counting_iteratorIdNS8_11use_defaultESA_SA_EEPlZNS1_13binary_searchIS3_S5_PdSB_SC_NS1_21upper_bound_search_opENS8_6detail16wrapped_functionINS0_4lessIvEEbEEEE10hipError_tPvRmT1_T2_T3_mmT4_T5_P12ihipStream_tbEUlRKdE_EESL_SP_SQ_mSR_SU_bEUlT_E_NS1_11comp_targetILNS1_3genE2ELNS1_11target_archE906ELNS1_3gpuE6ELNS1_3repE0EEENS1_30default_config_static_selectorELNS0_4arch9wavefront6targetE1EEEvSO_,"axG",@progbits,_ZN7rocprim17ROCPRIM_400000_NS6detail17trampoline_kernelINS0_14default_configENS1_27upper_bound_config_selectorIdlEEZNS1_14transform_implILb0ES3_S5_N6thrust23THRUST_200600_302600_NS17counting_iteratorIdNS8_11use_defaultESA_SA_EEPlZNS1_13binary_searchIS3_S5_PdSB_SC_NS1_21upper_bound_search_opENS8_6detail16wrapped_functionINS0_4lessIvEEbEEEE10hipError_tPvRmT1_T2_T3_mmT4_T5_P12ihipStream_tbEUlRKdE_EESL_SP_SQ_mSR_SU_bEUlT_E_NS1_11comp_targetILNS1_3genE2ELNS1_11target_archE906ELNS1_3gpuE6ELNS1_3repE0EEENS1_30default_config_static_selectorELNS0_4arch9wavefront6targetE1EEEvSO_,comdat
	.protected	_ZN7rocprim17ROCPRIM_400000_NS6detail17trampoline_kernelINS0_14default_configENS1_27upper_bound_config_selectorIdlEEZNS1_14transform_implILb0ES3_S5_N6thrust23THRUST_200600_302600_NS17counting_iteratorIdNS8_11use_defaultESA_SA_EEPlZNS1_13binary_searchIS3_S5_PdSB_SC_NS1_21upper_bound_search_opENS8_6detail16wrapped_functionINS0_4lessIvEEbEEEE10hipError_tPvRmT1_T2_T3_mmT4_T5_P12ihipStream_tbEUlRKdE_EESL_SP_SQ_mSR_SU_bEUlT_E_NS1_11comp_targetILNS1_3genE2ELNS1_11target_archE906ELNS1_3gpuE6ELNS1_3repE0EEENS1_30default_config_static_selectorELNS0_4arch9wavefront6targetE1EEEvSO_ ; -- Begin function _ZN7rocprim17ROCPRIM_400000_NS6detail17trampoline_kernelINS0_14default_configENS1_27upper_bound_config_selectorIdlEEZNS1_14transform_implILb0ES3_S5_N6thrust23THRUST_200600_302600_NS17counting_iteratorIdNS8_11use_defaultESA_SA_EEPlZNS1_13binary_searchIS3_S5_PdSB_SC_NS1_21upper_bound_search_opENS8_6detail16wrapped_functionINS0_4lessIvEEbEEEE10hipError_tPvRmT1_T2_T3_mmT4_T5_P12ihipStream_tbEUlRKdE_EESL_SP_SQ_mSR_SU_bEUlT_E_NS1_11comp_targetILNS1_3genE2ELNS1_11target_archE906ELNS1_3gpuE6ELNS1_3repE0EEENS1_30default_config_static_selectorELNS0_4arch9wavefront6targetE1EEEvSO_
	.globl	_ZN7rocprim17ROCPRIM_400000_NS6detail17trampoline_kernelINS0_14default_configENS1_27upper_bound_config_selectorIdlEEZNS1_14transform_implILb0ES3_S5_N6thrust23THRUST_200600_302600_NS17counting_iteratorIdNS8_11use_defaultESA_SA_EEPlZNS1_13binary_searchIS3_S5_PdSB_SC_NS1_21upper_bound_search_opENS8_6detail16wrapped_functionINS0_4lessIvEEbEEEE10hipError_tPvRmT1_T2_T3_mmT4_T5_P12ihipStream_tbEUlRKdE_EESL_SP_SQ_mSR_SU_bEUlT_E_NS1_11comp_targetILNS1_3genE2ELNS1_11target_archE906ELNS1_3gpuE6ELNS1_3repE0EEENS1_30default_config_static_selectorELNS0_4arch9wavefront6targetE1EEEvSO_
	.p2align	8
	.type	_ZN7rocprim17ROCPRIM_400000_NS6detail17trampoline_kernelINS0_14default_configENS1_27upper_bound_config_selectorIdlEEZNS1_14transform_implILb0ES3_S5_N6thrust23THRUST_200600_302600_NS17counting_iteratorIdNS8_11use_defaultESA_SA_EEPlZNS1_13binary_searchIS3_S5_PdSB_SC_NS1_21upper_bound_search_opENS8_6detail16wrapped_functionINS0_4lessIvEEbEEEE10hipError_tPvRmT1_T2_T3_mmT4_T5_P12ihipStream_tbEUlRKdE_EESL_SP_SQ_mSR_SU_bEUlT_E_NS1_11comp_targetILNS1_3genE2ELNS1_11target_archE906ELNS1_3gpuE6ELNS1_3repE0EEENS1_30default_config_static_selectorELNS0_4arch9wavefront6targetE1EEEvSO_,@function
_ZN7rocprim17ROCPRIM_400000_NS6detail17trampoline_kernelINS0_14default_configENS1_27upper_bound_config_selectorIdlEEZNS1_14transform_implILb0ES3_S5_N6thrust23THRUST_200600_302600_NS17counting_iteratorIdNS8_11use_defaultESA_SA_EEPlZNS1_13binary_searchIS3_S5_PdSB_SC_NS1_21upper_bound_search_opENS8_6detail16wrapped_functionINS0_4lessIvEEbEEEE10hipError_tPvRmT1_T2_T3_mmT4_T5_P12ihipStream_tbEUlRKdE_EESL_SP_SQ_mSR_SU_bEUlT_E_NS1_11comp_targetILNS1_3genE2ELNS1_11target_archE906ELNS1_3gpuE6ELNS1_3repE0EEENS1_30default_config_static_selectorELNS0_4arch9wavefront6targetE1EEEvSO_: ; @_ZN7rocprim17ROCPRIM_400000_NS6detail17trampoline_kernelINS0_14default_configENS1_27upper_bound_config_selectorIdlEEZNS1_14transform_implILb0ES3_S5_N6thrust23THRUST_200600_302600_NS17counting_iteratorIdNS8_11use_defaultESA_SA_EEPlZNS1_13binary_searchIS3_S5_PdSB_SC_NS1_21upper_bound_search_opENS8_6detail16wrapped_functionINS0_4lessIvEEbEEEE10hipError_tPvRmT1_T2_T3_mmT4_T5_P12ihipStream_tbEUlRKdE_EESL_SP_SQ_mSR_SU_bEUlT_E_NS1_11comp_targetILNS1_3genE2ELNS1_11target_archE906ELNS1_3gpuE6ELNS1_3repE0EEENS1_30default_config_static_selectorELNS0_4arch9wavefront6targetE1EEEvSO_
; %bb.0:
	.section	.rodata,"a",@progbits
	.p2align	6, 0x0
	.amdhsa_kernel _ZN7rocprim17ROCPRIM_400000_NS6detail17trampoline_kernelINS0_14default_configENS1_27upper_bound_config_selectorIdlEEZNS1_14transform_implILb0ES3_S5_N6thrust23THRUST_200600_302600_NS17counting_iteratorIdNS8_11use_defaultESA_SA_EEPlZNS1_13binary_searchIS3_S5_PdSB_SC_NS1_21upper_bound_search_opENS8_6detail16wrapped_functionINS0_4lessIvEEbEEEE10hipError_tPvRmT1_T2_T3_mmT4_T5_P12ihipStream_tbEUlRKdE_EESL_SP_SQ_mSR_SU_bEUlT_E_NS1_11comp_targetILNS1_3genE2ELNS1_11target_archE906ELNS1_3gpuE6ELNS1_3repE0EEENS1_30default_config_static_selectorELNS0_4arch9wavefront6targetE1EEEvSO_
		.amdhsa_group_segment_fixed_size 0
		.amdhsa_private_segment_fixed_size 0
		.amdhsa_kernarg_size 56
		.amdhsa_user_sgpr_count 6
		.amdhsa_user_sgpr_private_segment_buffer 1
		.amdhsa_user_sgpr_dispatch_ptr 0
		.amdhsa_user_sgpr_queue_ptr 0
		.amdhsa_user_sgpr_kernarg_segment_ptr 1
		.amdhsa_user_sgpr_dispatch_id 0
		.amdhsa_user_sgpr_flat_scratch_init 0
		.amdhsa_user_sgpr_kernarg_preload_length 0
		.amdhsa_user_sgpr_kernarg_preload_offset 0
		.amdhsa_user_sgpr_private_segment_size 0
		.amdhsa_uses_dynamic_stack 0
		.amdhsa_system_sgpr_private_segment_wavefront_offset 0
		.amdhsa_system_sgpr_workgroup_id_x 1
		.amdhsa_system_sgpr_workgroup_id_y 0
		.amdhsa_system_sgpr_workgroup_id_z 0
		.amdhsa_system_sgpr_workgroup_info 0
		.amdhsa_system_vgpr_workitem_id 0
		.amdhsa_next_free_vgpr 1
		.amdhsa_next_free_sgpr 0
		.amdhsa_accum_offset 4
		.amdhsa_reserve_vcc 0
		.amdhsa_reserve_flat_scratch 0
		.amdhsa_float_round_mode_32 0
		.amdhsa_float_round_mode_16_64 0
		.amdhsa_float_denorm_mode_32 3
		.amdhsa_float_denorm_mode_16_64 3
		.amdhsa_dx10_clamp 1
		.amdhsa_ieee_mode 1
		.amdhsa_fp16_overflow 0
		.amdhsa_tg_split 0
		.amdhsa_exception_fp_ieee_invalid_op 0
		.amdhsa_exception_fp_denorm_src 0
		.amdhsa_exception_fp_ieee_div_zero 0
		.amdhsa_exception_fp_ieee_overflow 0
		.amdhsa_exception_fp_ieee_underflow 0
		.amdhsa_exception_fp_ieee_inexact 0
		.amdhsa_exception_int_div_zero 0
	.end_amdhsa_kernel
	.section	.text._ZN7rocprim17ROCPRIM_400000_NS6detail17trampoline_kernelINS0_14default_configENS1_27upper_bound_config_selectorIdlEEZNS1_14transform_implILb0ES3_S5_N6thrust23THRUST_200600_302600_NS17counting_iteratorIdNS8_11use_defaultESA_SA_EEPlZNS1_13binary_searchIS3_S5_PdSB_SC_NS1_21upper_bound_search_opENS8_6detail16wrapped_functionINS0_4lessIvEEbEEEE10hipError_tPvRmT1_T2_T3_mmT4_T5_P12ihipStream_tbEUlRKdE_EESL_SP_SQ_mSR_SU_bEUlT_E_NS1_11comp_targetILNS1_3genE2ELNS1_11target_archE906ELNS1_3gpuE6ELNS1_3repE0EEENS1_30default_config_static_selectorELNS0_4arch9wavefront6targetE1EEEvSO_,"axG",@progbits,_ZN7rocprim17ROCPRIM_400000_NS6detail17trampoline_kernelINS0_14default_configENS1_27upper_bound_config_selectorIdlEEZNS1_14transform_implILb0ES3_S5_N6thrust23THRUST_200600_302600_NS17counting_iteratorIdNS8_11use_defaultESA_SA_EEPlZNS1_13binary_searchIS3_S5_PdSB_SC_NS1_21upper_bound_search_opENS8_6detail16wrapped_functionINS0_4lessIvEEbEEEE10hipError_tPvRmT1_T2_T3_mmT4_T5_P12ihipStream_tbEUlRKdE_EESL_SP_SQ_mSR_SU_bEUlT_E_NS1_11comp_targetILNS1_3genE2ELNS1_11target_archE906ELNS1_3gpuE6ELNS1_3repE0EEENS1_30default_config_static_selectorELNS0_4arch9wavefront6targetE1EEEvSO_,comdat
.Lfunc_end93:
	.size	_ZN7rocprim17ROCPRIM_400000_NS6detail17trampoline_kernelINS0_14default_configENS1_27upper_bound_config_selectorIdlEEZNS1_14transform_implILb0ES3_S5_N6thrust23THRUST_200600_302600_NS17counting_iteratorIdNS8_11use_defaultESA_SA_EEPlZNS1_13binary_searchIS3_S5_PdSB_SC_NS1_21upper_bound_search_opENS8_6detail16wrapped_functionINS0_4lessIvEEbEEEE10hipError_tPvRmT1_T2_T3_mmT4_T5_P12ihipStream_tbEUlRKdE_EESL_SP_SQ_mSR_SU_bEUlT_E_NS1_11comp_targetILNS1_3genE2ELNS1_11target_archE906ELNS1_3gpuE6ELNS1_3repE0EEENS1_30default_config_static_selectorELNS0_4arch9wavefront6targetE1EEEvSO_, .Lfunc_end93-_ZN7rocprim17ROCPRIM_400000_NS6detail17trampoline_kernelINS0_14default_configENS1_27upper_bound_config_selectorIdlEEZNS1_14transform_implILb0ES3_S5_N6thrust23THRUST_200600_302600_NS17counting_iteratorIdNS8_11use_defaultESA_SA_EEPlZNS1_13binary_searchIS3_S5_PdSB_SC_NS1_21upper_bound_search_opENS8_6detail16wrapped_functionINS0_4lessIvEEbEEEE10hipError_tPvRmT1_T2_T3_mmT4_T5_P12ihipStream_tbEUlRKdE_EESL_SP_SQ_mSR_SU_bEUlT_E_NS1_11comp_targetILNS1_3genE2ELNS1_11target_archE906ELNS1_3gpuE6ELNS1_3repE0EEENS1_30default_config_static_selectorELNS0_4arch9wavefront6targetE1EEEvSO_
                                        ; -- End function
	.section	.AMDGPU.csdata,"",@progbits
; Kernel info:
; codeLenInByte = 0
; NumSgprs: 4
; NumVgprs: 0
; NumAgprs: 0
; TotalNumVgprs: 0
; ScratchSize: 0
; MemoryBound: 0
; FloatMode: 240
; IeeeMode: 1
; LDSByteSize: 0 bytes/workgroup (compile time only)
; SGPRBlocks: 0
; VGPRBlocks: 0
; NumSGPRsForWavesPerEU: 4
; NumVGPRsForWavesPerEU: 1
; AccumOffset: 4
; Occupancy: 8
; WaveLimiterHint : 0
; COMPUTE_PGM_RSRC2:SCRATCH_EN: 0
; COMPUTE_PGM_RSRC2:USER_SGPR: 6
; COMPUTE_PGM_RSRC2:TRAP_HANDLER: 0
; COMPUTE_PGM_RSRC2:TGID_X_EN: 1
; COMPUTE_PGM_RSRC2:TGID_Y_EN: 0
; COMPUTE_PGM_RSRC2:TGID_Z_EN: 0
; COMPUTE_PGM_RSRC2:TIDIG_COMP_CNT: 0
; COMPUTE_PGM_RSRC3_GFX90A:ACCUM_OFFSET: 0
; COMPUTE_PGM_RSRC3_GFX90A:TG_SPLIT: 0
	.section	.text._ZN7rocprim17ROCPRIM_400000_NS6detail17trampoline_kernelINS0_14default_configENS1_27upper_bound_config_selectorIdlEEZNS1_14transform_implILb0ES3_S5_N6thrust23THRUST_200600_302600_NS17counting_iteratorIdNS8_11use_defaultESA_SA_EEPlZNS1_13binary_searchIS3_S5_PdSB_SC_NS1_21upper_bound_search_opENS8_6detail16wrapped_functionINS0_4lessIvEEbEEEE10hipError_tPvRmT1_T2_T3_mmT4_T5_P12ihipStream_tbEUlRKdE_EESL_SP_SQ_mSR_SU_bEUlT_E_NS1_11comp_targetILNS1_3genE10ELNS1_11target_archE1201ELNS1_3gpuE5ELNS1_3repE0EEENS1_30default_config_static_selectorELNS0_4arch9wavefront6targetE1EEEvSO_,"axG",@progbits,_ZN7rocprim17ROCPRIM_400000_NS6detail17trampoline_kernelINS0_14default_configENS1_27upper_bound_config_selectorIdlEEZNS1_14transform_implILb0ES3_S5_N6thrust23THRUST_200600_302600_NS17counting_iteratorIdNS8_11use_defaultESA_SA_EEPlZNS1_13binary_searchIS3_S5_PdSB_SC_NS1_21upper_bound_search_opENS8_6detail16wrapped_functionINS0_4lessIvEEbEEEE10hipError_tPvRmT1_T2_T3_mmT4_T5_P12ihipStream_tbEUlRKdE_EESL_SP_SQ_mSR_SU_bEUlT_E_NS1_11comp_targetILNS1_3genE10ELNS1_11target_archE1201ELNS1_3gpuE5ELNS1_3repE0EEENS1_30default_config_static_selectorELNS0_4arch9wavefront6targetE1EEEvSO_,comdat
	.protected	_ZN7rocprim17ROCPRIM_400000_NS6detail17trampoline_kernelINS0_14default_configENS1_27upper_bound_config_selectorIdlEEZNS1_14transform_implILb0ES3_S5_N6thrust23THRUST_200600_302600_NS17counting_iteratorIdNS8_11use_defaultESA_SA_EEPlZNS1_13binary_searchIS3_S5_PdSB_SC_NS1_21upper_bound_search_opENS8_6detail16wrapped_functionINS0_4lessIvEEbEEEE10hipError_tPvRmT1_T2_T3_mmT4_T5_P12ihipStream_tbEUlRKdE_EESL_SP_SQ_mSR_SU_bEUlT_E_NS1_11comp_targetILNS1_3genE10ELNS1_11target_archE1201ELNS1_3gpuE5ELNS1_3repE0EEENS1_30default_config_static_selectorELNS0_4arch9wavefront6targetE1EEEvSO_ ; -- Begin function _ZN7rocprim17ROCPRIM_400000_NS6detail17trampoline_kernelINS0_14default_configENS1_27upper_bound_config_selectorIdlEEZNS1_14transform_implILb0ES3_S5_N6thrust23THRUST_200600_302600_NS17counting_iteratorIdNS8_11use_defaultESA_SA_EEPlZNS1_13binary_searchIS3_S5_PdSB_SC_NS1_21upper_bound_search_opENS8_6detail16wrapped_functionINS0_4lessIvEEbEEEE10hipError_tPvRmT1_T2_T3_mmT4_T5_P12ihipStream_tbEUlRKdE_EESL_SP_SQ_mSR_SU_bEUlT_E_NS1_11comp_targetILNS1_3genE10ELNS1_11target_archE1201ELNS1_3gpuE5ELNS1_3repE0EEENS1_30default_config_static_selectorELNS0_4arch9wavefront6targetE1EEEvSO_
	.globl	_ZN7rocprim17ROCPRIM_400000_NS6detail17trampoline_kernelINS0_14default_configENS1_27upper_bound_config_selectorIdlEEZNS1_14transform_implILb0ES3_S5_N6thrust23THRUST_200600_302600_NS17counting_iteratorIdNS8_11use_defaultESA_SA_EEPlZNS1_13binary_searchIS3_S5_PdSB_SC_NS1_21upper_bound_search_opENS8_6detail16wrapped_functionINS0_4lessIvEEbEEEE10hipError_tPvRmT1_T2_T3_mmT4_T5_P12ihipStream_tbEUlRKdE_EESL_SP_SQ_mSR_SU_bEUlT_E_NS1_11comp_targetILNS1_3genE10ELNS1_11target_archE1201ELNS1_3gpuE5ELNS1_3repE0EEENS1_30default_config_static_selectorELNS0_4arch9wavefront6targetE1EEEvSO_
	.p2align	8
	.type	_ZN7rocprim17ROCPRIM_400000_NS6detail17trampoline_kernelINS0_14default_configENS1_27upper_bound_config_selectorIdlEEZNS1_14transform_implILb0ES3_S5_N6thrust23THRUST_200600_302600_NS17counting_iteratorIdNS8_11use_defaultESA_SA_EEPlZNS1_13binary_searchIS3_S5_PdSB_SC_NS1_21upper_bound_search_opENS8_6detail16wrapped_functionINS0_4lessIvEEbEEEE10hipError_tPvRmT1_T2_T3_mmT4_T5_P12ihipStream_tbEUlRKdE_EESL_SP_SQ_mSR_SU_bEUlT_E_NS1_11comp_targetILNS1_3genE10ELNS1_11target_archE1201ELNS1_3gpuE5ELNS1_3repE0EEENS1_30default_config_static_selectorELNS0_4arch9wavefront6targetE1EEEvSO_,@function
_ZN7rocprim17ROCPRIM_400000_NS6detail17trampoline_kernelINS0_14default_configENS1_27upper_bound_config_selectorIdlEEZNS1_14transform_implILb0ES3_S5_N6thrust23THRUST_200600_302600_NS17counting_iteratorIdNS8_11use_defaultESA_SA_EEPlZNS1_13binary_searchIS3_S5_PdSB_SC_NS1_21upper_bound_search_opENS8_6detail16wrapped_functionINS0_4lessIvEEbEEEE10hipError_tPvRmT1_T2_T3_mmT4_T5_P12ihipStream_tbEUlRKdE_EESL_SP_SQ_mSR_SU_bEUlT_E_NS1_11comp_targetILNS1_3genE10ELNS1_11target_archE1201ELNS1_3gpuE5ELNS1_3repE0EEENS1_30default_config_static_selectorELNS0_4arch9wavefront6targetE1EEEvSO_: ; @_ZN7rocprim17ROCPRIM_400000_NS6detail17trampoline_kernelINS0_14default_configENS1_27upper_bound_config_selectorIdlEEZNS1_14transform_implILb0ES3_S5_N6thrust23THRUST_200600_302600_NS17counting_iteratorIdNS8_11use_defaultESA_SA_EEPlZNS1_13binary_searchIS3_S5_PdSB_SC_NS1_21upper_bound_search_opENS8_6detail16wrapped_functionINS0_4lessIvEEbEEEE10hipError_tPvRmT1_T2_T3_mmT4_T5_P12ihipStream_tbEUlRKdE_EESL_SP_SQ_mSR_SU_bEUlT_E_NS1_11comp_targetILNS1_3genE10ELNS1_11target_archE1201ELNS1_3gpuE5ELNS1_3repE0EEENS1_30default_config_static_selectorELNS0_4arch9wavefront6targetE1EEEvSO_
; %bb.0:
	.section	.rodata,"a",@progbits
	.p2align	6, 0x0
	.amdhsa_kernel _ZN7rocprim17ROCPRIM_400000_NS6detail17trampoline_kernelINS0_14default_configENS1_27upper_bound_config_selectorIdlEEZNS1_14transform_implILb0ES3_S5_N6thrust23THRUST_200600_302600_NS17counting_iteratorIdNS8_11use_defaultESA_SA_EEPlZNS1_13binary_searchIS3_S5_PdSB_SC_NS1_21upper_bound_search_opENS8_6detail16wrapped_functionINS0_4lessIvEEbEEEE10hipError_tPvRmT1_T2_T3_mmT4_T5_P12ihipStream_tbEUlRKdE_EESL_SP_SQ_mSR_SU_bEUlT_E_NS1_11comp_targetILNS1_3genE10ELNS1_11target_archE1201ELNS1_3gpuE5ELNS1_3repE0EEENS1_30default_config_static_selectorELNS0_4arch9wavefront6targetE1EEEvSO_
		.amdhsa_group_segment_fixed_size 0
		.amdhsa_private_segment_fixed_size 0
		.amdhsa_kernarg_size 56
		.amdhsa_user_sgpr_count 6
		.amdhsa_user_sgpr_private_segment_buffer 1
		.amdhsa_user_sgpr_dispatch_ptr 0
		.amdhsa_user_sgpr_queue_ptr 0
		.amdhsa_user_sgpr_kernarg_segment_ptr 1
		.amdhsa_user_sgpr_dispatch_id 0
		.amdhsa_user_sgpr_flat_scratch_init 0
		.amdhsa_user_sgpr_kernarg_preload_length 0
		.amdhsa_user_sgpr_kernarg_preload_offset 0
		.amdhsa_user_sgpr_private_segment_size 0
		.amdhsa_uses_dynamic_stack 0
		.amdhsa_system_sgpr_private_segment_wavefront_offset 0
		.amdhsa_system_sgpr_workgroup_id_x 1
		.amdhsa_system_sgpr_workgroup_id_y 0
		.amdhsa_system_sgpr_workgroup_id_z 0
		.amdhsa_system_sgpr_workgroup_info 0
		.amdhsa_system_vgpr_workitem_id 0
		.amdhsa_next_free_vgpr 1
		.amdhsa_next_free_sgpr 0
		.amdhsa_accum_offset 4
		.amdhsa_reserve_vcc 0
		.amdhsa_reserve_flat_scratch 0
		.amdhsa_float_round_mode_32 0
		.amdhsa_float_round_mode_16_64 0
		.amdhsa_float_denorm_mode_32 3
		.amdhsa_float_denorm_mode_16_64 3
		.amdhsa_dx10_clamp 1
		.amdhsa_ieee_mode 1
		.amdhsa_fp16_overflow 0
		.amdhsa_tg_split 0
		.amdhsa_exception_fp_ieee_invalid_op 0
		.amdhsa_exception_fp_denorm_src 0
		.amdhsa_exception_fp_ieee_div_zero 0
		.amdhsa_exception_fp_ieee_overflow 0
		.amdhsa_exception_fp_ieee_underflow 0
		.amdhsa_exception_fp_ieee_inexact 0
		.amdhsa_exception_int_div_zero 0
	.end_amdhsa_kernel
	.section	.text._ZN7rocprim17ROCPRIM_400000_NS6detail17trampoline_kernelINS0_14default_configENS1_27upper_bound_config_selectorIdlEEZNS1_14transform_implILb0ES3_S5_N6thrust23THRUST_200600_302600_NS17counting_iteratorIdNS8_11use_defaultESA_SA_EEPlZNS1_13binary_searchIS3_S5_PdSB_SC_NS1_21upper_bound_search_opENS8_6detail16wrapped_functionINS0_4lessIvEEbEEEE10hipError_tPvRmT1_T2_T3_mmT4_T5_P12ihipStream_tbEUlRKdE_EESL_SP_SQ_mSR_SU_bEUlT_E_NS1_11comp_targetILNS1_3genE10ELNS1_11target_archE1201ELNS1_3gpuE5ELNS1_3repE0EEENS1_30default_config_static_selectorELNS0_4arch9wavefront6targetE1EEEvSO_,"axG",@progbits,_ZN7rocprim17ROCPRIM_400000_NS6detail17trampoline_kernelINS0_14default_configENS1_27upper_bound_config_selectorIdlEEZNS1_14transform_implILb0ES3_S5_N6thrust23THRUST_200600_302600_NS17counting_iteratorIdNS8_11use_defaultESA_SA_EEPlZNS1_13binary_searchIS3_S5_PdSB_SC_NS1_21upper_bound_search_opENS8_6detail16wrapped_functionINS0_4lessIvEEbEEEE10hipError_tPvRmT1_T2_T3_mmT4_T5_P12ihipStream_tbEUlRKdE_EESL_SP_SQ_mSR_SU_bEUlT_E_NS1_11comp_targetILNS1_3genE10ELNS1_11target_archE1201ELNS1_3gpuE5ELNS1_3repE0EEENS1_30default_config_static_selectorELNS0_4arch9wavefront6targetE1EEEvSO_,comdat
.Lfunc_end94:
	.size	_ZN7rocprim17ROCPRIM_400000_NS6detail17trampoline_kernelINS0_14default_configENS1_27upper_bound_config_selectorIdlEEZNS1_14transform_implILb0ES3_S5_N6thrust23THRUST_200600_302600_NS17counting_iteratorIdNS8_11use_defaultESA_SA_EEPlZNS1_13binary_searchIS3_S5_PdSB_SC_NS1_21upper_bound_search_opENS8_6detail16wrapped_functionINS0_4lessIvEEbEEEE10hipError_tPvRmT1_T2_T3_mmT4_T5_P12ihipStream_tbEUlRKdE_EESL_SP_SQ_mSR_SU_bEUlT_E_NS1_11comp_targetILNS1_3genE10ELNS1_11target_archE1201ELNS1_3gpuE5ELNS1_3repE0EEENS1_30default_config_static_selectorELNS0_4arch9wavefront6targetE1EEEvSO_, .Lfunc_end94-_ZN7rocprim17ROCPRIM_400000_NS6detail17trampoline_kernelINS0_14default_configENS1_27upper_bound_config_selectorIdlEEZNS1_14transform_implILb0ES3_S5_N6thrust23THRUST_200600_302600_NS17counting_iteratorIdNS8_11use_defaultESA_SA_EEPlZNS1_13binary_searchIS3_S5_PdSB_SC_NS1_21upper_bound_search_opENS8_6detail16wrapped_functionINS0_4lessIvEEbEEEE10hipError_tPvRmT1_T2_T3_mmT4_T5_P12ihipStream_tbEUlRKdE_EESL_SP_SQ_mSR_SU_bEUlT_E_NS1_11comp_targetILNS1_3genE10ELNS1_11target_archE1201ELNS1_3gpuE5ELNS1_3repE0EEENS1_30default_config_static_selectorELNS0_4arch9wavefront6targetE1EEEvSO_
                                        ; -- End function
	.section	.AMDGPU.csdata,"",@progbits
; Kernel info:
; codeLenInByte = 0
; NumSgprs: 4
; NumVgprs: 0
; NumAgprs: 0
; TotalNumVgprs: 0
; ScratchSize: 0
; MemoryBound: 0
; FloatMode: 240
; IeeeMode: 1
; LDSByteSize: 0 bytes/workgroup (compile time only)
; SGPRBlocks: 0
; VGPRBlocks: 0
; NumSGPRsForWavesPerEU: 4
; NumVGPRsForWavesPerEU: 1
; AccumOffset: 4
; Occupancy: 8
; WaveLimiterHint : 0
; COMPUTE_PGM_RSRC2:SCRATCH_EN: 0
; COMPUTE_PGM_RSRC2:USER_SGPR: 6
; COMPUTE_PGM_RSRC2:TRAP_HANDLER: 0
; COMPUTE_PGM_RSRC2:TGID_X_EN: 1
; COMPUTE_PGM_RSRC2:TGID_Y_EN: 0
; COMPUTE_PGM_RSRC2:TGID_Z_EN: 0
; COMPUTE_PGM_RSRC2:TIDIG_COMP_CNT: 0
; COMPUTE_PGM_RSRC3_GFX90A:ACCUM_OFFSET: 0
; COMPUTE_PGM_RSRC3_GFX90A:TG_SPLIT: 0
	.section	.text._ZN7rocprim17ROCPRIM_400000_NS6detail17trampoline_kernelINS0_14default_configENS1_27upper_bound_config_selectorIdlEEZNS1_14transform_implILb0ES3_S5_N6thrust23THRUST_200600_302600_NS17counting_iteratorIdNS8_11use_defaultESA_SA_EEPlZNS1_13binary_searchIS3_S5_PdSB_SC_NS1_21upper_bound_search_opENS8_6detail16wrapped_functionINS0_4lessIvEEbEEEE10hipError_tPvRmT1_T2_T3_mmT4_T5_P12ihipStream_tbEUlRKdE_EESL_SP_SQ_mSR_SU_bEUlT_E_NS1_11comp_targetILNS1_3genE10ELNS1_11target_archE1200ELNS1_3gpuE4ELNS1_3repE0EEENS1_30default_config_static_selectorELNS0_4arch9wavefront6targetE1EEEvSO_,"axG",@progbits,_ZN7rocprim17ROCPRIM_400000_NS6detail17trampoline_kernelINS0_14default_configENS1_27upper_bound_config_selectorIdlEEZNS1_14transform_implILb0ES3_S5_N6thrust23THRUST_200600_302600_NS17counting_iteratorIdNS8_11use_defaultESA_SA_EEPlZNS1_13binary_searchIS3_S5_PdSB_SC_NS1_21upper_bound_search_opENS8_6detail16wrapped_functionINS0_4lessIvEEbEEEE10hipError_tPvRmT1_T2_T3_mmT4_T5_P12ihipStream_tbEUlRKdE_EESL_SP_SQ_mSR_SU_bEUlT_E_NS1_11comp_targetILNS1_3genE10ELNS1_11target_archE1200ELNS1_3gpuE4ELNS1_3repE0EEENS1_30default_config_static_selectorELNS0_4arch9wavefront6targetE1EEEvSO_,comdat
	.protected	_ZN7rocprim17ROCPRIM_400000_NS6detail17trampoline_kernelINS0_14default_configENS1_27upper_bound_config_selectorIdlEEZNS1_14transform_implILb0ES3_S5_N6thrust23THRUST_200600_302600_NS17counting_iteratorIdNS8_11use_defaultESA_SA_EEPlZNS1_13binary_searchIS3_S5_PdSB_SC_NS1_21upper_bound_search_opENS8_6detail16wrapped_functionINS0_4lessIvEEbEEEE10hipError_tPvRmT1_T2_T3_mmT4_T5_P12ihipStream_tbEUlRKdE_EESL_SP_SQ_mSR_SU_bEUlT_E_NS1_11comp_targetILNS1_3genE10ELNS1_11target_archE1200ELNS1_3gpuE4ELNS1_3repE0EEENS1_30default_config_static_selectorELNS0_4arch9wavefront6targetE1EEEvSO_ ; -- Begin function _ZN7rocprim17ROCPRIM_400000_NS6detail17trampoline_kernelINS0_14default_configENS1_27upper_bound_config_selectorIdlEEZNS1_14transform_implILb0ES3_S5_N6thrust23THRUST_200600_302600_NS17counting_iteratorIdNS8_11use_defaultESA_SA_EEPlZNS1_13binary_searchIS3_S5_PdSB_SC_NS1_21upper_bound_search_opENS8_6detail16wrapped_functionINS0_4lessIvEEbEEEE10hipError_tPvRmT1_T2_T3_mmT4_T5_P12ihipStream_tbEUlRKdE_EESL_SP_SQ_mSR_SU_bEUlT_E_NS1_11comp_targetILNS1_3genE10ELNS1_11target_archE1200ELNS1_3gpuE4ELNS1_3repE0EEENS1_30default_config_static_selectorELNS0_4arch9wavefront6targetE1EEEvSO_
	.globl	_ZN7rocprim17ROCPRIM_400000_NS6detail17trampoline_kernelINS0_14default_configENS1_27upper_bound_config_selectorIdlEEZNS1_14transform_implILb0ES3_S5_N6thrust23THRUST_200600_302600_NS17counting_iteratorIdNS8_11use_defaultESA_SA_EEPlZNS1_13binary_searchIS3_S5_PdSB_SC_NS1_21upper_bound_search_opENS8_6detail16wrapped_functionINS0_4lessIvEEbEEEE10hipError_tPvRmT1_T2_T3_mmT4_T5_P12ihipStream_tbEUlRKdE_EESL_SP_SQ_mSR_SU_bEUlT_E_NS1_11comp_targetILNS1_3genE10ELNS1_11target_archE1200ELNS1_3gpuE4ELNS1_3repE0EEENS1_30default_config_static_selectorELNS0_4arch9wavefront6targetE1EEEvSO_
	.p2align	8
	.type	_ZN7rocprim17ROCPRIM_400000_NS6detail17trampoline_kernelINS0_14default_configENS1_27upper_bound_config_selectorIdlEEZNS1_14transform_implILb0ES3_S5_N6thrust23THRUST_200600_302600_NS17counting_iteratorIdNS8_11use_defaultESA_SA_EEPlZNS1_13binary_searchIS3_S5_PdSB_SC_NS1_21upper_bound_search_opENS8_6detail16wrapped_functionINS0_4lessIvEEbEEEE10hipError_tPvRmT1_T2_T3_mmT4_T5_P12ihipStream_tbEUlRKdE_EESL_SP_SQ_mSR_SU_bEUlT_E_NS1_11comp_targetILNS1_3genE10ELNS1_11target_archE1200ELNS1_3gpuE4ELNS1_3repE0EEENS1_30default_config_static_selectorELNS0_4arch9wavefront6targetE1EEEvSO_,@function
_ZN7rocprim17ROCPRIM_400000_NS6detail17trampoline_kernelINS0_14default_configENS1_27upper_bound_config_selectorIdlEEZNS1_14transform_implILb0ES3_S5_N6thrust23THRUST_200600_302600_NS17counting_iteratorIdNS8_11use_defaultESA_SA_EEPlZNS1_13binary_searchIS3_S5_PdSB_SC_NS1_21upper_bound_search_opENS8_6detail16wrapped_functionINS0_4lessIvEEbEEEE10hipError_tPvRmT1_T2_T3_mmT4_T5_P12ihipStream_tbEUlRKdE_EESL_SP_SQ_mSR_SU_bEUlT_E_NS1_11comp_targetILNS1_3genE10ELNS1_11target_archE1200ELNS1_3gpuE4ELNS1_3repE0EEENS1_30default_config_static_selectorELNS0_4arch9wavefront6targetE1EEEvSO_: ; @_ZN7rocprim17ROCPRIM_400000_NS6detail17trampoline_kernelINS0_14default_configENS1_27upper_bound_config_selectorIdlEEZNS1_14transform_implILb0ES3_S5_N6thrust23THRUST_200600_302600_NS17counting_iteratorIdNS8_11use_defaultESA_SA_EEPlZNS1_13binary_searchIS3_S5_PdSB_SC_NS1_21upper_bound_search_opENS8_6detail16wrapped_functionINS0_4lessIvEEbEEEE10hipError_tPvRmT1_T2_T3_mmT4_T5_P12ihipStream_tbEUlRKdE_EESL_SP_SQ_mSR_SU_bEUlT_E_NS1_11comp_targetILNS1_3genE10ELNS1_11target_archE1200ELNS1_3gpuE4ELNS1_3repE0EEENS1_30default_config_static_selectorELNS0_4arch9wavefront6targetE1EEEvSO_
; %bb.0:
	.section	.rodata,"a",@progbits
	.p2align	6, 0x0
	.amdhsa_kernel _ZN7rocprim17ROCPRIM_400000_NS6detail17trampoline_kernelINS0_14default_configENS1_27upper_bound_config_selectorIdlEEZNS1_14transform_implILb0ES3_S5_N6thrust23THRUST_200600_302600_NS17counting_iteratorIdNS8_11use_defaultESA_SA_EEPlZNS1_13binary_searchIS3_S5_PdSB_SC_NS1_21upper_bound_search_opENS8_6detail16wrapped_functionINS0_4lessIvEEbEEEE10hipError_tPvRmT1_T2_T3_mmT4_T5_P12ihipStream_tbEUlRKdE_EESL_SP_SQ_mSR_SU_bEUlT_E_NS1_11comp_targetILNS1_3genE10ELNS1_11target_archE1200ELNS1_3gpuE4ELNS1_3repE0EEENS1_30default_config_static_selectorELNS0_4arch9wavefront6targetE1EEEvSO_
		.amdhsa_group_segment_fixed_size 0
		.amdhsa_private_segment_fixed_size 0
		.amdhsa_kernarg_size 56
		.amdhsa_user_sgpr_count 6
		.amdhsa_user_sgpr_private_segment_buffer 1
		.amdhsa_user_sgpr_dispatch_ptr 0
		.amdhsa_user_sgpr_queue_ptr 0
		.amdhsa_user_sgpr_kernarg_segment_ptr 1
		.amdhsa_user_sgpr_dispatch_id 0
		.amdhsa_user_sgpr_flat_scratch_init 0
		.amdhsa_user_sgpr_kernarg_preload_length 0
		.amdhsa_user_sgpr_kernarg_preload_offset 0
		.amdhsa_user_sgpr_private_segment_size 0
		.amdhsa_uses_dynamic_stack 0
		.amdhsa_system_sgpr_private_segment_wavefront_offset 0
		.amdhsa_system_sgpr_workgroup_id_x 1
		.amdhsa_system_sgpr_workgroup_id_y 0
		.amdhsa_system_sgpr_workgroup_id_z 0
		.amdhsa_system_sgpr_workgroup_info 0
		.amdhsa_system_vgpr_workitem_id 0
		.amdhsa_next_free_vgpr 1
		.amdhsa_next_free_sgpr 0
		.amdhsa_accum_offset 4
		.amdhsa_reserve_vcc 0
		.amdhsa_reserve_flat_scratch 0
		.amdhsa_float_round_mode_32 0
		.amdhsa_float_round_mode_16_64 0
		.amdhsa_float_denorm_mode_32 3
		.amdhsa_float_denorm_mode_16_64 3
		.amdhsa_dx10_clamp 1
		.amdhsa_ieee_mode 1
		.amdhsa_fp16_overflow 0
		.amdhsa_tg_split 0
		.amdhsa_exception_fp_ieee_invalid_op 0
		.amdhsa_exception_fp_denorm_src 0
		.amdhsa_exception_fp_ieee_div_zero 0
		.amdhsa_exception_fp_ieee_overflow 0
		.amdhsa_exception_fp_ieee_underflow 0
		.amdhsa_exception_fp_ieee_inexact 0
		.amdhsa_exception_int_div_zero 0
	.end_amdhsa_kernel
	.section	.text._ZN7rocprim17ROCPRIM_400000_NS6detail17trampoline_kernelINS0_14default_configENS1_27upper_bound_config_selectorIdlEEZNS1_14transform_implILb0ES3_S5_N6thrust23THRUST_200600_302600_NS17counting_iteratorIdNS8_11use_defaultESA_SA_EEPlZNS1_13binary_searchIS3_S5_PdSB_SC_NS1_21upper_bound_search_opENS8_6detail16wrapped_functionINS0_4lessIvEEbEEEE10hipError_tPvRmT1_T2_T3_mmT4_T5_P12ihipStream_tbEUlRKdE_EESL_SP_SQ_mSR_SU_bEUlT_E_NS1_11comp_targetILNS1_3genE10ELNS1_11target_archE1200ELNS1_3gpuE4ELNS1_3repE0EEENS1_30default_config_static_selectorELNS0_4arch9wavefront6targetE1EEEvSO_,"axG",@progbits,_ZN7rocprim17ROCPRIM_400000_NS6detail17trampoline_kernelINS0_14default_configENS1_27upper_bound_config_selectorIdlEEZNS1_14transform_implILb0ES3_S5_N6thrust23THRUST_200600_302600_NS17counting_iteratorIdNS8_11use_defaultESA_SA_EEPlZNS1_13binary_searchIS3_S5_PdSB_SC_NS1_21upper_bound_search_opENS8_6detail16wrapped_functionINS0_4lessIvEEbEEEE10hipError_tPvRmT1_T2_T3_mmT4_T5_P12ihipStream_tbEUlRKdE_EESL_SP_SQ_mSR_SU_bEUlT_E_NS1_11comp_targetILNS1_3genE10ELNS1_11target_archE1200ELNS1_3gpuE4ELNS1_3repE0EEENS1_30default_config_static_selectorELNS0_4arch9wavefront6targetE1EEEvSO_,comdat
.Lfunc_end95:
	.size	_ZN7rocprim17ROCPRIM_400000_NS6detail17trampoline_kernelINS0_14default_configENS1_27upper_bound_config_selectorIdlEEZNS1_14transform_implILb0ES3_S5_N6thrust23THRUST_200600_302600_NS17counting_iteratorIdNS8_11use_defaultESA_SA_EEPlZNS1_13binary_searchIS3_S5_PdSB_SC_NS1_21upper_bound_search_opENS8_6detail16wrapped_functionINS0_4lessIvEEbEEEE10hipError_tPvRmT1_T2_T3_mmT4_T5_P12ihipStream_tbEUlRKdE_EESL_SP_SQ_mSR_SU_bEUlT_E_NS1_11comp_targetILNS1_3genE10ELNS1_11target_archE1200ELNS1_3gpuE4ELNS1_3repE0EEENS1_30default_config_static_selectorELNS0_4arch9wavefront6targetE1EEEvSO_, .Lfunc_end95-_ZN7rocprim17ROCPRIM_400000_NS6detail17trampoline_kernelINS0_14default_configENS1_27upper_bound_config_selectorIdlEEZNS1_14transform_implILb0ES3_S5_N6thrust23THRUST_200600_302600_NS17counting_iteratorIdNS8_11use_defaultESA_SA_EEPlZNS1_13binary_searchIS3_S5_PdSB_SC_NS1_21upper_bound_search_opENS8_6detail16wrapped_functionINS0_4lessIvEEbEEEE10hipError_tPvRmT1_T2_T3_mmT4_T5_P12ihipStream_tbEUlRKdE_EESL_SP_SQ_mSR_SU_bEUlT_E_NS1_11comp_targetILNS1_3genE10ELNS1_11target_archE1200ELNS1_3gpuE4ELNS1_3repE0EEENS1_30default_config_static_selectorELNS0_4arch9wavefront6targetE1EEEvSO_
                                        ; -- End function
	.section	.AMDGPU.csdata,"",@progbits
; Kernel info:
; codeLenInByte = 0
; NumSgprs: 4
; NumVgprs: 0
; NumAgprs: 0
; TotalNumVgprs: 0
; ScratchSize: 0
; MemoryBound: 0
; FloatMode: 240
; IeeeMode: 1
; LDSByteSize: 0 bytes/workgroup (compile time only)
; SGPRBlocks: 0
; VGPRBlocks: 0
; NumSGPRsForWavesPerEU: 4
; NumVGPRsForWavesPerEU: 1
; AccumOffset: 4
; Occupancy: 8
; WaveLimiterHint : 0
; COMPUTE_PGM_RSRC2:SCRATCH_EN: 0
; COMPUTE_PGM_RSRC2:USER_SGPR: 6
; COMPUTE_PGM_RSRC2:TRAP_HANDLER: 0
; COMPUTE_PGM_RSRC2:TGID_X_EN: 1
; COMPUTE_PGM_RSRC2:TGID_Y_EN: 0
; COMPUTE_PGM_RSRC2:TGID_Z_EN: 0
; COMPUTE_PGM_RSRC2:TIDIG_COMP_CNT: 0
; COMPUTE_PGM_RSRC3_GFX90A:ACCUM_OFFSET: 0
; COMPUTE_PGM_RSRC3_GFX90A:TG_SPLIT: 0
	.section	.text._ZN7rocprim17ROCPRIM_400000_NS6detail17trampoline_kernelINS0_14default_configENS1_27upper_bound_config_selectorIdlEEZNS1_14transform_implILb0ES3_S5_N6thrust23THRUST_200600_302600_NS17counting_iteratorIdNS8_11use_defaultESA_SA_EEPlZNS1_13binary_searchIS3_S5_PdSB_SC_NS1_21upper_bound_search_opENS8_6detail16wrapped_functionINS0_4lessIvEEbEEEE10hipError_tPvRmT1_T2_T3_mmT4_T5_P12ihipStream_tbEUlRKdE_EESL_SP_SQ_mSR_SU_bEUlT_E_NS1_11comp_targetILNS1_3genE9ELNS1_11target_archE1100ELNS1_3gpuE3ELNS1_3repE0EEENS1_30default_config_static_selectorELNS0_4arch9wavefront6targetE1EEEvSO_,"axG",@progbits,_ZN7rocprim17ROCPRIM_400000_NS6detail17trampoline_kernelINS0_14default_configENS1_27upper_bound_config_selectorIdlEEZNS1_14transform_implILb0ES3_S5_N6thrust23THRUST_200600_302600_NS17counting_iteratorIdNS8_11use_defaultESA_SA_EEPlZNS1_13binary_searchIS3_S5_PdSB_SC_NS1_21upper_bound_search_opENS8_6detail16wrapped_functionINS0_4lessIvEEbEEEE10hipError_tPvRmT1_T2_T3_mmT4_T5_P12ihipStream_tbEUlRKdE_EESL_SP_SQ_mSR_SU_bEUlT_E_NS1_11comp_targetILNS1_3genE9ELNS1_11target_archE1100ELNS1_3gpuE3ELNS1_3repE0EEENS1_30default_config_static_selectorELNS0_4arch9wavefront6targetE1EEEvSO_,comdat
	.protected	_ZN7rocprim17ROCPRIM_400000_NS6detail17trampoline_kernelINS0_14default_configENS1_27upper_bound_config_selectorIdlEEZNS1_14transform_implILb0ES3_S5_N6thrust23THRUST_200600_302600_NS17counting_iteratorIdNS8_11use_defaultESA_SA_EEPlZNS1_13binary_searchIS3_S5_PdSB_SC_NS1_21upper_bound_search_opENS8_6detail16wrapped_functionINS0_4lessIvEEbEEEE10hipError_tPvRmT1_T2_T3_mmT4_T5_P12ihipStream_tbEUlRKdE_EESL_SP_SQ_mSR_SU_bEUlT_E_NS1_11comp_targetILNS1_3genE9ELNS1_11target_archE1100ELNS1_3gpuE3ELNS1_3repE0EEENS1_30default_config_static_selectorELNS0_4arch9wavefront6targetE1EEEvSO_ ; -- Begin function _ZN7rocprim17ROCPRIM_400000_NS6detail17trampoline_kernelINS0_14default_configENS1_27upper_bound_config_selectorIdlEEZNS1_14transform_implILb0ES3_S5_N6thrust23THRUST_200600_302600_NS17counting_iteratorIdNS8_11use_defaultESA_SA_EEPlZNS1_13binary_searchIS3_S5_PdSB_SC_NS1_21upper_bound_search_opENS8_6detail16wrapped_functionINS0_4lessIvEEbEEEE10hipError_tPvRmT1_T2_T3_mmT4_T5_P12ihipStream_tbEUlRKdE_EESL_SP_SQ_mSR_SU_bEUlT_E_NS1_11comp_targetILNS1_3genE9ELNS1_11target_archE1100ELNS1_3gpuE3ELNS1_3repE0EEENS1_30default_config_static_selectorELNS0_4arch9wavefront6targetE1EEEvSO_
	.globl	_ZN7rocprim17ROCPRIM_400000_NS6detail17trampoline_kernelINS0_14default_configENS1_27upper_bound_config_selectorIdlEEZNS1_14transform_implILb0ES3_S5_N6thrust23THRUST_200600_302600_NS17counting_iteratorIdNS8_11use_defaultESA_SA_EEPlZNS1_13binary_searchIS3_S5_PdSB_SC_NS1_21upper_bound_search_opENS8_6detail16wrapped_functionINS0_4lessIvEEbEEEE10hipError_tPvRmT1_T2_T3_mmT4_T5_P12ihipStream_tbEUlRKdE_EESL_SP_SQ_mSR_SU_bEUlT_E_NS1_11comp_targetILNS1_3genE9ELNS1_11target_archE1100ELNS1_3gpuE3ELNS1_3repE0EEENS1_30default_config_static_selectorELNS0_4arch9wavefront6targetE1EEEvSO_
	.p2align	8
	.type	_ZN7rocprim17ROCPRIM_400000_NS6detail17trampoline_kernelINS0_14default_configENS1_27upper_bound_config_selectorIdlEEZNS1_14transform_implILb0ES3_S5_N6thrust23THRUST_200600_302600_NS17counting_iteratorIdNS8_11use_defaultESA_SA_EEPlZNS1_13binary_searchIS3_S5_PdSB_SC_NS1_21upper_bound_search_opENS8_6detail16wrapped_functionINS0_4lessIvEEbEEEE10hipError_tPvRmT1_T2_T3_mmT4_T5_P12ihipStream_tbEUlRKdE_EESL_SP_SQ_mSR_SU_bEUlT_E_NS1_11comp_targetILNS1_3genE9ELNS1_11target_archE1100ELNS1_3gpuE3ELNS1_3repE0EEENS1_30default_config_static_selectorELNS0_4arch9wavefront6targetE1EEEvSO_,@function
_ZN7rocprim17ROCPRIM_400000_NS6detail17trampoline_kernelINS0_14default_configENS1_27upper_bound_config_selectorIdlEEZNS1_14transform_implILb0ES3_S5_N6thrust23THRUST_200600_302600_NS17counting_iteratorIdNS8_11use_defaultESA_SA_EEPlZNS1_13binary_searchIS3_S5_PdSB_SC_NS1_21upper_bound_search_opENS8_6detail16wrapped_functionINS0_4lessIvEEbEEEE10hipError_tPvRmT1_T2_T3_mmT4_T5_P12ihipStream_tbEUlRKdE_EESL_SP_SQ_mSR_SU_bEUlT_E_NS1_11comp_targetILNS1_3genE9ELNS1_11target_archE1100ELNS1_3gpuE3ELNS1_3repE0EEENS1_30default_config_static_selectorELNS0_4arch9wavefront6targetE1EEEvSO_: ; @_ZN7rocprim17ROCPRIM_400000_NS6detail17trampoline_kernelINS0_14default_configENS1_27upper_bound_config_selectorIdlEEZNS1_14transform_implILb0ES3_S5_N6thrust23THRUST_200600_302600_NS17counting_iteratorIdNS8_11use_defaultESA_SA_EEPlZNS1_13binary_searchIS3_S5_PdSB_SC_NS1_21upper_bound_search_opENS8_6detail16wrapped_functionINS0_4lessIvEEbEEEE10hipError_tPvRmT1_T2_T3_mmT4_T5_P12ihipStream_tbEUlRKdE_EESL_SP_SQ_mSR_SU_bEUlT_E_NS1_11comp_targetILNS1_3genE9ELNS1_11target_archE1100ELNS1_3gpuE3ELNS1_3repE0EEENS1_30default_config_static_selectorELNS0_4arch9wavefront6targetE1EEEvSO_
; %bb.0:
	.section	.rodata,"a",@progbits
	.p2align	6, 0x0
	.amdhsa_kernel _ZN7rocprim17ROCPRIM_400000_NS6detail17trampoline_kernelINS0_14default_configENS1_27upper_bound_config_selectorIdlEEZNS1_14transform_implILb0ES3_S5_N6thrust23THRUST_200600_302600_NS17counting_iteratorIdNS8_11use_defaultESA_SA_EEPlZNS1_13binary_searchIS3_S5_PdSB_SC_NS1_21upper_bound_search_opENS8_6detail16wrapped_functionINS0_4lessIvEEbEEEE10hipError_tPvRmT1_T2_T3_mmT4_T5_P12ihipStream_tbEUlRKdE_EESL_SP_SQ_mSR_SU_bEUlT_E_NS1_11comp_targetILNS1_3genE9ELNS1_11target_archE1100ELNS1_3gpuE3ELNS1_3repE0EEENS1_30default_config_static_selectorELNS0_4arch9wavefront6targetE1EEEvSO_
		.amdhsa_group_segment_fixed_size 0
		.amdhsa_private_segment_fixed_size 0
		.amdhsa_kernarg_size 56
		.amdhsa_user_sgpr_count 6
		.amdhsa_user_sgpr_private_segment_buffer 1
		.amdhsa_user_sgpr_dispatch_ptr 0
		.amdhsa_user_sgpr_queue_ptr 0
		.amdhsa_user_sgpr_kernarg_segment_ptr 1
		.amdhsa_user_sgpr_dispatch_id 0
		.amdhsa_user_sgpr_flat_scratch_init 0
		.amdhsa_user_sgpr_kernarg_preload_length 0
		.amdhsa_user_sgpr_kernarg_preload_offset 0
		.amdhsa_user_sgpr_private_segment_size 0
		.amdhsa_uses_dynamic_stack 0
		.amdhsa_system_sgpr_private_segment_wavefront_offset 0
		.amdhsa_system_sgpr_workgroup_id_x 1
		.amdhsa_system_sgpr_workgroup_id_y 0
		.amdhsa_system_sgpr_workgroup_id_z 0
		.amdhsa_system_sgpr_workgroup_info 0
		.amdhsa_system_vgpr_workitem_id 0
		.amdhsa_next_free_vgpr 1
		.amdhsa_next_free_sgpr 0
		.amdhsa_accum_offset 4
		.amdhsa_reserve_vcc 0
		.amdhsa_reserve_flat_scratch 0
		.amdhsa_float_round_mode_32 0
		.amdhsa_float_round_mode_16_64 0
		.amdhsa_float_denorm_mode_32 3
		.amdhsa_float_denorm_mode_16_64 3
		.amdhsa_dx10_clamp 1
		.amdhsa_ieee_mode 1
		.amdhsa_fp16_overflow 0
		.amdhsa_tg_split 0
		.amdhsa_exception_fp_ieee_invalid_op 0
		.amdhsa_exception_fp_denorm_src 0
		.amdhsa_exception_fp_ieee_div_zero 0
		.amdhsa_exception_fp_ieee_overflow 0
		.amdhsa_exception_fp_ieee_underflow 0
		.amdhsa_exception_fp_ieee_inexact 0
		.amdhsa_exception_int_div_zero 0
	.end_amdhsa_kernel
	.section	.text._ZN7rocprim17ROCPRIM_400000_NS6detail17trampoline_kernelINS0_14default_configENS1_27upper_bound_config_selectorIdlEEZNS1_14transform_implILb0ES3_S5_N6thrust23THRUST_200600_302600_NS17counting_iteratorIdNS8_11use_defaultESA_SA_EEPlZNS1_13binary_searchIS3_S5_PdSB_SC_NS1_21upper_bound_search_opENS8_6detail16wrapped_functionINS0_4lessIvEEbEEEE10hipError_tPvRmT1_T2_T3_mmT4_T5_P12ihipStream_tbEUlRKdE_EESL_SP_SQ_mSR_SU_bEUlT_E_NS1_11comp_targetILNS1_3genE9ELNS1_11target_archE1100ELNS1_3gpuE3ELNS1_3repE0EEENS1_30default_config_static_selectorELNS0_4arch9wavefront6targetE1EEEvSO_,"axG",@progbits,_ZN7rocprim17ROCPRIM_400000_NS6detail17trampoline_kernelINS0_14default_configENS1_27upper_bound_config_selectorIdlEEZNS1_14transform_implILb0ES3_S5_N6thrust23THRUST_200600_302600_NS17counting_iteratorIdNS8_11use_defaultESA_SA_EEPlZNS1_13binary_searchIS3_S5_PdSB_SC_NS1_21upper_bound_search_opENS8_6detail16wrapped_functionINS0_4lessIvEEbEEEE10hipError_tPvRmT1_T2_T3_mmT4_T5_P12ihipStream_tbEUlRKdE_EESL_SP_SQ_mSR_SU_bEUlT_E_NS1_11comp_targetILNS1_3genE9ELNS1_11target_archE1100ELNS1_3gpuE3ELNS1_3repE0EEENS1_30default_config_static_selectorELNS0_4arch9wavefront6targetE1EEEvSO_,comdat
.Lfunc_end96:
	.size	_ZN7rocprim17ROCPRIM_400000_NS6detail17trampoline_kernelINS0_14default_configENS1_27upper_bound_config_selectorIdlEEZNS1_14transform_implILb0ES3_S5_N6thrust23THRUST_200600_302600_NS17counting_iteratorIdNS8_11use_defaultESA_SA_EEPlZNS1_13binary_searchIS3_S5_PdSB_SC_NS1_21upper_bound_search_opENS8_6detail16wrapped_functionINS0_4lessIvEEbEEEE10hipError_tPvRmT1_T2_T3_mmT4_T5_P12ihipStream_tbEUlRKdE_EESL_SP_SQ_mSR_SU_bEUlT_E_NS1_11comp_targetILNS1_3genE9ELNS1_11target_archE1100ELNS1_3gpuE3ELNS1_3repE0EEENS1_30default_config_static_selectorELNS0_4arch9wavefront6targetE1EEEvSO_, .Lfunc_end96-_ZN7rocprim17ROCPRIM_400000_NS6detail17trampoline_kernelINS0_14default_configENS1_27upper_bound_config_selectorIdlEEZNS1_14transform_implILb0ES3_S5_N6thrust23THRUST_200600_302600_NS17counting_iteratorIdNS8_11use_defaultESA_SA_EEPlZNS1_13binary_searchIS3_S5_PdSB_SC_NS1_21upper_bound_search_opENS8_6detail16wrapped_functionINS0_4lessIvEEbEEEE10hipError_tPvRmT1_T2_T3_mmT4_T5_P12ihipStream_tbEUlRKdE_EESL_SP_SQ_mSR_SU_bEUlT_E_NS1_11comp_targetILNS1_3genE9ELNS1_11target_archE1100ELNS1_3gpuE3ELNS1_3repE0EEENS1_30default_config_static_selectorELNS0_4arch9wavefront6targetE1EEEvSO_
                                        ; -- End function
	.section	.AMDGPU.csdata,"",@progbits
; Kernel info:
; codeLenInByte = 0
; NumSgprs: 4
; NumVgprs: 0
; NumAgprs: 0
; TotalNumVgprs: 0
; ScratchSize: 0
; MemoryBound: 0
; FloatMode: 240
; IeeeMode: 1
; LDSByteSize: 0 bytes/workgroup (compile time only)
; SGPRBlocks: 0
; VGPRBlocks: 0
; NumSGPRsForWavesPerEU: 4
; NumVGPRsForWavesPerEU: 1
; AccumOffset: 4
; Occupancy: 8
; WaveLimiterHint : 0
; COMPUTE_PGM_RSRC2:SCRATCH_EN: 0
; COMPUTE_PGM_RSRC2:USER_SGPR: 6
; COMPUTE_PGM_RSRC2:TRAP_HANDLER: 0
; COMPUTE_PGM_RSRC2:TGID_X_EN: 1
; COMPUTE_PGM_RSRC2:TGID_Y_EN: 0
; COMPUTE_PGM_RSRC2:TGID_Z_EN: 0
; COMPUTE_PGM_RSRC2:TIDIG_COMP_CNT: 0
; COMPUTE_PGM_RSRC3_GFX90A:ACCUM_OFFSET: 0
; COMPUTE_PGM_RSRC3_GFX90A:TG_SPLIT: 0
	.section	.text._ZN7rocprim17ROCPRIM_400000_NS6detail17trampoline_kernelINS0_14default_configENS1_27upper_bound_config_selectorIdlEEZNS1_14transform_implILb0ES3_S5_N6thrust23THRUST_200600_302600_NS17counting_iteratorIdNS8_11use_defaultESA_SA_EEPlZNS1_13binary_searchIS3_S5_PdSB_SC_NS1_21upper_bound_search_opENS8_6detail16wrapped_functionINS0_4lessIvEEbEEEE10hipError_tPvRmT1_T2_T3_mmT4_T5_P12ihipStream_tbEUlRKdE_EESL_SP_SQ_mSR_SU_bEUlT_E_NS1_11comp_targetILNS1_3genE8ELNS1_11target_archE1030ELNS1_3gpuE2ELNS1_3repE0EEENS1_30default_config_static_selectorELNS0_4arch9wavefront6targetE1EEEvSO_,"axG",@progbits,_ZN7rocprim17ROCPRIM_400000_NS6detail17trampoline_kernelINS0_14default_configENS1_27upper_bound_config_selectorIdlEEZNS1_14transform_implILb0ES3_S5_N6thrust23THRUST_200600_302600_NS17counting_iteratorIdNS8_11use_defaultESA_SA_EEPlZNS1_13binary_searchIS3_S5_PdSB_SC_NS1_21upper_bound_search_opENS8_6detail16wrapped_functionINS0_4lessIvEEbEEEE10hipError_tPvRmT1_T2_T3_mmT4_T5_P12ihipStream_tbEUlRKdE_EESL_SP_SQ_mSR_SU_bEUlT_E_NS1_11comp_targetILNS1_3genE8ELNS1_11target_archE1030ELNS1_3gpuE2ELNS1_3repE0EEENS1_30default_config_static_selectorELNS0_4arch9wavefront6targetE1EEEvSO_,comdat
	.protected	_ZN7rocprim17ROCPRIM_400000_NS6detail17trampoline_kernelINS0_14default_configENS1_27upper_bound_config_selectorIdlEEZNS1_14transform_implILb0ES3_S5_N6thrust23THRUST_200600_302600_NS17counting_iteratorIdNS8_11use_defaultESA_SA_EEPlZNS1_13binary_searchIS3_S5_PdSB_SC_NS1_21upper_bound_search_opENS8_6detail16wrapped_functionINS0_4lessIvEEbEEEE10hipError_tPvRmT1_T2_T3_mmT4_T5_P12ihipStream_tbEUlRKdE_EESL_SP_SQ_mSR_SU_bEUlT_E_NS1_11comp_targetILNS1_3genE8ELNS1_11target_archE1030ELNS1_3gpuE2ELNS1_3repE0EEENS1_30default_config_static_selectorELNS0_4arch9wavefront6targetE1EEEvSO_ ; -- Begin function _ZN7rocprim17ROCPRIM_400000_NS6detail17trampoline_kernelINS0_14default_configENS1_27upper_bound_config_selectorIdlEEZNS1_14transform_implILb0ES3_S5_N6thrust23THRUST_200600_302600_NS17counting_iteratorIdNS8_11use_defaultESA_SA_EEPlZNS1_13binary_searchIS3_S5_PdSB_SC_NS1_21upper_bound_search_opENS8_6detail16wrapped_functionINS0_4lessIvEEbEEEE10hipError_tPvRmT1_T2_T3_mmT4_T5_P12ihipStream_tbEUlRKdE_EESL_SP_SQ_mSR_SU_bEUlT_E_NS1_11comp_targetILNS1_3genE8ELNS1_11target_archE1030ELNS1_3gpuE2ELNS1_3repE0EEENS1_30default_config_static_selectorELNS0_4arch9wavefront6targetE1EEEvSO_
	.globl	_ZN7rocprim17ROCPRIM_400000_NS6detail17trampoline_kernelINS0_14default_configENS1_27upper_bound_config_selectorIdlEEZNS1_14transform_implILb0ES3_S5_N6thrust23THRUST_200600_302600_NS17counting_iteratorIdNS8_11use_defaultESA_SA_EEPlZNS1_13binary_searchIS3_S5_PdSB_SC_NS1_21upper_bound_search_opENS8_6detail16wrapped_functionINS0_4lessIvEEbEEEE10hipError_tPvRmT1_T2_T3_mmT4_T5_P12ihipStream_tbEUlRKdE_EESL_SP_SQ_mSR_SU_bEUlT_E_NS1_11comp_targetILNS1_3genE8ELNS1_11target_archE1030ELNS1_3gpuE2ELNS1_3repE0EEENS1_30default_config_static_selectorELNS0_4arch9wavefront6targetE1EEEvSO_
	.p2align	8
	.type	_ZN7rocprim17ROCPRIM_400000_NS6detail17trampoline_kernelINS0_14default_configENS1_27upper_bound_config_selectorIdlEEZNS1_14transform_implILb0ES3_S5_N6thrust23THRUST_200600_302600_NS17counting_iteratorIdNS8_11use_defaultESA_SA_EEPlZNS1_13binary_searchIS3_S5_PdSB_SC_NS1_21upper_bound_search_opENS8_6detail16wrapped_functionINS0_4lessIvEEbEEEE10hipError_tPvRmT1_T2_T3_mmT4_T5_P12ihipStream_tbEUlRKdE_EESL_SP_SQ_mSR_SU_bEUlT_E_NS1_11comp_targetILNS1_3genE8ELNS1_11target_archE1030ELNS1_3gpuE2ELNS1_3repE0EEENS1_30default_config_static_selectorELNS0_4arch9wavefront6targetE1EEEvSO_,@function
_ZN7rocprim17ROCPRIM_400000_NS6detail17trampoline_kernelINS0_14default_configENS1_27upper_bound_config_selectorIdlEEZNS1_14transform_implILb0ES3_S5_N6thrust23THRUST_200600_302600_NS17counting_iteratorIdNS8_11use_defaultESA_SA_EEPlZNS1_13binary_searchIS3_S5_PdSB_SC_NS1_21upper_bound_search_opENS8_6detail16wrapped_functionINS0_4lessIvEEbEEEE10hipError_tPvRmT1_T2_T3_mmT4_T5_P12ihipStream_tbEUlRKdE_EESL_SP_SQ_mSR_SU_bEUlT_E_NS1_11comp_targetILNS1_3genE8ELNS1_11target_archE1030ELNS1_3gpuE2ELNS1_3repE0EEENS1_30default_config_static_selectorELNS0_4arch9wavefront6targetE1EEEvSO_: ; @_ZN7rocprim17ROCPRIM_400000_NS6detail17trampoline_kernelINS0_14default_configENS1_27upper_bound_config_selectorIdlEEZNS1_14transform_implILb0ES3_S5_N6thrust23THRUST_200600_302600_NS17counting_iteratorIdNS8_11use_defaultESA_SA_EEPlZNS1_13binary_searchIS3_S5_PdSB_SC_NS1_21upper_bound_search_opENS8_6detail16wrapped_functionINS0_4lessIvEEbEEEE10hipError_tPvRmT1_T2_T3_mmT4_T5_P12ihipStream_tbEUlRKdE_EESL_SP_SQ_mSR_SU_bEUlT_E_NS1_11comp_targetILNS1_3genE8ELNS1_11target_archE1030ELNS1_3gpuE2ELNS1_3repE0EEENS1_30default_config_static_selectorELNS0_4arch9wavefront6targetE1EEEvSO_
; %bb.0:
	.section	.rodata,"a",@progbits
	.p2align	6, 0x0
	.amdhsa_kernel _ZN7rocprim17ROCPRIM_400000_NS6detail17trampoline_kernelINS0_14default_configENS1_27upper_bound_config_selectorIdlEEZNS1_14transform_implILb0ES3_S5_N6thrust23THRUST_200600_302600_NS17counting_iteratorIdNS8_11use_defaultESA_SA_EEPlZNS1_13binary_searchIS3_S5_PdSB_SC_NS1_21upper_bound_search_opENS8_6detail16wrapped_functionINS0_4lessIvEEbEEEE10hipError_tPvRmT1_T2_T3_mmT4_T5_P12ihipStream_tbEUlRKdE_EESL_SP_SQ_mSR_SU_bEUlT_E_NS1_11comp_targetILNS1_3genE8ELNS1_11target_archE1030ELNS1_3gpuE2ELNS1_3repE0EEENS1_30default_config_static_selectorELNS0_4arch9wavefront6targetE1EEEvSO_
		.amdhsa_group_segment_fixed_size 0
		.amdhsa_private_segment_fixed_size 0
		.amdhsa_kernarg_size 56
		.amdhsa_user_sgpr_count 6
		.amdhsa_user_sgpr_private_segment_buffer 1
		.amdhsa_user_sgpr_dispatch_ptr 0
		.amdhsa_user_sgpr_queue_ptr 0
		.amdhsa_user_sgpr_kernarg_segment_ptr 1
		.amdhsa_user_sgpr_dispatch_id 0
		.amdhsa_user_sgpr_flat_scratch_init 0
		.amdhsa_user_sgpr_kernarg_preload_length 0
		.amdhsa_user_sgpr_kernarg_preload_offset 0
		.amdhsa_user_sgpr_private_segment_size 0
		.amdhsa_uses_dynamic_stack 0
		.amdhsa_system_sgpr_private_segment_wavefront_offset 0
		.amdhsa_system_sgpr_workgroup_id_x 1
		.amdhsa_system_sgpr_workgroup_id_y 0
		.amdhsa_system_sgpr_workgroup_id_z 0
		.amdhsa_system_sgpr_workgroup_info 0
		.amdhsa_system_vgpr_workitem_id 0
		.amdhsa_next_free_vgpr 1
		.amdhsa_next_free_sgpr 0
		.amdhsa_accum_offset 4
		.amdhsa_reserve_vcc 0
		.amdhsa_reserve_flat_scratch 0
		.amdhsa_float_round_mode_32 0
		.amdhsa_float_round_mode_16_64 0
		.amdhsa_float_denorm_mode_32 3
		.amdhsa_float_denorm_mode_16_64 3
		.amdhsa_dx10_clamp 1
		.amdhsa_ieee_mode 1
		.amdhsa_fp16_overflow 0
		.amdhsa_tg_split 0
		.amdhsa_exception_fp_ieee_invalid_op 0
		.amdhsa_exception_fp_denorm_src 0
		.amdhsa_exception_fp_ieee_div_zero 0
		.amdhsa_exception_fp_ieee_overflow 0
		.amdhsa_exception_fp_ieee_underflow 0
		.amdhsa_exception_fp_ieee_inexact 0
		.amdhsa_exception_int_div_zero 0
	.end_amdhsa_kernel
	.section	.text._ZN7rocprim17ROCPRIM_400000_NS6detail17trampoline_kernelINS0_14default_configENS1_27upper_bound_config_selectorIdlEEZNS1_14transform_implILb0ES3_S5_N6thrust23THRUST_200600_302600_NS17counting_iteratorIdNS8_11use_defaultESA_SA_EEPlZNS1_13binary_searchIS3_S5_PdSB_SC_NS1_21upper_bound_search_opENS8_6detail16wrapped_functionINS0_4lessIvEEbEEEE10hipError_tPvRmT1_T2_T3_mmT4_T5_P12ihipStream_tbEUlRKdE_EESL_SP_SQ_mSR_SU_bEUlT_E_NS1_11comp_targetILNS1_3genE8ELNS1_11target_archE1030ELNS1_3gpuE2ELNS1_3repE0EEENS1_30default_config_static_selectorELNS0_4arch9wavefront6targetE1EEEvSO_,"axG",@progbits,_ZN7rocprim17ROCPRIM_400000_NS6detail17trampoline_kernelINS0_14default_configENS1_27upper_bound_config_selectorIdlEEZNS1_14transform_implILb0ES3_S5_N6thrust23THRUST_200600_302600_NS17counting_iteratorIdNS8_11use_defaultESA_SA_EEPlZNS1_13binary_searchIS3_S5_PdSB_SC_NS1_21upper_bound_search_opENS8_6detail16wrapped_functionINS0_4lessIvEEbEEEE10hipError_tPvRmT1_T2_T3_mmT4_T5_P12ihipStream_tbEUlRKdE_EESL_SP_SQ_mSR_SU_bEUlT_E_NS1_11comp_targetILNS1_3genE8ELNS1_11target_archE1030ELNS1_3gpuE2ELNS1_3repE0EEENS1_30default_config_static_selectorELNS0_4arch9wavefront6targetE1EEEvSO_,comdat
.Lfunc_end97:
	.size	_ZN7rocprim17ROCPRIM_400000_NS6detail17trampoline_kernelINS0_14default_configENS1_27upper_bound_config_selectorIdlEEZNS1_14transform_implILb0ES3_S5_N6thrust23THRUST_200600_302600_NS17counting_iteratorIdNS8_11use_defaultESA_SA_EEPlZNS1_13binary_searchIS3_S5_PdSB_SC_NS1_21upper_bound_search_opENS8_6detail16wrapped_functionINS0_4lessIvEEbEEEE10hipError_tPvRmT1_T2_T3_mmT4_T5_P12ihipStream_tbEUlRKdE_EESL_SP_SQ_mSR_SU_bEUlT_E_NS1_11comp_targetILNS1_3genE8ELNS1_11target_archE1030ELNS1_3gpuE2ELNS1_3repE0EEENS1_30default_config_static_selectorELNS0_4arch9wavefront6targetE1EEEvSO_, .Lfunc_end97-_ZN7rocprim17ROCPRIM_400000_NS6detail17trampoline_kernelINS0_14default_configENS1_27upper_bound_config_selectorIdlEEZNS1_14transform_implILb0ES3_S5_N6thrust23THRUST_200600_302600_NS17counting_iteratorIdNS8_11use_defaultESA_SA_EEPlZNS1_13binary_searchIS3_S5_PdSB_SC_NS1_21upper_bound_search_opENS8_6detail16wrapped_functionINS0_4lessIvEEbEEEE10hipError_tPvRmT1_T2_T3_mmT4_T5_P12ihipStream_tbEUlRKdE_EESL_SP_SQ_mSR_SU_bEUlT_E_NS1_11comp_targetILNS1_3genE8ELNS1_11target_archE1030ELNS1_3gpuE2ELNS1_3repE0EEENS1_30default_config_static_selectorELNS0_4arch9wavefront6targetE1EEEvSO_
                                        ; -- End function
	.section	.AMDGPU.csdata,"",@progbits
; Kernel info:
; codeLenInByte = 0
; NumSgprs: 4
; NumVgprs: 0
; NumAgprs: 0
; TotalNumVgprs: 0
; ScratchSize: 0
; MemoryBound: 0
; FloatMode: 240
; IeeeMode: 1
; LDSByteSize: 0 bytes/workgroup (compile time only)
; SGPRBlocks: 0
; VGPRBlocks: 0
; NumSGPRsForWavesPerEU: 4
; NumVGPRsForWavesPerEU: 1
; AccumOffset: 4
; Occupancy: 8
; WaveLimiterHint : 0
; COMPUTE_PGM_RSRC2:SCRATCH_EN: 0
; COMPUTE_PGM_RSRC2:USER_SGPR: 6
; COMPUTE_PGM_RSRC2:TRAP_HANDLER: 0
; COMPUTE_PGM_RSRC2:TGID_X_EN: 1
; COMPUTE_PGM_RSRC2:TGID_Y_EN: 0
; COMPUTE_PGM_RSRC2:TGID_Z_EN: 0
; COMPUTE_PGM_RSRC2:TIDIG_COMP_CNT: 0
; COMPUTE_PGM_RSRC3_GFX90A:ACCUM_OFFSET: 0
; COMPUTE_PGM_RSRC3_GFX90A:TG_SPLIT: 0
	.section	.text._Z18upper_bound_kernelIfEvmPT_Pl,"axG",@progbits,_Z18upper_bound_kernelIfEvmPT_Pl,comdat
	.protected	_Z18upper_bound_kernelIfEvmPT_Pl ; -- Begin function _Z18upper_bound_kernelIfEvmPT_Pl
	.globl	_Z18upper_bound_kernelIfEvmPT_Pl
	.p2align	8
	.type	_Z18upper_bound_kernelIfEvmPT_Pl,@function
_Z18upper_bound_kernelIfEvmPT_Pl:       ; @_Z18upper_bound_kernelIfEvmPT_Pl
; %bb.0:
	s_load_dwordx4 s[8:11], s[4:5], 0x0
	s_load_dwordx2 s[2:3], s[4:5], 0x10
	v_mov_b32_e32 v0, 0
	s_mov_b32 s12, 0x2f800000
	s_mov_b32 s13, 0xcf800000
	s_waitcnt lgkmcnt(0)
	v_cmp_gt_i64_e64 s[0:1], s[8:9], 0
	v_cndmask_b32_e64 v1, 0, 1, s[0:1]
	v_cmp_ne_u32_e64 s[0:1], 1, v1
	v_mov_b32_e32 v1, 0
	s_branch .LBB98_2
.LBB98_1:                               ;   in Loop: Header=BB98_2 Depth=1
	v_pk_mov_b32 v[2:3], s[4:5], s[4:5] op_sel:[0,1]
	v_add_f32_e32 v1, 1.0, v1
	global_store_dwordx2 v0, v[2:3], s[2:3]
	v_sub_f32_e32 v2, 0x41200000, v1
	v_trunc_f32_e32 v2, v2
	v_mul_f32_e64 v3, |v2|, s12
	v_floor_f32_e32 v3, v3
	v_fma_f32 v4, v3, s13, |v2|
	v_cvt_u32_f32_e32 v4, v4
	v_cvt_u32_f32_e32 v3, v3
	v_ashrrev_i32_e32 v5, 31, v2
	s_add_u32 s2, s2, 8
	v_xor_b32_e32 v2, v4, v5
	v_xor_b32_e32 v3, v3, v5
	v_sub_co_u32_e32 v2, vcc, v2, v5
	v_subb_co_u32_e32 v3, vcc, v3, v5, vcc
	v_cmp_ne_u64_e32 vcc, 0, v[2:3]
	s_addc_u32 s3, s3, 0
	s_cbranch_vccz .LBB98_5
.LBB98_2:                               ; =>This Loop Header: Depth=1
                                        ;     Child Loop BB98_4 Depth 2
	s_and_b64 vcc, exec, s[0:1]
	s_mov_b64 s[4:5], 0
	s_cbranch_vccnz .LBB98_1
; %bb.3:                                ;   in Loop: Header=BB98_2 Depth=1
	s_mov_b64 s[6:7], s[8:9]
.LBB98_4:                               ;   Parent Loop BB98_2 Depth=1
                                        ; =>  This Inner Loop Header: Depth=2
	s_sub_u32 s14, s6, s4
	s_subb_u32 s15, s7, s5
	s_lshr_b32 s16, s15, 31
	s_add_u32 s14, s14, s16
	s_addc_u32 s15, s15, 0
	s_ashr_i64 s[14:15], s[14:15], 1
	s_add_u32 s14, s14, s4
	s_addc_u32 s15, s15, s5
	s_lshl_b64 s[16:17], s[14:15], 2
	s_add_u32 s16, s10, s16
	s_addc_u32 s17, s11, s17
	s_load_dword s16, s[16:17], 0x0
	s_add_u32 s18, s14, 1
	s_addc_u32 s19, s15, 0
	s_waitcnt lgkmcnt(0)
	v_cmp_gt_f32_e32 vcc, s16, v1
	s_and_b64 s[16:17], vcc, exec
	s_cselect_b32 s7, s15, s7
	s_cselect_b32 s6, s14, s6
	;; [unrolled: 1-line block ×4, first 2 shown]
	v_pk_mov_b32 v[2:3], s[6:7], s[6:7] op_sel:[0,1]
	v_cmp_lt_i64_e32 vcc, s[4:5], v[2:3]
	s_cbranch_vccnz .LBB98_4
	s_branch .LBB98_1
.LBB98_5:
	s_endpgm
	.section	.rodata,"a",@progbits
	.p2align	6, 0x0
	.amdhsa_kernel _Z18upper_bound_kernelIfEvmPT_Pl
		.amdhsa_group_segment_fixed_size 0
		.amdhsa_private_segment_fixed_size 0
		.amdhsa_kernarg_size 24
		.amdhsa_user_sgpr_count 6
		.amdhsa_user_sgpr_private_segment_buffer 1
		.amdhsa_user_sgpr_dispatch_ptr 0
		.amdhsa_user_sgpr_queue_ptr 0
		.amdhsa_user_sgpr_kernarg_segment_ptr 1
		.amdhsa_user_sgpr_dispatch_id 0
		.amdhsa_user_sgpr_flat_scratch_init 0
		.amdhsa_user_sgpr_kernarg_preload_length 0
		.amdhsa_user_sgpr_kernarg_preload_offset 0
		.amdhsa_user_sgpr_private_segment_size 0
		.amdhsa_uses_dynamic_stack 0
		.amdhsa_system_sgpr_private_segment_wavefront_offset 0
		.amdhsa_system_sgpr_workgroup_id_x 1
		.amdhsa_system_sgpr_workgroup_id_y 0
		.amdhsa_system_sgpr_workgroup_id_z 0
		.amdhsa_system_sgpr_workgroup_info 0
		.amdhsa_system_vgpr_workitem_id 0
		.amdhsa_next_free_vgpr 6
		.amdhsa_next_free_sgpr 20
		.amdhsa_accum_offset 8
		.amdhsa_reserve_vcc 1
		.amdhsa_reserve_flat_scratch 0
		.amdhsa_float_round_mode_32 0
		.amdhsa_float_round_mode_16_64 0
		.amdhsa_float_denorm_mode_32 3
		.amdhsa_float_denorm_mode_16_64 3
		.amdhsa_dx10_clamp 1
		.amdhsa_ieee_mode 1
		.amdhsa_fp16_overflow 0
		.amdhsa_tg_split 0
		.amdhsa_exception_fp_ieee_invalid_op 0
		.amdhsa_exception_fp_denorm_src 0
		.amdhsa_exception_fp_ieee_div_zero 0
		.amdhsa_exception_fp_ieee_overflow 0
		.amdhsa_exception_fp_ieee_underflow 0
		.amdhsa_exception_fp_ieee_inexact 0
		.amdhsa_exception_int_div_zero 0
	.end_amdhsa_kernel
	.section	.text._Z18upper_bound_kernelIfEvmPT_Pl,"axG",@progbits,_Z18upper_bound_kernelIfEvmPT_Pl,comdat
.Lfunc_end98:
	.size	_Z18upper_bound_kernelIfEvmPT_Pl, .Lfunc_end98-_Z18upper_bound_kernelIfEvmPT_Pl
                                        ; -- End function
	.section	.AMDGPU.csdata,"",@progbits
; Kernel info:
; codeLenInByte = 296
; NumSgprs: 24
; NumVgprs: 6
; NumAgprs: 0
; TotalNumVgprs: 6
; ScratchSize: 0
; MemoryBound: 0
; FloatMode: 240
; IeeeMode: 1
; LDSByteSize: 0 bytes/workgroup (compile time only)
; SGPRBlocks: 2
; VGPRBlocks: 0
; NumSGPRsForWavesPerEU: 24
; NumVGPRsForWavesPerEU: 6
; AccumOffset: 8
; Occupancy: 8
; WaveLimiterHint : 0
; COMPUTE_PGM_RSRC2:SCRATCH_EN: 0
; COMPUTE_PGM_RSRC2:USER_SGPR: 6
; COMPUTE_PGM_RSRC2:TRAP_HANDLER: 0
; COMPUTE_PGM_RSRC2:TGID_X_EN: 1
; COMPUTE_PGM_RSRC2:TGID_Y_EN: 0
; COMPUTE_PGM_RSRC2:TGID_Z_EN: 0
; COMPUTE_PGM_RSRC2:TIDIG_COMP_CNT: 0
; COMPUTE_PGM_RSRC3_GFX90A:ACCUM_OFFSET: 1
; COMPUTE_PGM_RSRC3_GFX90A:TG_SPLIT: 0
	.section	.text._ZN7rocprim17ROCPRIM_400000_NS6detail17trampoline_kernelINS0_14default_configENS1_27upper_bound_config_selectorIflEEZNS1_14transform_implILb0ES3_S5_N6thrust23THRUST_200600_302600_NS17counting_iteratorIfNS8_11use_defaultESA_SA_EEPlZNS1_13binary_searchIS3_S5_PfSB_SC_NS1_21upper_bound_search_opENS8_6detail16wrapped_functionINS0_4lessIvEEbEEEE10hipError_tPvRmT1_T2_T3_mmT4_T5_P12ihipStream_tbEUlRKfE_EESL_SP_SQ_mSR_SU_bEUlT_E_NS1_11comp_targetILNS1_3genE0ELNS1_11target_archE4294967295ELNS1_3gpuE0ELNS1_3repE0EEENS1_30default_config_static_selectorELNS0_4arch9wavefront6targetE1EEEvSO_,"axG",@progbits,_ZN7rocprim17ROCPRIM_400000_NS6detail17trampoline_kernelINS0_14default_configENS1_27upper_bound_config_selectorIflEEZNS1_14transform_implILb0ES3_S5_N6thrust23THRUST_200600_302600_NS17counting_iteratorIfNS8_11use_defaultESA_SA_EEPlZNS1_13binary_searchIS3_S5_PfSB_SC_NS1_21upper_bound_search_opENS8_6detail16wrapped_functionINS0_4lessIvEEbEEEE10hipError_tPvRmT1_T2_T3_mmT4_T5_P12ihipStream_tbEUlRKfE_EESL_SP_SQ_mSR_SU_bEUlT_E_NS1_11comp_targetILNS1_3genE0ELNS1_11target_archE4294967295ELNS1_3gpuE0ELNS1_3repE0EEENS1_30default_config_static_selectorELNS0_4arch9wavefront6targetE1EEEvSO_,comdat
	.protected	_ZN7rocprim17ROCPRIM_400000_NS6detail17trampoline_kernelINS0_14default_configENS1_27upper_bound_config_selectorIflEEZNS1_14transform_implILb0ES3_S5_N6thrust23THRUST_200600_302600_NS17counting_iteratorIfNS8_11use_defaultESA_SA_EEPlZNS1_13binary_searchIS3_S5_PfSB_SC_NS1_21upper_bound_search_opENS8_6detail16wrapped_functionINS0_4lessIvEEbEEEE10hipError_tPvRmT1_T2_T3_mmT4_T5_P12ihipStream_tbEUlRKfE_EESL_SP_SQ_mSR_SU_bEUlT_E_NS1_11comp_targetILNS1_3genE0ELNS1_11target_archE4294967295ELNS1_3gpuE0ELNS1_3repE0EEENS1_30default_config_static_selectorELNS0_4arch9wavefront6targetE1EEEvSO_ ; -- Begin function _ZN7rocprim17ROCPRIM_400000_NS6detail17trampoline_kernelINS0_14default_configENS1_27upper_bound_config_selectorIflEEZNS1_14transform_implILb0ES3_S5_N6thrust23THRUST_200600_302600_NS17counting_iteratorIfNS8_11use_defaultESA_SA_EEPlZNS1_13binary_searchIS3_S5_PfSB_SC_NS1_21upper_bound_search_opENS8_6detail16wrapped_functionINS0_4lessIvEEbEEEE10hipError_tPvRmT1_T2_T3_mmT4_T5_P12ihipStream_tbEUlRKfE_EESL_SP_SQ_mSR_SU_bEUlT_E_NS1_11comp_targetILNS1_3genE0ELNS1_11target_archE4294967295ELNS1_3gpuE0ELNS1_3repE0EEENS1_30default_config_static_selectorELNS0_4arch9wavefront6targetE1EEEvSO_
	.globl	_ZN7rocprim17ROCPRIM_400000_NS6detail17trampoline_kernelINS0_14default_configENS1_27upper_bound_config_selectorIflEEZNS1_14transform_implILb0ES3_S5_N6thrust23THRUST_200600_302600_NS17counting_iteratorIfNS8_11use_defaultESA_SA_EEPlZNS1_13binary_searchIS3_S5_PfSB_SC_NS1_21upper_bound_search_opENS8_6detail16wrapped_functionINS0_4lessIvEEbEEEE10hipError_tPvRmT1_T2_T3_mmT4_T5_P12ihipStream_tbEUlRKfE_EESL_SP_SQ_mSR_SU_bEUlT_E_NS1_11comp_targetILNS1_3genE0ELNS1_11target_archE4294967295ELNS1_3gpuE0ELNS1_3repE0EEENS1_30default_config_static_selectorELNS0_4arch9wavefront6targetE1EEEvSO_
	.p2align	8
	.type	_ZN7rocprim17ROCPRIM_400000_NS6detail17trampoline_kernelINS0_14default_configENS1_27upper_bound_config_selectorIflEEZNS1_14transform_implILb0ES3_S5_N6thrust23THRUST_200600_302600_NS17counting_iteratorIfNS8_11use_defaultESA_SA_EEPlZNS1_13binary_searchIS3_S5_PfSB_SC_NS1_21upper_bound_search_opENS8_6detail16wrapped_functionINS0_4lessIvEEbEEEE10hipError_tPvRmT1_T2_T3_mmT4_T5_P12ihipStream_tbEUlRKfE_EESL_SP_SQ_mSR_SU_bEUlT_E_NS1_11comp_targetILNS1_3genE0ELNS1_11target_archE4294967295ELNS1_3gpuE0ELNS1_3repE0EEENS1_30default_config_static_selectorELNS0_4arch9wavefront6targetE1EEEvSO_,@function
_ZN7rocprim17ROCPRIM_400000_NS6detail17trampoline_kernelINS0_14default_configENS1_27upper_bound_config_selectorIflEEZNS1_14transform_implILb0ES3_S5_N6thrust23THRUST_200600_302600_NS17counting_iteratorIfNS8_11use_defaultESA_SA_EEPlZNS1_13binary_searchIS3_S5_PfSB_SC_NS1_21upper_bound_search_opENS8_6detail16wrapped_functionINS0_4lessIvEEbEEEE10hipError_tPvRmT1_T2_T3_mmT4_T5_P12ihipStream_tbEUlRKfE_EESL_SP_SQ_mSR_SU_bEUlT_E_NS1_11comp_targetILNS1_3genE0ELNS1_11target_archE4294967295ELNS1_3gpuE0ELNS1_3repE0EEENS1_30default_config_static_selectorELNS0_4arch9wavefront6targetE1EEEvSO_: ; @_ZN7rocprim17ROCPRIM_400000_NS6detail17trampoline_kernelINS0_14default_configENS1_27upper_bound_config_selectorIflEEZNS1_14transform_implILb0ES3_S5_N6thrust23THRUST_200600_302600_NS17counting_iteratorIfNS8_11use_defaultESA_SA_EEPlZNS1_13binary_searchIS3_S5_PfSB_SC_NS1_21upper_bound_search_opENS8_6detail16wrapped_functionINS0_4lessIvEEbEEEE10hipError_tPvRmT1_T2_T3_mmT4_T5_P12ihipStream_tbEUlRKfE_EESL_SP_SQ_mSR_SU_bEUlT_E_NS1_11comp_targetILNS1_3genE0ELNS1_11target_archE4294967295ELNS1_3gpuE0ELNS1_3repE0EEENS1_30default_config_static_selectorELNS0_4arch9wavefront6targetE1EEEvSO_
; %bb.0:
	.section	.rodata,"a",@progbits
	.p2align	6, 0x0
	.amdhsa_kernel _ZN7rocprim17ROCPRIM_400000_NS6detail17trampoline_kernelINS0_14default_configENS1_27upper_bound_config_selectorIflEEZNS1_14transform_implILb0ES3_S5_N6thrust23THRUST_200600_302600_NS17counting_iteratorIfNS8_11use_defaultESA_SA_EEPlZNS1_13binary_searchIS3_S5_PfSB_SC_NS1_21upper_bound_search_opENS8_6detail16wrapped_functionINS0_4lessIvEEbEEEE10hipError_tPvRmT1_T2_T3_mmT4_T5_P12ihipStream_tbEUlRKfE_EESL_SP_SQ_mSR_SU_bEUlT_E_NS1_11comp_targetILNS1_3genE0ELNS1_11target_archE4294967295ELNS1_3gpuE0ELNS1_3repE0EEENS1_30default_config_static_selectorELNS0_4arch9wavefront6targetE1EEEvSO_
		.amdhsa_group_segment_fixed_size 0
		.amdhsa_private_segment_fixed_size 0
		.amdhsa_kernarg_size 56
		.amdhsa_user_sgpr_count 6
		.amdhsa_user_sgpr_private_segment_buffer 1
		.amdhsa_user_sgpr_dispatch_ptr 0
		.amdhsa_user_sgpr_queue_ptr 0
		.amdhsa_user_sgpr_kernarg_segment_ptr 1
		.amdhsa_user_sgpr_dispatch_id 0
		.amdhsa_user_sgpr_flat_scratch_init 0
		.amdhsa_user_sgpr_kernarg_preload_length 0
		.amdhsa_user_sgpr_kernarg_preload_offset 0
		.amdhsa_user_sgpr_private_segment_size 0
		.amdhsa_uses_dynamic_stack 0
		.amdhsa_system_sgpr_private_segment_wavefront_offset 0
		.amdhsa_system_sgpr_workgroup_id_x 1
		.amdhsa_system_sgpr_workgroup_id_y 0
		.amdhsa_system_sgpr_workgroup_id_z 0
		.amdhsa_system_sgpr_workgroup_info 0
		.amdhsa_system_vgpr_workitem_id 0
		.amdhsa_next_free_vgpr 1
		.amdhsa_next_free_sgpr 0
		.amdhsa_accum_offset 4
		.amdhsa_reserve_vcc 0
		.amdhsa_reserve_flat_scratch 0
		.amdhsa_float_round_mode_32 0
		.amdhsa_float_round_mode_16_64 0
		.amdhsa_float_denorm_mode_32 3
		.amdhsa_float_denorm_mode_16_64 3
		.amdhsa_dx10_clamp 1
		.amdhsa_ieee_mode 1
		.amdhsa_fp16_overflow 0
		.amdhsa_tg_split 0
		.amdhsa_exception_fp_ieee_invalid_op 0
		.amdhsa_exception_fp_denorm_src 0
		.amdhsa_exception_fp_ieee_div_zero 0
		.amdhsa_exception_fp_ieee_overflow 0
		.amdhsa_exception_fp_ieee_underflow 0
		.amdhsa_exception_fp_ieee_inexact 0
		.amdhsa_exception_int_div_zero 0
	.end_amdhsa_kernel
	.section	.text._ZN7rocprim17ROCPRIM_400000_NS6detail17trampoline_kernelINS0_14default_configENS1_27upper_bound_config_selectorIflEEZNS1_14transform_implILb0ES3_S5_N6thrust23THRUST_200600_302600_NS17counting_iteratorIfNS8_11use_defaultESA_SA_EEPlZNS1_13binary_searchIS3_S5_PfSB_SC_NS1_21upper_bound_search_opENS8_6detail16wrapped_functionINS0_4lessIvEEbEEEE10hipError_tPvRmT1_T2_T3_mmT4_T5_P12ihipStream_tbEUlRKfE_EESL_SP_SQ_mSR_SU_bEUlT_E_NS1_11comp_targetILNS1_3genE0ELNS1_11target_archE4294967295ELNS1_3gpuE0ELNS1_3repE0EEENS1_30default_config_static_selectorELNS0_4arch9wavefront6targetE1EEEvSO_,"axG",@progbits,_ZN7rocprim17ROCPRIM_400000_NS6detail17trampoline_kernelINS0_14default_configENS1_27upper_bound_config_selectorIflEEZNS1_14transform_implILb0ES3_S5_N6thrust23THRUST_200600_302600_NS17counting_iteratorIfNS8_11use_defaultESA_SA_EEPlZNS1_13binary_searchIS3_S5_PfSB_SC_NS1_21upper_bound_search_opENS8_6detail16wrapped_functionINS0_4lessIvEEbEEEE10hipError_tPvRmT1_T2_T3_mmT4_T5_P12ihipStream_tbEUlRKfE_EESL_SP_SQ_mSR_SU_bEUlT_E_NS1_11comp_targetILNS1_3genE0ELNS1_11target_archE4294967295ELNS1_3gpuE0ELNS1_3repE0EEENS1_30default_config_static_selectorELNS0_4arch9wavefront6targetE1EEEvSO_,comdat
.Lfunc_end99:
	.size	_ZN7rocprim17ROCPRIM_400000_NS6detail17trampoline_kernelINS0_14default_configENS1_27upper_bound_config_selectorIflEEZNS1_14transform_implILb0ES3_S5_N6thrust23THRUST_200600_302600_NS17counting_iteratorIfNS8_11use_defaultESA_SA_EEPlZNS1_13binary_searchIS3_S5_PfSB_SC_NS1_21upper_bound_search_opENS8_6detail16wrapped_functionINS0_4lessIvEEbEEEE10hipError_tPvRmT1_T2_T3_mmT4_T5_P12ihipStream_tbEUlRKfE_EESL_SP_SQ_mSR_SU_bEUlT_E_NS1_11comp_targetILNS1_3genE0ELNS1_11target_archE4294967295ELNS1_3gpuE0ELNS1_3repE0EEENS1_30default_config_static_selectorELNS0_4arch9wavefront6targetE1EEEvSO_, .Lfunc_end99-_ZN7rocprim17ROCPRIM_400000_NS6detail17trampoline_kernelINS0_14default_configENS1_27upper_bound_config_selectorIflEEZNS1_14transform_implILb0ES3_S5_N6thrust23THRUST_200600_302600_NS17counting_iteratorIfNS8_11use_defaultESA_SA_EEPlZNS1_13binary_searchIS3_S5_PfSB_SC_NS1_21upper_bound_search_opENS8_6detail16wrapped_functionINS0_4lessIvEEbEEEE10hipError_tPvRmT1_T2_T3_mmT4_T5_P12ihipStream_tbEUlRKfE_EESL_SP_SQ_mSR_SU_bEUlT_E_NS1_11comp_targetILNS1_3genE0ELNS1_11target_archE4294967295ELNS1_3gpuE0ELNS1_3repE0EEENS1_30default_config_static_selectorELNS0_4arch9wavefront6targetE1EEEvSO_
                                        ; -- End function
	.section	.AMDGPU.csdata,"",@progbits
; Kernel info:
; codeLenInByte = 0
; NumSgprs: 4
; NumVgprs: 0
; NumAgprs: 0
; TotalNumVgprs: 0
; ScratchSize: 0
; MemoryBound: 0
; FloatMode: 240
; IeeeMode: 1
; LDSByteSize: 0 bytes/workgroup (compile time only)
; SGPRBlocks: 0
; VGPRBlocks: 0
; NumSGPRsForWavesPerEU: 4
; NumVGPRsForWavesPerEU: 1
; AccumOffset: 4
; Occupancy: 8
; WaveLimiterHint : 0
; COMPUTE_PGM_RSRC2:SCRATCH_EN: 0
; COMPUTE_PGM_RSRC2:USER_SGPR: 6
; COMPUTE_PGM_RSRC2:TRAP_HANDLER: 0
; COMPUTE_PGM_RSRC2:TGID_X_EN: 1
; COMPUTE_PGM_RSRC2:TGID_Y_EN: 0
; COMPUTE_PGM_RSRC2:TGID_Z_EN: 0
; COMPUTE_PGM_RSRC2:TIDIG_COMP_CNT: 0
; COMPUTE_PGM_RSRC3_GFX90A:ACCUM_OFFSET: 0
; COMPUTE_PGM_RSRC3_GFX90A:TG_SPLIT: 0
	.section	.text._ZN7rocprim17ROCPRIM_400000_NS6detail17trampoline_kernelINS0_14default_configENS1_27upper_bound_config_selectorIflEEZNS1_14transform_implILb0ES3_S5_N6thrust23THRUST_200600_302600_NS17counting_iteratorIfNS8_11use_defaultESA_SA_EEPlZNS1_13binary_searchIS3_S5_PfSB_SC_NS1_21upper_bound_search_opENS8_6detail16wrapped_functionINS0_4lessIvEEbEEEE10hipError_tPvRmT1_T2_T3_mmT4_T5_P12ihipStream_tbEUlRKfE_EESL_SP_SQ_mSR_SU_bEUlT_E_NS1_11comp_targetILNS1_3genE5ELNS1_11target_archE942ELNS1_3gpuE9ELNS1_3repE0EEENS1_30default_config_static_selectorELNS0_4arch9wavefront6targetE1EEEvSO_,"axG",@progbits,_ZN7rocprim17ROCPRIM_400000_NS6detail17trampoline_kernelINS0_14default_configENS1_27upper_bound_config_selectorIflEEZNS1_14transform_implILb0ES3_S5_N6thrust23THRUST_200600_302600_NS17counting_iteratorIfNS8_11use_defaultESA_SA_EEPlZNS1_13binary_searchIS3_S5_PfSB_SC_NS1_21upper_bound_search_opENS8_6detail16wrapped_functionINS0_4lessIvEEbEEEE10hipError_tPvRmT1_T2_T3_mmT4_T5_P12ihipStream_tbEUlRKfE_EESL_SP_SQ_mSR_SU_bEUlT_E_NS1_11comp_targetILNS1_3genE5ELNS1_11target_archE942ELNS1_3gpuE9ELNS1_3repE0EEENS1_30default_config_static_selectorELNS0_4arch9wavefront6targetE1EEEvSO_,comdat
	.protected	_ZN7rocprim17ROCPRIM_400000_NS6detail17trampoline_kernelINS0_14default_configENS1_27upper_bound_config_selectorIflEEZNS1_14transform_implILb0ES3_S5_N6thrust23THRUST_200600_302600_NS17counting_iteratorIfNS8_11use_defaultESA_SA_EEPlZNS1_13binary_searchIS3_S5_PfSB_SC_NS1_21upper_bound_search_opENS8_6detail16wrapped_functionINS0_4lessIvEEbEEEE10hipError_tPvRmT1_T2_T3_mmT4_T5_P12ihipStream_tbEUlRKfE_EESL_SP_SQ_mSR_SU_bEUlT_E_NS1_11comp_targetILNS1_3genE5ELNS1_11target_archE942ELNS1_3gpuE9ELNS1_3repE0EEENS1_30default_config_static_selectorELNS0_4arch9wavefront6targetE1EEEvSO_ ; -- Begin function _ZN7rocprim17ROCPRIM_400000_NS6detail17trampoline_kernelINS0_14default_configENS1_27upper_bound_config_selectorIflEEZNS1_14transform_implILb0ES3_S5_N6thrust23THRUST_200600_302600_NS17counting_iteratorIfNS8_11use_defaultESA_SA_EEPlZNS1_13binary_searchIS3_S5_PfSB_SC_NS1_21upper_bound_search_opENS8_6detail16wrapped_functionINS0_4lessIvEEbEEEE10hipError_tPvRmT1_T2_T3_mmT4_T5_P12ihipStream_tbEUlRKfE_EESL_SP_SQ_mSR_SU_bEUlT_E_NS1_11comp_targetILNS1_3genE5ELNS1_11target_archE942ELNS1_3gpuE9ELNS1_3repE0EEENS1_30default_config_static_selectorELNS0_4arch9wavefront6targetE1EEEvSO_
	.globl	_ZN7rocprim17ROCPRIM_400000_NS6detail17trampoline_kernelINS0_14default_configENS1_27upper_bound_config_selectorIflEEZNS1_14transform_implILb0ES3_S5_N6thrust23THRUST_200600_302600_NS17counting_iteratorIfNS8_11use_defaultESA_SA_EEPlZNS1_13binary_searchIS3_S5_PfSB_SC_NS1_21upper_bound_search_opENS8_6detail16wrapped_functionINS0_4lessIvEEbEEEE10hipError_tPvRmT1_T2_T3_mmT4_T5_P12ihipStream_tbEUlRKfE_EESL_SP_SQ_mSR_SU_bEUlT_E_NS1_11comp_targetILNS1_3genE5ELNS1_11target_archE942ELNS1_3gpuE9ELNS1_3repE0EEENS1_30default_config_static_selectorELNS0_4arch9wavefront6targetE1EEEvSO_
	.p2align	8
	.type	_ZN7rocprim17ROCPRIM_400000_NS6detail17trampoline_kernelINS0_14default_configENS1_27upper_bound_config_selectorIflEEZNS1_14transform_implILb0ES3_S5_N6thrust23THRUST_200600_302600_NS17counting_iteratorIfNS8_11use_defaultESA_SA_EEPlZNS1_13binary_searchIS3_S5_PfSB_SC_NS1_21upper_bound_search_opENS8_6detail16wrapped_functionINS0_4lessIvEEbEEEE10hipError_tPvRmT1_T2_T3_mmT4_T5_P12ihipStream_tbEUlRKfE_EESL_SP_SQ_mSR_SU_bEUlT_E_NS1_11comp_targetILNS1_3genE5ELNS1_11target_archE942ELNS1_3gpuE9ELNS1_3repE0EEENS1_30default_config_static_selectorELNS0_4arch9wavefront6targetE1EEEvSO_,@function
_ZN7rocprim17ROCPRIM_400000_NS6detail17trampoline_kernelINS0_14default_configENS1_27upper_bound_config_selectorIflEEZNS1_14transform_implILb0ES3_S5_N6thrust23THRUST_200600_302600_NS17counting_iteratorIfNS8_11use_defaultESA_SA_EEPlZNS1_13binary_searchIS3_S5_PfSB_SC_NS1_21upper_bound_search_opENS8_6detail16wrapped_functionINS0_4lessIvEEbEEEE10hipError_tPvRmT1_T2_T3_mmT4_T5_P12ihipStream_tbEUlRKfE_EESL_SP_SQ_mSR_SU_bEUlT_E_NS1_11comp_targetILNS1_3genE5ELNS1_11target_archE942ELNS1_3gpuE9ELNS1_3repE0EEENS1_30default_config_static_selectorELNS0_4arch9wavefront6targetE1EEEvSO_: ; @_ZN7rocprim17ROCPRIM_400000_NS6detail17trampoline_kernelINS0_14default_configENS1_27upper_bound_config_selectorIflEEZNS1_14transform_implILb0ES3_S5_N6thrust23THRUST_200600_302600_NS17counting_iteratorIfNS8_11use_defaultESA_SA_EEPlZNS1_13binary_searchIS3_S5_PfSB_SC_NS1_21upper_bound_search_opENS8_6detail16wrapped_functionINS0_4lessIvEEbEEEE10hipError_tPvRmT1_T2_T3_mmT4_T5_P12ihipStream_tbEUlRKfE_EESL_SP_SQ_mSR_SU_bEUlT_E_NS1_11comp_targetILNS1_3genE5ELNS1_11target_archE942ELNS1_3gpuE9ELNS1_3repE0EEENS1_30default_config_static_selectorELNS0_4arch9wavefront6targetE1EEEvSO_
; %bb.0:
	.section	.rodata,"a",@progbits
	.p2align	6, 0x0
	.amdhsa_kernel _ZN7rocprim17ROCPRIM_400000_NS6detail17trampoline_kernelINS0_14default_configENS1_27upper_bound_config_selectorIflEEZNS1_14transform_implILb0ES3_S5_N6thrust23THRUST_200600_302600_NS17counting_iteratorIfNS8_11use_defaultESA_SA_EEPlZNS1_13binary_searchIS3_S5_PfSB_SC_NS1_21upper_bound_search_opENS8_6detail16wrapped_functionINS0_4lessIvEEbEEEE10hipError_tPvRmT1_T2_T3_mmT4_T5_P12ihipStream_tbEUlRKfE_EESL_SP_SQ_mSR_SU_bEUlT_E_NS1_11comp_targetILNS1_3genE5ELNS1_11target_archE942ELNS1_3gpuE9ELNS1_3repE0EEENS1_30default_config_static_selectorELNS0_4arch9wavefront6targetE1EEEvSO_
		.amdhsa_group_segment_fixed_size 0
		.amdhsa_private_segment_fixed_size 0
		.amdhsa_kernarg_size 56
		.amdhsa_user_sgpr_count 6
		.amdhsa_user_sgpr_private_segment_buffer 1
		.amdhsa_user_sgpr_dispatch_ptr 0
		.amdhsa_user_sgpr_queue_ptr 0
		.amdhsa_user_sgpr_kernarg_segment_ptr 1
		.amdhsa_user_sgpr_dispatch_id 0
		.amdhsa_user_sgpr_flat_scratch_init 0
		.amdhsa_user_sgpr_kernarg_preload_length 0
		.amdhsa_user_sgpr_kernarg_preload_offset 0
		.amdhsa_user_sgpr_private_segment_size 0
		.amdhsa_uses_dynamic_stack 0
		.amdhsa_system_sgpr_private_segment_wavefront_offset 0
		.amdhsa_system_sgpr_workgroup_id_x 1
		.amdhsa_system_sgpr_workgroup_id_y 0
		.amdhsa_system_sgpr_workgroup_id_z 0
		.amdhsa_system_sgpr_workgroup_info 0
		.amdhsa_system_vgpr_workitem_id 0
		.amdhsa_next_free_vgpr 1
		.amdhsa_next_free_sgpr 0
		.amdhsa_accum_offset 4
		.amdhsa_reserve_vcc 0
		.amdhsa_reserve_flat_scratch 0
		.amdhsa_float_round_mode_32 0
		.amdhsa_float_round_mode_16_64 0
		.amdhsa_float_denorm_mode_32 3
		.amdhsa_float_denorm_mode_16_64 3
		.amdhsa_dx10_clamp 1
		.amdhsa_ieee_mode 1
		.amdhsa_fp16_overflow 0
		.amdhsa_tg_split 0
		.amdhsa_exception_fp_ieee_invalid_op 0
		.amdhsa_exception_fp_denorm_src 0
		.amdhsa_exception_fp_ieee_div_zero 0
		.amdhsa_exception_fp_ieee_overflow 0
		.amdhsa_exception_fp_ieee_underflow 0
		.amdhsa_exception_fp_ieee_inexact 0
		.amdhsa_exception_int_div_zero 0
	.end_amdhsa_kernel
	.section	.text._ZN7rocprim17ROCPRIM_400000_NS6detail17trampoline_kernelINS0_14default_configENS1_27upper_bound_config_selectorIflEEZNS1_14transform_implILb0ES3_S5_N6thrust23THRUST_200600_302600_NS17counting_iteratorIfNS8_11use_defaultESA_SA_EEPlZNS1_13binary_searchIS3_S5_PfSB_SC_NS1_21upper_bound_search_opENS8_6detail16wrapped_functionINS0_4lessIvEEbEEEE10hipError_tPvRmT1_T2_T3_mmT4_T5_P12ihipStream_tbEUlRKfE_EESL_SP_SQ_mSR_SU_bEUlT_E_NS1_11comp_targetILNS1_3genE5ELNS1_11target_archE942ELNS1_3gpuE9ELNS1_3repE0EEENS1_30default_config_static_selectorELNS0_4arch9wavefront6targetE1EEEvSO_,"axG",@progbits,_ZN7rocprim17ROCPRIM_400000_NS6detail17trampoline_kernelINS0_14default_configENS1_27upper_bound_config_selectorIflEEZNS1_14transform_implILb0ES3_S5_N6thrust23THRUST_200600_302600_NS17counting_iteratorIfNS8_11use_defaultESA_SA_EEPlZNS1_13binary_searchIS3_S5_PfSB_SC_NS1_21upper_bound_search_opENS8_6detail16wrapped_functionINS0_4lessIvEEbEEEE10hipError_tPvRmT1_T2_T3_mmT4_T5_P12ihipStream_tbEUlRKfE_EESL_SP_SQ_mSR_SU_bEUlT_E_NS1_11comp_targetILNS1_3genE5ELNS1_11target_archE942ELNS1_3gpuE9ELNS1_3repE0EEENS1_30default_config_static_selectorELNS0_4arch9wavefront6targetE1EEEvSO_,comdat
.Lfunc_end100:
	.size	_ZN7rocprim17ROCPRIM_400000_NS6detail17trampoline_kernelINS0_14default_configENS1_27upper_bound_config_selectorIflEEZNS1_14transform_implILb0ES3_S5_N6thrust23THRUST_200600_302600_NS17counting_iteratorIfNS8_11use_defaultESA_SA_EEPlZNS1_13binary_searchIS3_S5_PfSB_SC_NS1_21upper_bound_search_opENS8_6detail16wrapped_functionINS0_4lessIvEEbEEEE10hipError_tPvRmT1_T2_T3_mmT4_T5_P12ihipStream_tbEUlRKfE_EESL_SP_SQ_mSR_SU_bEUlT_E_NS1_11comp_targetILNS1_3genE5ELNS1_11target_archE942ELNS1_3gpuE9ELNS1_3repE0EEENS1_30default_config_static_selectorELNS0_4arch9wavefront6targetE1EEEvSO_, .Lfunc_end100-_ZN7rocprim17ROCPRIM_400000_NS6detail17trampoline_kernelINS0_14default_configENS1_27upper_bound_config_selectorIflEEZNS1_14transform_implILb0ES3_S5_N6thrust23THRUST_200600_302600_NS17counting_iteratorIfNS8_11use_defaultESA_SA_EEPlZNS1_13binary_searchIS3_S5_PfSB_SC_NS1_21upper_bound_search_opENS8_6detail16wrapped_functionINS0_4lessIvEEbEEEE10hipError_tPvRmT1_T2_T3_mmT4_T5_P12ihipStream_tbEUlRKfE_EESL_SP_SQ_mSR_SU_bEUlT_E_NS1_11comp_targetILNS1_3genE5ELNS1_11target_archE942ELNS1_3gpuE9ELNS1_3repE0EEENS1_30default_config_static_selectorELNS0_4arch9wavefront6targetE1EEEvSO_
                                        ; -- End function
	.section	.AMDGPU.csdata,"",@progbits
; Kernel info:
; codeLenInByte = 0
; NumSgprs: 4
; NumVgprs: 0
; NumAgprs: 0
; TotalNumVgprs: 0
; ScratchSize: 0
; MemoryBound: 0
; FloatMode: 240
; IeeeMode: 1
; LDSByteSize: 0 bytes/workgroup (compile time only)
; SGPRBlocks: 0
; VGPRBlocks: 0
; NumSGPRsForWavesPerEU: 4
; NumVGPRsForWavesPerEU: 1
; AccumOffset: 4
; Occupancy: 8
; WaveLimiterHint : 0
; COMPUTE_PGM_RSRC2:SCRATCH_EN: 0
; COMPUTE_PGM_RSRC2:USER_SGPR: 6
; COMPUTE_PGM_RSRC2:TRAP_HANDLER: 0
; COMPUTE_PGM_RSRC2:TGID_X_EN: 1
; COMPUTE_PGM_RSRC2:TGID_Y_EN: 0
; COMPUTE_PGM_RSRC2:TGID_Z_EN: 0
; COMPUTE_PGM_RSRC2:TIDIG_COMP_CNT: 0
; COMPUTE_PGM_RSRC3_GFX90A:ACCUM_OFFSET: 0
; COMPUTE_PGM_RSRC3_GFX90A:TG_SPLIT: 0
	.section	.text._ZN7rocprim17ROCPRIM_400000_NS6detail17trampoline_kernelINS0_14default_configENS1_27upper_bound_config_selectorIflEEZNS1_14transform_implILb0ES3_S5_N6thrust23THRUST_200600_302600_NS17counting_iteratorIfNS8_11use_defaultESA_SA_EEPlZNS1_13binary_searchIS3_S5_PfSB_SC_NS1_21upper_bound_search_opENS8_6detail16wrapped_functionINS0_4lessIvEEbEEEE10hipError_tPvRmT1_T2_T3_mmT4_T5_P12ihipStream_tbEUlRKfE_EESL_SP_SQ_mSR_SU_bEUlT_E_NS1_11comp_targetILNS1_3genE4ELNS1_11target_archE910ELNS1_3gpuE8ELNS1_3repE0EEENS1_30default_config_static_selectorELNS0_4arch9wavefront6targetE1EEEvSO_,"axG",@progbits,_ZN7rocprim17ROCPRIM_400000_NS6detail17trampoline_kernelINS0_14default_configENS1_27upper_bound_config_selectorIflEEZNS1_14transform_implILb0ES3_S5_N6thrust23THRUST_200600_302600_NS17counting_iteratorIfNS8_11use_defaultESA_SA_EEPlZNS1_13binary_searchIS3_S5_PfSB_SC_NS1_21upper_bound_search_opENS8_6detail16wrapped_functionINS0_4lessIvEEbEEEE10hipError_tPvRmT1_T2_T3_mmT4_T5_P12ihipStream_tbEUlRKfE_EESL_SP_SQ_mSR_SU_bEUlT_E_NS1_11comp_targetILNS1_3genE4ELNS1_11target_archE910ELNS1_3gpuE8ELNS1_3repE0EEENS1_30default_config_static_selectorELNS0_4arch9wavefront6targetE1EEEvSO_,comdat
	.protected	_ZN7rocprim17ROCPRIM_400000_NS6detail17trampoline_kernelINS0_14default_configENS1_27upper_bound_config_selectorIflEEZNS1_14transform_implILb0ES3_S5_N6thrust23THRUST_200600_302600_NS17counting_iteratorIfNS8_11use_defaultESA_SA_EEPlZNS1_13binary_searchIS3_S5_PfSB_SC_NS1_21upper_bound_search_opENS8_6detail16wrapped_functionINS0_4lessIvEEbEEEE10hipError_tPvRmT1_T2_T3_mmT4_T5_P12ihipStream_tbEUlRKfE_EESL_SP_SQ_mSR_SU_bEUlT_E_NS1_11comp_targetILNS1_3genE4ELNS1_11target_archE910ELNS1_3gpuE8ELNS1_3repE0EEENS1_30default_config_static_selectorELNS0_4arch9wavefront6targetE1EEEvSO_ ; -- Begin function _ZN7rocprim17ROCPRIM_400000_NS6detail17trampoline_kernelINS0_14default_configENS1_27upper_bound_config_selectorIflEEZNS1_14transform_implILb0ES3_S5_N6thrust23THRUST_200600_302600_NS17counting_iteratorIfNS8_11use_defaultESA_SA_EEPlZNS1_13binary_searchIS3_S5_PfSB_SC_NS1_21upper_bound_search_opENS8_6detail16wrapped_functionINS0_4lessIvEEbEEEE10hipError_tPvRmT1_T2_T3_mmT4_T5_P12ihipStream_tbEUlRKfE_EESL_SP_SQ_mSR_SU_bEUlT_E_NS1_11comp_targetILNS1_3genE4ELNS1_11target_archE910ELNS1_3gpuE8ELNS1_3repE0EEENS1_30default_config_static_selectorELNS0_4arch9wavefront6targetE1EEEvSO_
	.globl	_ZN7rocprim17ROCPRIM_400000_NS6detail17trampoline_kernelINS0_14default_configENS1_27upper_bound_config_selectorIflEEZNS1_14transform_implILb0ES3_S5_N6thrust23THRUST_200600_302600_NS17counting_iteratorIfNS8_11use_defaultESA_SA_EEPlZNS1_13binary_searchIS3_S5_PfSB_SC_NS1_21upper_bound_search_opENS8_6detail16wrapped_functionINS0_4lessIvEEbEEEE10hipError_tPvRmT1_T2_T3_mmT4_T5_P12ihipStream_tbEUlRKfE_EESL_SP_SQ_mSR_SU_bEUlT_E_NS1_11comp_targetILNS1_3genE4ELNS1_11target_archE910ELNS1_3gpuE8ELNS1_3repE0EEENS1_30default_config_static_selectorELNS0_4arch9wavefront6targetE1EEEvSO_
	.p2align	8
	.type	_ZN7rocprim17ROCPRIM_400000_NS6detail17trampoline_kernelINS0_14default_configENS1_27upper_bound_config_selectorIflEEZNS1_14transform_implILb0ES3_S5_N6thrust23THRUST_200600_302600_NS17counting_iteratorIfNS8_11use_defaultESA_SA_EEPlZNS1_13binary_searchIS3_S5_PfSB_SC_NS1_21upper_bound_search_opENS8_6detail16wrapped_functionINS0_4lessIvEEbEEEE10hipError_tPvRmT1_T2_T3_mmT4_T5_P12ihipStream_tbEUlRKfE_EESL_SP_SQ_mSR_SU_bEUlT_E_NS1_11comp_targetILNS1_3genE4ELNS1_11target_archE910ELNS1_3gpuE8ELNS1_3repE0EEENS1_30default_config_static_selectorELNS0_4arch9wavefront6targetE1EEEvSO_,@function
_ZN7rocprim17ROCPRIM_400000_NS6detail17trampoline_kernelINS0_14default_configENS1_27upper_bound_config_selectorIflEEZNS1_14transform_implILb0ES3_S5_N6thrust23THRUST_200600_302600_NS17counting_iteratorIfNS8_11use_defaultESA_SA_EEPlZNS1_13binary_searchIS3_S5_PfSB_SC_NS1_21upper_bound_search_opENS8_6detail16wrapped_functionINS0_4lessIvEEbEEEE10hipError_tPvRmT1_T2_T3_mmT4_T5_P12ihipStream_tbEUlRKfE_EESL_SP_SQ_mSR_SU_bEUlT_E_NS1_11comp_targetILNS1_3genE4ELNS1_11target_archE910ELNS1_3gpuE8ELNS1_3repE0EEENS1_30default_config_static_selectorELNS0_4arch9wavefront6targetE1EEEvSO_: ; @_ZN7rocprim17ROCPRIM_400000_NS6detail17trampoline_kernelINS0_14default_configENS1_27upper_bound_config_selectorIflEEZNS1_14transform_implILb0ES3_S5_N6thrust23THRUST_200600_302600_NS17counting_iteratorIfNS8_11use_defaultESA_SA_EEPlZNS1_13binary_searchIS3_S5_PfSB_SC_NS1_21upper_bound_search_opENS8_6detail16wrapped_functionINS0_4lessIvEEbEEEE10hipError_tPvRmT1_T2_T3_mmT4_T5_P12ihipStream_tbEUlRKfE_EESL_SP_SQ_mSR_SU_bEUlT_E_NS1_11comp_targetILNS1_3genE4ELNS1_11target_archE910ELNS1_3gpuE8ELNS1_3repE0EEENS1_30default_config_static_selectorELNS0_4arch9wavefront6targetE1EEEvSO_
; %bb.0:
	s_load_dwordx2 s[8:9], s[4:5], 0x8
	s_load_dword s7, s[4:5], 0x0
	s_waitcnt lgkmcnt(0)
	s_xor_b32 s1, s8, s9
	s_flbit_i32 s0, s9
	s_ashr_i32 s1, s1, 31
	s_add_i32 s0, s0, -1
	s_add_i32 s1, s1, 32
	s_min_u32 s10, s0, s1
	s_lshl_b64 s[0:1], s[8:9], s10
	s_min_u32 s0, s0, 1
	s_or_b32 s0, s1, s0
	v_cvt_f32_i32_e32 v1, s0
	s_load_dwordx4 s[0:3], s[4:5], 0x18
	s_load_dwordx2 s[12:13], s[4:5], 0x28
	s_load_dword s11, s[4:5], 0x38
	s_sub_i32 s10, 32, s10
	v_ldexp_f32 v1, v1, s10
	s_lshl_b32 s10, s6, 8
	s_waitcnt lgkmcnt(0)
	s_add_i32 s11, s11, -1
	v_add_f32_e32 v1, s7, v1
	s_cmp_lg_u32 s6, s11
	s_mov_b32 s11, 0
	s_cbranch_scc0 .LBB101_6
; %bb.1:
	s_mov_b64 s[14:15], 0
	s_cmp_eq_u64 s[12:13], 0
	v_pk_mov_b32 v[2:3], 0, 0
	s_cbranch_scc1 .LBB101_5
; %bb.2:
	v_cvt_f32_u32_e32 v4, s10
	v_cvt_f32_ubyte0_e32 v5, v0
	s_mov_b64 s[6:7], 0
	v_pk_mov_b32 v[2:3], 0, 0
	v_add_f32_e32 v4, v1, v4
	v_add_f32_e32 v6, v4, v5
	v_pk_mov_b32 v[4:5], s[12:13], s[12:13] op_sel:[0,1]
	v_mov_b32_e32 v7, s3
.LBB101_3:                              ; =>This Inner Loop Header: Depth=1
	v_sub_co_u32_e32 v8, vcc, v4, v2
	v_subb_co_u32_e32 v9, vcc, v5, v3, vcc
	v_lshrrev_b64 v[10:11], 1, v[8:9]
	v_add_co_u32_e32 v10, vcc, v10, v2
	v_lshrrev_b64 v[8:9], 6, v[8:9]
	v_addc_co_u32_e32 v11, vcc, v11, v3, vcc
	v_add_co_u32_e32 v8, vcc, v10, v8
	v_addc_co_u32_e32 v9, vcc, v11, v9, vcc
	v_lshlrev_b64 v[10:11], 2, v[8:9]
	v_add_co_u32_e32 v10, vcc, s2, v10
	v_addc_co_u32_e32 v11, vcc, v7, v11, vcc
	global_load_dword v10, v[10:11], off
	v_add_co_u32_e32 v11, vcc, 1, v8
	v_addc_co_u32_e32 v12, vcc, 0, v9, vcc
	s_waitcnt vmcnt(0)
	v_cmp_gt_f32_e32 vcc, v10, v6
	v_cndmask_b32_e32 v5, v5, v9, vcc
	v_cndmask_b32_e32 v4, v4, v8, vcc
	;; [unrolled: 1-line block ×4, first 2 shown]
	v_cmp_ge_u64_e32 vcc, v[2:3], v[4:5]
	s_or_b64 s[6:7], vcc, s[6:7]
	s_andn2_b64 exec, exec, s[6:7]
	s_cbranch_execnz .LBB101_3
; %bb.4:
	s_or_b64 exec, exec, s[6:7]
.LBB101_5:
	s_mov_b64 s[6:7], -1
	s_andn2_b64 vcc, exec, s[14:15]
	s_cbranch_vccz .LBB101_7
	s_branch .LBB101_13
.LBB101_6:
	s_mov_b64 s[6:7], 0
                                        ; implicit-def: $vgpr2_vgpr3
.LBB101_7:
	s_load_dword s4, s[4:5], 0x10
                                        ; implicit-def: $vgpr2_vgpr3
	s_waitcnt lgkmcnt(0)
	s_sub_i32 s4, s4, s10
	v_cmp_gt_u32_e64 s[6:7], s4, v0
	s_and_saveexec_b64 s[4:5], s[6:7]
	s_cbranch_execz .LBB101_12
; %bb.8:
	s_mov_b64 s[14:15], 0
	s_cmp_eq_u64 s[12:13], 0
	v_pk_mov_b32 v[2:3], 0, 0
	s_cbranch_scc1 .LBB101_12
; %bb.9:
	v_cvt_f32_u32_e32 v6, s10
	v_cvt_f32_ubyte0_e32 v7, v0
	v_pk_mov_b32 v[2:3], 0, 0
	v_pk_mov_b32 v[4:5], s[12:13], s[12:13] op_sel:[0,1]
	v_add_f32_e32 v1, v1, v6
	v_add_f32_e32 v1, v1, v7
	v_mov_b32_e32 v6, s3
.LBB101_10:                             ; =>This Inner Loop Header: Depth=1
	v_sub_co_u32_e32 v8, vcc, v4, v2
	v_subb_co_u32_e32 v9, vcc, v5, v3, vcc
	v_lshrrev_b64 v[10:11], 1, v[8:9]
	v_add_co_u32_e32 v7, vcc, v10, v2
	v_lshrrev_b64 v[8:9], 6, v[8:9]
	v_addc_co_u32_e32 v10, vcc, v11, v3, vcc
	v_add_co_u32_e32 v8, vcc, v7, v8
	v_addc_co_u32_e32 v9, vcc, v10, v9, vcc
	v_lshlrev_b64 v[10:11], 2, v[8:9]
	v_add_co_u32_e32 v10, vcc, s2, v10
	v_addc_co_u32_e32 v11, vcc, v6, v11, vcc
	global_load_dword v7, v[10:11], off
	v_add_co_u32_e32 v10, vcc, 1, v8
	v_addc_co_u32_e32 v11, vcc, 0, v9, vcc
	s_waitcnt vmcnt(0)
	v_cmp_gt_f32_e32 vcc, v7, v1
	v_cndmask_b32_e32 v5, v5, v9, vcc
	v_cndmask_b32_e32 v4, v4, v8, vcc
	v_cndmask_b32_e32 v3, v11, v3, vcc
	v_cndmask_b32_e32 v2, v10, v2, vcc
	v_cmp_ge_u64_e32 vcc, v[2:3], v[4:5]
	s_or_b64 s[14:15], vcc, s[14:15]
	s_andn2_b64 exec, exec, s[14:15]
	s_cbranch_execnz .LBB101_10
; %bb.11:
	s_or_b64 exec, exec, s[14:15]
.LBB101_12:
	s_or_b64 exec, exec, s[4:5]
.LBB101_13:
	s_and_saveexec_b64 s[2:3], s[6:7]
	s_cbranch_execnz .LBB101_15
; %bb.14:
	s_endpgm
.LBB101_15:
	s_lshl_b64 s[2:3], s[8:9], 3
	s_add_u32 s2, s0, s2
	s_addc_u32 s3, s1, s3
	s_lshl_b64 s[0:1], s[10:11], 3
	s_add_u32 s0, s2, s0
	s_addc_u32 s1, s3, s1
	v_lshlrev_b32_e32 v0, 3, v0
	global_store_dwordx2 v0, v[2:3], s[0:1]
	s_endpgm
	.section	.rodata,"a",@progbits
	.p2align	6, 0x0
	.amdhsa_kernel _ZN7rocprim17ROCPRIM_400000_NS6detail17trampoline_kernelINS0_14default_configENS1_27upper_bound_config_selectorIflEEZNS1_14transform_implILb0ES3_S5_N6thrust23THRUST_200600_302600_NS17counting_iteratorIfNS8_11use_defaultESA_SA_EEPlZNS1_13binary_searchIS3_S5_PfSB_SC_NS1_21upper_bound_search_opENS8_6detail16wrapped_functionINS0_4lessIvEEbEEEE10hipError_tPvRmT1_T2_T3_mmT4_T5_P12ihipStream_tbEUlRKfE_EESL_SP_SQ_mSR_SU_bEUlT_E_NS1_11comp_targetILNS1_3genE4ELNS1_11target_archE910ELNS1_3gpuE8ELNS1_3repE0EEENS1_30default_config_static_selectorELNS0_4arch9wavefront6targetE1EEEvSO_
		.amdhsa_group_segment_fixed_size 0
		.amdhsa_private_segment_fixed_size 0
		.amdhsa_kernarg_size 312
		.amdhsa_user_sgpr_count 6
		.amdhsa_user_sgpr_private_segment_buffer 1
		.amdhsa_user_sgpr_dispatch_ptr 0
		.amdhsa_user_sgpr_queue_ptr 0
		.amdhsa_user_sgpr_kernarg_segment_ptr 1
		.amdhsa_user_sgpr_dispatch_id 0
		.amdhsa_user_sgpr_flat_scratch_init 0
		.amdhsa_user_sgpr_kernarg_preload_length 0
		.amdhsa_user_sgpr_kernarg_preload_offset 0
		.amdhsa_user_sgpr_private_segment_size 0
		.amdhsa_uses_dynamic_stack 0
		.amdhsa_system_sgpr_private_segment_wavefront_offset 0
		.amdhsa_system_sgpr_workgroup_id_x 1
		.amdhsa_system_sgpr_workgroup_id_y 0
		.amdhsa_system_sgpr_workgroup_id_z 0
		.amdhsa_system_sgpr_workgroup_info 0
		.amdhsa_system_vgpr_workitem_id 0
		.amdhsa_next_free_vgpr 13
		.amdhsa_next_free_sgpr 16
		.amdhsa_accum_offset 16
		.amdhsa_reserve_vcc 1
		.amdhsa_reserve_flat_scratch 0
		.amdhsa_float_round_mode_32 0
		.amdhsa_float_round_mode_16_64 0
		.amdhsa_float_denorm_mode_32 3
		.amdhsa_float_denorm_mode_16_64 3
		.amdhsa_dx10_clamp 1
		.amdhsa_ieee_mode 1
		.amdhsa_fp16_overflow 0
		.amdhsa_tg_split 0
		.amdhsa_exception_fp_ieee_invalid_op 0
		.amdhsa_exception_fp_denorm_src 0
		.amdhsa_exception_fp_ieee_div_zero 0
		.amdhsa_exception_fp_ieee_overflow 0
		.amdhsa_exception_fp_ieee_underflow 0
		.amdhsa_exception_fp_ieee_inexact 0
		.amdhsa_exception_int_div_zero 0
	.end_amdhsa_kernel
	.section	.text._ZN7rocprim17ROCPRIM_400000_NS6detail17trampoline_kernelINS0_14default_configENS1_27upper_bound_config_selectorIflEEZNS1_14transform_implILb0ES3_S5_N6thrust23THRUST_200600_302600_NS17counting_iteratorIfNS8_11use_defaultESA_SA_EEPlZNS1_13binary_searchIS3_S5_PfSB_SC_NS1_21upper_bound_search_opENS8_6detail16wrapped_functionINS0_4lessIvEEbEEEE10hipError_tPvRmT1_T2_T3_mmT4_T5_P12ihipStream_tbEUlRKfE_EESL_SP_SQ_mSR_SU_bEUlT_E_NS1_11comp_targetILNS1_3genE4ELNS1_11target_archE910ELNS1_3gpuE8ELNS1_3repE0EEENS1_30default_config_static_selectorELNS0_4arch9wavefront6targetE1EEEvSO_,"axG",@progbits,_ZN7rocprim17ROCPRIM_400000_NS6detail17trampoline_kernelINS0_14default_configENS1_27upper_bound_config_selectorIflEEZNS1_14transform_implILb0ES3_S5_N6thrust23THRUST_200600_302600_NS17counting_iteratorIfNS8_11use_defaultESA_SA_EEPlZNS1_13binary_searchIS3_S5_PfSB_SC_NS1_21upper_bound_search_opENS8_6detail16wrapped_functionINS0_4lessIvEEbEEEE10hipError_tPvRmT1_T2_T3_mmT4_T5_P12ihipStream_tbEUlRKfE_EESL_SP_SQ_mSR_SU_bEUlT_E_NS1_11comp_targetILNS1_3genE4ELNS1_11target_archE910ELNS1_3gpuE8ELNS1_3repE0EEENS1_30default_config_static_selectorELNS0_4arch9wavefront6targetE1EEEvSO_,comdat
.Lfunc_end101:
	.size	_ZN7rocprim17ROCPRIM_400000_NS6detail17trampoline_kernelINS0_14default_configENS1_27upper_bound_config_selectorIflEEZNS1_14transform_implILb0ES3_S5_N6thrust23THRUST_200600_302600_NS17counting_iteratorIfNS8_11use_defaultESA_SA_EEPlZNS1_13binary_searchIS3_S5_PfSB_SC_NS1_21upper_bound_search_opENS8_6detail16wrapped_functionINS0_4lessIvEEbEEEE10hipError_tPvRmT1_T2_T3_mmT4_T5_P12ihipStream_tbEUlRKfE_EESL_SP_SQ_mSR_SU_bEUlT_E_NS1_11comp_targetILNS1_3genE4ELNS1_11target_archE910ELNS1_3gpuE8ELNS1_3repE0EEENS1_30default_config_static_selectorELNS0_4arch9wavefront6targetE1EEEvSO_, .Lfunc_end101-_ZN7rocprim17ROCPRIM_400000_NS6detail17trampoline_kernelINS0_14default_configENS1_27upper_bound_config_selectorIflEEZNS1_14transform_implILb0ES3_S5_N6thrust23THRUST_200600_302600_NS17counting_iteratorIfNS8_11use_defaultESA_SA_EEPlZNS1_13binary_searchIS3_S5_PfSB_SC_NS1_21upper_bound_search_opENS8_6detail16wrapped_functionINS0_4lessIvEEbEEEE10hipError_tPvRmT1_T2_T3_mmT4_T5_P12ihipStream_tbEUlRKfE_EESL_SP_SQ_mSR_SU_bEUlT_E_NS1_11comp_targetILNS1_3genE4ELNS1_11target_archE910ELNS1_3gpuE8ELNS1_3repE0EEENS1_30default_config_static_selectorELNS0_4arch9wavefront6targetE1EEEvSO_
                                        ; -- End function
	.section	.AMDGPU.csdata,"",@progbits
; Kernel info:
; codeLenInByte = 580
; NumSgprs: 20
; NumVgprs: 13
; NumAgprs: 0
; TotalNumVgprs: 13
; ScratchSize: 0
; MemoryBound: 0
; FloatMode: 240
; IeeeMode: 1
; LDSByteSize: 0 bytes/workgroup (compile time only)
; SGPRBlocks: 2
; VGPRBlocks: 1
; NumSGPRsForWavesPerEU: 20
; NumVGPRsForWavesPerEU: 13
; AccumOffset: 16
; Occupancy: 8
; WaveLimiterHint : 0
; COMPUTE_PGM_RSRC2:SCRATCH_EN: 0
; COMPUTE_PGM_RSRC2:USER_SGPR: 6
; COMPUTE_PGM_RSRC2:TRAP_HANDLER: 0
; COMPUTE_PGM_RSRC2:TGID_X_EN: 1
; COMPUTE_PGM_RSRC2:TGID_Y_EN: 0
; COMPUTE_PGM_RSRC2:TGID_Z_EN: 0
; COMPUTE_PGM_RSRC2:TIDIG_COMP_CNT: 0
; COMPUTE_PGM_RSRC3_GFX90A:ACCUM_OFFSET: 3
; COMPUTE_PGM_RSRC3_GFX90A:TG_SPLIT: 0
	.section	.text._ZN7rocprim17ROCPRIM_400000_NS6detail17trampoline_kernelINS0_14default_configENS1_27upper_bound_config_selectorIflEEZNS1_14transform_implILb0ES3_S5_N6thrust23THRUST_200600_302600_NS17counting_iteratorIfNS8_11use_defaultESA_SA_EEPlZNS1_13binary_searchIS3_S5_PfSB_SC_NS1_21upper_bound_search_opENS8_6detail16wrapped_functionINS0_4lessIvEEbEEEE10hipError_tPvRmT1_T2_T3_mmT4_T5_P12ihipStream_tbEUlRKfE_EESL_SP_SQ_mSR_SU_bEUlT_E_NS1_11comp_targetILNS1_3genE3ELNS1_11target_archE908ELNS1_3gpuE7ELNS1_3repE0EEENS1_30default_config_static_selectorELNS0_4arch9wavefront6targetE1EEEvSO_,"axG",@progbits,_ZN7rocprim17ROCPRIM_400000_NS6detail17trampoline_kernelINS0_14default_configENS1_27upper_bound_config_selectorIflEEZNS1_14transform_implILb0ES3_S5_N6thrust23THRUST_200600_302600_NS17counting_iteratorIfNS8_11use_defaultESA_SA_EEPlZNS1_13binary_searchIS3_S5_PfSB_SC_NS1_21upper_bound_search_opENS8_6detail16wrapped_functionINS0_4lessIvEEbEEEE10hipError_tPvRmT1_T2_T3_mmT4_T5_P12ihipStream_tbEUlRKfE_EESL_SP_SQ_mSR_SU_bEUlT_E_NS1_11comp_targetILNS1_3genE3ELNS1_11target_archE908ELNS1_3gpuE7ELNS1_3repE0EEENS1_30default_config_static_selectorELNS0_4arch9wavefront6targetE1EEEvSO_,comdat
	.protected	_ZN7rocprim17ROCPRIM_400000_NS6detail17trampoline_kernelINS0_14default_configENS1_27upper_bound_config_selectorIflEEZNS1_14transform_implILb0ES3_S5_N6thrust23THRUST_200600_302600_NS17counting_iteratorIfNS8_11use_defaultESA_SA_EEPlZNS1_13binary_searchIS3_S5_PfSB_SC_NS1_21upper_bound_search_opENS8_6detail16wrapped_functionINS0_4lessIvEEbEEEE10hipError_tPvRmT1_T2_T3_mmT4_T5_P12ihipStream_tbEUlRKfE_EESL_SP_SQ_mSR_SU_bEUlT_E_NS1_11comp_targetILNS1_3genE3ELNS1_11target_archE908ELNS1_3gpuE7ELNS1_3repE0EEENS1_30default_config_static_selectorELNS0_4arch9wavefront6targetE1EEEvSO_ ; -- Begin function _ZN7rocprim17ROCPRIM_400000_NS6detail17trampoline_kernelINS0_14default_configENS1_27upper_bound_config_selectorIflEEZNS1_14transform_implILb0ES3_S5_N6thrust23THRUST_200600_302600_NS17counting_iteratorIfNS8_11use_defaultESA_SA_EEPlZNS1_13binary_searchIS3_S5_PfSB_SC_NS1_21upper_bound_search_opENS8_6detail16wrapped_functionINS0_4lessIvEEbEEEE10hipError_tPvRmT1_T2_T3_mmT4_T5_P12ihipStream_tbEUlRKfE_EESL_SP_SQ_mSR_SU_bEUlT_E_NS1_11comp_targetILNS1_3genE3ELNS1_11target_archE908ELNS1_3gpuE7ELNS1_3repE0EEENS1_30default_config_static_selectorELNS0_4arch9wavefront6targetE1EEEvSO_
	.globl	_ZN7rocprim17ROCPRIM_400000_NS6detail17trampoline_kernelINS0_14default_configENS1_27upper_bound_config_selectorIflEEZNS1_14transform_implILb0ES3_S5_N6thrust23THRUST_200600_302600_NS17counting_iteratorIfNS8_11use_defaultESA_SA_EEPlZNS1_13binary_searchIS3_S5_PfSB_SC_NS1_21upper_bound_search_opENS8_6detail16wrapped_functionINS0_4lessIvEEbEEEE10hipError_tPvRmT1_T2_T3_mmT4_T5_P12ihipStream_tbEUlRKfE_EESL_SP_SQ_mSR_SU_bEUlT_E_NS1_11comp_targetILNS1_3genE3ELNS1_11target_archE908ELNS1_3gpuE7ELNS1_3repE0EEENS1_30default_config_static_selectorELNS0_4arch9wavefront6targetE1EEEvSO_
	.p2align	8
	.type	_ZN7rocprim17ROCPRIM_400000_NS6detail17trampoline_kernelINS0_14default_configENS1_27upper_bound_config_selectorIflEEZNS1_14transform_implILb0ES3_S5_N6thrust23THRUST_200600_302600_NS17counting_iteratorIfNS8_11use_defaultESA_SA_EEPlZNS1_13binary_searchIS3_S5_PfSB_SC_NS1_21upper_bound_search_opENS8_6detail16wrapped_functionINS0_4lessIvEEbEEEE10hipError_tPvRmT1_T2_T3_mmT4_T5_P12ihipStream_tbEUlRKfE_EESL_SP_SQ_mSR_SU_bEUlT_E_NS1_11comp_targetILNS1_3genE3ELNS1_11target_archE908ELNS1_3gpuE7ELNS1_3repE0EEENS1_30default_config_static_selectorELNS0_4arch9wavefront6targetE1EEEvSO_,@function
_ZN7rocprim17ROCPRIM_400000_NS6detail17trampoline_kernelINS0_14default_configENS1_27upper_bound_config_selectorIflEEZNS1_14transform_implILb0ES3_S5_N6thrust23THRUST_200600_302600_NS17counting_iteratorIfNS8_11use_defaultESA_SA_EEPlZNS1_13binary_searchIS3_S5_PfSB_SC_NS1_21upper_bound_search_opENS8_6detail16wrapped_functionINS0_4lessIvEEbEEEE10hipError_tPvRmT1_T2_T3_mmT4_T5_P12ihipStream_tbEUlRKfE_EESL_SP_SQ_mSR_SU_bEUlT_E_NS1_11comp_targetILNS1_3genE3ELNS1_11target_archE908ELNS1_3gpuE7ELNS1_3repE0EEENS1_30default_config_static_selectorELNS0_4arch9wavefront6targetE1EEEvSO_: ; @_ZN7rocprim17ROCPRIM_400000_NS6detail17trampoline_kernelINS0_14default_configENS1_27upper_bound_config_selectorIflEEZNS1_14transform_implILb0ES3_S5_N6thrust23THRUST_200600_302600_NS17counting_iteratorIfNS8_11use_defaultESA_SA_EEPlZNS1_13binary_searchIS3_S5_PfSB_SC_NS1_21upper_bound_search_opENS8_6detail16wrapped_functionINS0_4lessIvEEbEEEE10hipError_tPvRmT1_T2_T3_mmT4_T5_P12ihipStream_tbEUlRKfE_EESL_SP_SQ_mSR_SU_bEUlT_E_NS1_11comp_targetILNS1_3genE3ELNS1_11target_archE908ELNS1_3gpuE7ELNS1_3repE0EEENS1_30default_config_static_selectorELNS0_4arch9wavefront6targetE1EEEvSO_
; %bb.0:
	.section	.rodata,"a",@progbits
	.p2align	6, 0x0
	.amdhsa_kernel _ZN7rocprim17ROCPRIM_400000_NS6detail17trampoline_kernelINS0_14default_configENS1_27upper_bound_config_selectorIflEEZNS1_14transform_implILb0ES3_S5_N6thrust23THRUST_200600_302600_NS17counting_iteratorIfNS8_11use_defaultESA_SA_EEPlZNS1_13binary_searchIS3_S5_PfSB_SC_NS1_21upper_bound_search_opENS8_6detail16wrapped_functionINS0_4lessIvEEbEEEE10hipError_tPvRmT1_T2_T3_mmT4_T5_P12ihipStream_tbEUlRKfE_EESL_SP_SQ_mSR_SU_bEUlT_E_NS1_11comp_targetILNS1_3genE3ELNS1_11target_archE908ELNS1_3gpuE7ELNS1_3repE0EEENS1_30default_config_static_selectorELNS0_4arch9wavefront6targetE1EEEvSO_
		.amdhsa_group_segment_fixed_size 0
		.amdhsa_private_segment_fixed_size 0
		.amdhsa_kernarg_size 56
		.amdhsa_user_sgpr_count 6
		.amdhsa_user_sgpr_private_segment_buffer 1
		.amdhsa_user_sgpr_dispatch_ptr 0
		.amdhsa_user_sgpr_queue_ptr 0
		.amdhsa_user_sgpr_kernarg_segment_ptr 1
		.amdhsa_user_sgpr_dispatch_id 0
		.amdhsa_user_sgpr_flat_scratch_init 0
		.amdhsa_user_sgpr_kernarg_preload_length 0
		.amdhsa_user_sgpr_kernarg_preload_offset 0
		.amdhsa_user_sgpr_private_segment_size 0
		.amdhsa_uses_dynamic_stack 0
		.amdhsa_system_sgpr_private_segment_wavefront_offset 0
		.amdhsa_system_sgpr_workgroup_id_x 1
		.amdhsa_system_sgpr_workgroup_id_y 0
		.amdhsa_system_sgpr_workgroup_id_z 0
		.amdhsa_system_sgpr_workgroup_info 0
		.amdhsa_system_vgpr_workitem_id 0
		.amdhsa_next_free_vgpr 1
		.amdhsa_next_free_sgpr 0
		.amdhsa_accum_offset 4
		.amdhsa_reserve_vcc 0
		.amdhsa_reserve_flat_scratch 0
		.amdhsa_float_round_mode_32 0
		.amdhsa_float_round_mode_16_64 0
		.amdhsa_float_denorm_mode_32 3
		.amdhsa_float_denorm_mode_16_64 3
		.amdhsa_dx10_clamp 1
		.amdhsa_ieee_mode 1
		.amdhsa_fp16_overflow 0
		.amdhsa_tg_split 0
		.amdhsa_exception_fp_ieee_invalid_op 0
		.amdhsa_exception_fp_denorm_src 0
		.amdhsa_exception_fp_ieee_div_zero 0
		.amdhsa_exception_fp_ieee_overflow 0
		.amdhsa_exception_fp_ieee_underflow 0
		.amdhsa_exception_fp_ieee_inexact 0
		.amdhsa_exception_int_div_zero 0
	.end_amdhsa_kernel
	.section	.text._ZN7rocprim17ROCPRIM_400000_NS6detail17trampoline_kernelINS0_14default_configENS1_27upper_bound_config_selectorIflEEZNS1_14transform_implILb0ES3_S5_N6thrust23THRUST_200600_302600_NS17counting_iteratorIfNS8_11use_defaultESA_SA_EEPlZNS1_13binary_searchIS3_S5_PfSB_SC_NS1_21upper_bound_search_opENS8_6detail16wrapped_functionINS0_4lessIvEEbEEEE10hipError_tPvRmT1_T2_T3_mmT4_T5_P12ihipStream_tbEUlRKfE_EESL_SP_SQ_mSR_SU_bEUlT_E_NS1_11comp_targetILNS1_3genE3ELNS1_11target_archE908ELNS1_3gpuE7ELNS1_3repE0EEENS1_30default_config_static_selectorELNS0_4arch9wavefront6targetE1EEEvSO_,"axG",@progbits,_ZN7rocprim17ROCPRIM_400000_NS6detail17trampoline_kernelINS0_14default_configENS1_27upper_bound_config_selectorIflEEZNS1_14transform_implILb0ES3_S5_N6thrust23THRUST_200600_302600_NS17counting_iteratorIfNS8_11use_defaultESA_SA_EEPlZNS1_13binary_searchIS3_S5_PfSB_SC_NS1_21upper_bound_search_opENS8_6detail16wrapped_functionINS0_4lessIvEEbEEEE10hipError_tPvRmT1_T2_T3_mmT4_T5_P12ihipStream_tbEUlRKfE_EESL_SP_SQ_mSR_SU_bEUlT_E_NS1_11comp_targetILNS1_3genE3ELNS1_11target_archE908ELNS1_3gpuE7ELNS1_3repE0EEENS1_30default_config_static_selectorELNS0_4arch9wavefront6targetE1EEEvSO_,comdat
.Lfunc_end102:
	.size	_ZN7rocprim17ROCPRIM_400000_NS6detail17trampoline_kernelINS0_14default_configENS1_27upper_bound_config_selectorIflEEZNS1_14transform_implILb0ES3_S5_N6thrust23THRUST_200600_302600_NS17counting_iteratorIfNS8_11use_defaultESA_SA_EEPlZNS1_13binary_searchIS3_S5_PfSB_SC_NS1_21upper_bound_search_opENS8_6detail16wrapped_functionINS0_4lessIvEEbEEEE10hipError_tPvRmT1_T2_T3_mmT4_T5_P12ihipStream_tbEUlRKfE_EESL_SP_SQ_mSR_SU_bEUlT_E_NS1_11comp_targetILNS1_3genE3ELNS1_11target_archE908ELNS1_3gpuE7ELNS1_3repE0EEENS1_30default_config_static_selectorELNS0_4arch9wavefront6targetE1EEEvSO_, .Lfunc_end102-_ZN7rocprim17ROCPRIM_400000_NS6detail17trampoline_kernelINS0_14default_configENS1_27upper_bound_config_selectorIflEEZNS1_14transform_implILb0ES3_S5_N6thrust23THRUST_200600_302600_NS17counting_iteratorIfNS8_11use_defaultESA_SA_EEPlZNS1_13binary_searchIS3_S5_PfSB_SC_NS1_21upper_bound_search_opENS8_6detail16wrapped_functionINS0_4lessIvEEbEEEE10hipError_tPvRmT1_T2_T3_mmT4_T5_P12ihipStream_tbEUlRKfE_EESL_SP_SQ_mSR_SU_bEUlT_E_NS1_11comp_targetILNS1_3genE3ELNS1_11target_archE908ELNS1_3gpuE7ELNS1_3repE0EEENS1_30default_config_static_selectorELNS0_4arch9wavefront6targetE1EEEvSO_
                                        ; -- End function
	.section	.AMDGPU.csdata,"",@progbits
; Kernel info:
; codeLenInByte = 0
; NumSgprs: 4
; NumVgprs: 0
; NumAgprs: 0
; TotalNumVgprs: 0
; ScratchSize: 0
; MemoryBound: 0
; FloatMode: 240
; IeeeMode: 1
; LDSByteSize: 0 bytes/workgroup (compile time only)
; SGPRBlocks: 0
; VGPRBlocks: 0
; NumSGPRsForWavesPerEU: 4
; NumVGPRsForWavesPerEU: 1
; AccumOffset: 4
; Occupancy: 8
; WaveLimiterHint : 0
; COMPUTE_PGM_RSRC2:SCRATCH_EN: 0
; COMPUTE_PGM_RSRC2:USER_SGPR: 6
; COMPUTE_PGM_RSRC2:TRAP_HANDLER: 0
; COMPUTE_PGM_RSRC2:TGID_X_EN: 1
; COMPUTE_PGM_RSRC2:TGID_Y_EN: 0
; COMPUTE_PGM_RSRC2:TGID_Z_EN: 0
; COMPUTE_PGM_RSRC2:TIDIG_COMP_CNT: 0
; COMPUTE_PGM_RSRC3_GFX90A:ACCUM_OFFSET: 0
; COMPUTE_PGM_RSRC3_GFX90A:TG_SPLIT: 0
	.section	.text._ZN7rocprim17ROCPRIM_400000_NS6detail17trampoline_kernelINS0_14default_configENS1_27upper_bound_config_selectorIflEEZNS1_14transform_implILb0ES3_S5_N6thrust23THRUST_200600_302600_NS17counting_iteratorIfNS8_11use_defaultESA_SA_EEPlZNS1_13binary_searchIS3_S5_PfSB_SC_NS1_21upper_bound_search_opENS8_6detail16wrapped_functionINS0_4lessIvEEbEEEE10hipError_tPvRmT1_T2_T3_mmT4_T5_P12ihipStream_tbEUlRKfE_EESL_SP_SQ_mSR_SU_bEUlT_E_NS1_11comp_targetILNS1_3genE2ELNS1_11target_archE906ELNS1_3gpuE6ELNS1_3repE0EEENS1_30default_config_static_selectorELNS0_4arch9wavefront6targetE1EEEvSO_,"axG",@progbits,_ZN7rocprim17ROCPRIM_400000_NS6detail17trampoline_kernelINS0_14default_configENS1_27upper_bound_config_selectorIflEEZNS1_14transform_implILb0ES3_S5_N6thrust23THRUST_200600_302600_NS17counting_iteratorIfNS8_11use_defaultESA_SA_EEPlZNS1_13binary_searchIS3_S5_PfSB_SC_NS1_21upper_bound_search_opENS8_6detail16wrapped_functionINS0_4lessIvEEbEEEE10hipError_tPvRmT1_T2_T3_mmT4_T5_P12ihipStream_tbEUlRKfE_EESL_SP_SQ_mSR_SU_bEUlT_E_NS1_11comp_targetILNS1_3genE2ELNS1_11target_archE906ELNS1_3gpuE6ELNS1_3repE0EEENS1_30default_config_static_selectorELNS0_4arch9wavefront6targetE1EEEvSO_,comdat
	.protected	_ZN7rocprim17ROCPRIM_400000_NS6detail17trampoline_kernelINS0_14default_configENS1_27upper_bound_config_selectorIflEEZNS1_14transform_implILb0ES3_S5_N6thrust23THRUST_200600_302600_NS17counting_iteratorIfNS8_11use_defaultESA_SA_EEPlZNS1_13binary_searchIS3_S5_PfSB_SC_NS1_21upper_bound_search_opENS8_6detail16wrapped_functionINS0_4lessIvEEbEEEE10hipError_tPvRmT1_T2_T3_mmT4_T5_P12ihipStream_tbEUlRKfE_EESL_SP_SQ_mSR_SU_bEUlT_E_NS1_11comp_targetILNS1_3genE2ELNS1_11target_archE906ELNS1_3gpuE6ELNS1_3repE0EEENS1_30default_config_static_selectorELNS0_4arch9wavefront6targetE1EEEvSO_ ; -- Begin function _ZN7rocprim17ROCPRIM_400000_NS6detail17trampoline_kernelINS0_14default_configENS1_27upper_bound_config_selectorIflEEZNS1_14transform_implILb0ES3_S5_N6thrust23THRUST_200600_302600_NS17counting_iteratorIfNS8_11use_defaultESA_SA_EEPlZNS1_13binary_searchIS3_S5_PfSB_SC_NS1_21upper_bound_search_opENS8_6detail16wrapped_functionINS0_4lessIvEEbEEEE10hipError_tPvRmT1_T2_T3_mmT4_T5_P12ihipStream_tbEUlRKfE_EESL_SP_SQ_mSR_SU_bEUlT_E_NS1_11comp_targetILNS1_3genE2ELNS1_11target_archE906ELNS1_3gpuE6ELNS1_3repE0EEENS1_30default_config_static_selectorELNS0_4arch9wavefront6targetE1EEEvSO_
	.globl	_ZN7rocprim17ROCPRIM_400000_NS6detail17trampoline_kernelINS0_14default_configENS1_27upper_bound_config_selectorIflEEZNS1_14transform_implILb0ES3_S5_N6thrust23THRUST_200600_302600_NS17counting_iteratorIfNS8_11use_defaultESA_SA_EEPlZNS1_13binary_searchIS3_S5_PfSB_SC_NS1_21upper_bound_search_opENS8_6detail16wrapped_functionINS0_4lessIvEEbEEEE10hipError_tPvRmT1_T2_T3_mmT4_T5_P12ihipStream_tbEUlRKfE_EESL_SP_SQ_mSR_SU_bEUlT_E_NS1_11comp_targetILNS1_3genE2ELNS1_11target_archE906ELNS1_3gpuE6ELNS1_3repE0EEENS1_30default_config_static_selectorELNS0_4arch9wavefront6targetE1EEEvSO_
	.p2align	8
	.type	_ZN7rocprim17ROCPRIM_400000_NS6detail17trampoline_kernelINS0_14default_configENS1_27upper_bound_config_selectorIflEEZNS1_14transform_implILb0ES3_S5_N6thrust23THRUST_200600_302600_NS17counting_iteratorIfNS8_11use_defaultESA_SA_EEPlZNS1_13binary_searchIS3_S5_PfSB_SC_NS1_21upper_bound_search_opENS8_6detail16wrapped_functionINS0_4lessIvEEbEEEE10hipError_tPvRmT1_T2_T3_mmT4_T5_P12ihipStream_tbEUlRKfE_EESL_SP_SQ_mSR_SU_bEUlT_E_NS1_11comp_targetILNS1_3genE2ELNS1_11target_archE906ELNS1_3gpuE6ELNS1_3repE0EEENS1_30default_config_static_selectorELNS0_4arch9wavefront6targetE1EEEvSO_,@function
_ZN7rocprim17ROCPRIM_400000_NS6detail17trampoline_kernelINS0_14default_configENS1_27upper_bound_config_selectorIflEEZNS1_14transform_implILb0ES3_S5_N6thrust23THRUST_200600_302600_NS17counting_iteratorIfNS8_11use_defaultESA_SA_EEPlZNS1_13binary_searchIS3_S5_PfSB_SC_NS1_21upper_bound_search_opENS8_6detail16wrapped_functionINS0_4lessIvEEbEEEE10hipError_tPvRmT1_T2_T3_mmT4_T5_P12ihipStream_tbEUlRKfE_EESL_SP_SQ_mSR_SU_bEUlT_E_NS1_11comp_targetILNS1_3genE2ELNS1_11target_archE906ELNS1_3gpuE6ELNS1_3repE0EEENS1_30default_config_static_selectorELNS0_4arch9wavefront6targetE1EEEvSO_: ; @_ZN7rocprim17ROCPRIM_400000_NS6detail17trampoline_kernelINS0_14default_configENS1_27upper_bound_config_selectorIflEEZNS1_14transform_implILb0ES3_S5_N6thrust23THRUST_200600_302600_NS17counting_iteratorIfNS8_11use_defaultESA_SA_EEPlZNS1_13binary_searchIS3_S5_PfSB_SC_NS1_21upper_bound_search_opENS8_6detail16wrapped_functionINS0_4lessIvEEbEEEE10hipError_tPvRmT1_T2_T3_mmT4_T5_P12ihipStream_tbEUlRKfE_EESL_SP_SQ_mSR_SU_bEUlT_E_NS1_11comp_targetILNS1_3genE2ELNS1_11target_archE906ELNS1_3gpuE6ELNS1_3repE0EEENS1_30default_config_static_selectorELNS0_4arch9wavefront6targetE1EEEvSO_
; %bb.0:
	.section	.rodata,"a",@progbits
	.p2align	6, 0x0
	.amdhsa_kernel _ZN7rocprim17ROCPRIM_400000_NS6detail17trampoline_kernelINS0_14default_configENS1_27upper_bound_config_selectorIflEEZNS1_14transform_implILb0ES3_S5_N6thrust23THRUST_200600_302600_NS17counting_iteratorIfNS8_11use_defaultESA_SA_EEPlZNS1_13binary_searchIS3_S5_PfSB_SC_NS1_21upper_bound_search_opENS8_6detail16wrapped_functionINS0_4lessIvEEbEEEE10hipError_tPvRmT1_T2_T3_mmT4_T5_P12ihipStream_tbEUlRKfE_EESL_SP_SQ_mSR_SU_bEUlT_E_NS1_11comp_targetILNS1_3genE2ELNS1_11target_archE906ELNS1_3gpuE6ELNS1_3repE0EEENS1_30default_config_static_selectorELNS0_4arch9wavefront6targetE1EEEvSO_
		.amdhsa_group_segment_fixed_size 0
		.amdhsa_private_segment_fixed_size 0
		.amdhsa_kernarg_size 56
		.amdhsa_user_sgpr_count 6
		.amdhsa_user_sgpr_private_segment_buffer 1
		.amdhsa_user_sgpr_dispatch_ptr 0
		.amdhsa_user_sgpr_queue_ptr 0
		.amdhsa_user_sgpr_kernarg_segment_ptr 1
		.amdhsa_user_sgpr_dispatch_id 0
		.amdhsa_user_sgpr_flat_scratch_init 0
		.amdhsa_user_sgpr_kernarg_preload_length 0
		.amdhsa_user_sgpr_kernarg_preload_offset 0
		.amdhsa_user_sgpr_private_segment_size 0
		.amdhsa_uses_dynamic_stack 0
		.amdhsa_system_sgpr_private_segment_wavefront_offset 0
		.amdhsa_system_sgpr_workgroup_id_x 1
		.amdhsa_system_sgpr_workgroup_id_y 0
		.amdhsa_system_sgpr_workgroup_id_z 0
		.amdhsa_system_sgpr_workgroup_info 0
		.amdhsa_system_vgpr_workitem_id 0
		.amdhsa_next_free_vgpr 1
		.amdhsa_next_free_sgpr 0
		.amdhsa_accum_offset 4
		.amdhsa_reserve_vcc 0
		.amdhsa_reserve_flat_scratch 0
		.amdhsa_float_round_mode_32 0
		.amdhsa_float_round_mode_16_64 0
		.amdhsa_float_denorm_mode_32 3
		.amdhsa_float_denorm_mode_16_64 3
		.amdhsa_dx10_clamp 1
		.amdhsa_ieee_mode 1
		.amdhsa_fp16_overflow 0
		.amdhsa_tg_split 0
		.amdhsa_exception_fp_ieee_invalid_op 0
		.amdhsa_exception_fp_denorm_src 0
		.amdhsa_exception_fp_ieee_div_zero 0
		.amdhsa_exception_fp_ieee_overflow 0
		.amdhsa_exception_fp_ieee_underflow 0
		.amdhsa_exception_fp_ieee_inexact 0
		.amdhsa_exception_int_div_zero 0
	.end_amdhsa_kernel
	.section	.text._ZN7rocprim17ROCPRIM_400000_NS6detail17trampoline_kernelINS0_14default_configENS1_27upper_bound_config_selectorIflEEZNS1_14transform_implILb0ES3_S5_N6thrust23THRUST_200600_302600_NS17counting_iteratorIfNS8_11use_defaultESA_SA_EEPlZNS1_13binary_searchIS3_S5_PfSB_SC_NS1_21upper_bound_search_opENS8_6detail16wrapped_functionINS0_4lessIvEEbEEEE10hipError_tPvRmT1_T2_T3_mmT4_T5_P12ihipStream_tbEUlRKfE_EESL_SP_SQ_mSR_SU_bEUlT_E_NS1_11comp_targetILNS1_3genE2ELNS1_11target_archE906ELNS1_3gpuE6ELNS1_3repE0EEENS1_30default_config_static_selectorELNS0_4arch9wavefront6targetE1EEEvSO_,"axG",@progbits,_ZN7rocprim17ROCPRIM_400000_NS6detail17trampoline_kernelINS0_14default_configENS1_27upper_bound_config_selectorIflEEZNS1_14transform_implILb0ES3_S5_N6thrust23THRUST_200600_302600_NS17counting_iteratorIfNS8_11use_defaultESA_SA_EEPlZNS1_13binary_searchIS3_S5_PfSB_SC_NS1_21upper_bound_search_opENS8_6detail16wrapped_functionINS0_4lessIvEEbEEEE10hipError_tPvRmT1_T2_T3_mmT4_T5_P12ihipStream_tbEUlRKfE_EESL_SP_SQ_mSR_SU_bEUlT_E_NS1_11comp_targetILNS1_3genE2ELNS1_11target_archE906ELNS1_3gpuE6ELNS1_3repE0EEENS1_30default_config_static_selectorELNS0_4arch9wavefront6targetE1EEEvSO_,comdat
.Lfunc_end103:
	.size	_ZN7rocprim17ROCPRIM_400000_NS6detail17trampoline_kernelINS0_14default_configENS1_27upper_bound_config_selectorIflEEZNS1_14transform_implILb0ES3_S5_N6thrust23THRUST_200600_302600_NS17counting_iteratorIfNS8_11use_defaultESA_SA_EEPlZNS1_13binary_searchIS3_S5_PfSB_SC_NS1_21upper_bound_search_opENS8_6detail16wrapped_functionINS0_4lessIvEEbEEEE10hipError_tPvRmT1_T2_T3_mmT4_T5_P12ihipStream_tbEUlRKfE_EESL_SP_SQ_mSR_SU_bEUlT_E_NS1_11comp_targetILNS1_3genE2ELNS1_11target_archE906ELNS1_3gpuE6ELNS1_3repE0EEENS1_30default_config_static_selectorELNS0_4arch9wavefront6targetE1EEEvSO_, .Lfunc_end103-_ZN7rocprim17ROCPRIM_400000_NS6detail17trampoline_kernelINS0_14default_configENS1_27upper_bound_config_selectorIflEEZNS1_14transform_implILb0ES3_S5_N6thrust23THRUST_200600_302600_NS17counting_iteratorIfNS8_11use_defaultESA_SA_EEPlZNS1_13binary_searchIS3_S5_PfSB_SC_NS1_21upper_bound_search_opENS8_6detail16wrapped_functionINS0_4lessIvEEbEEEE10hipError_tPvRmT1_T2_T3_mmT4_T5_P12ihipStream_tbEUlRKfE_EESL_SP_SQ_mSR_SU_bEUlT_E_NS1_11comp_targetILNS1_3genE2ELNS1_11target_archE906ELNS1_3gpuE6ELNS1_3repE0EEENS1_30default_config_static_selectorELNS0_4arch9wavefront6targetE1EEEvSO_
                                        ; -- End function
	.section	.AMDGPU.csdata,"",@progbits
; Kernel info:
; codeLenInByte = 0
; NumSgprs: 4
; NumVgprs: 0
; NumAgprs: 0
; TotalNumVgprs: 0
; ScratchSize: 0
; MemoryBound: 0
; FloatMode: 240
; IeeeMode: 1
; LDSByteSize: 0 bytes/workgroup (compile time only)
; SGPRBlocks: 0
; VGPRBlocks: 0
; NumSGPRsForWavesPerEU: 4
; NumVGPRsForWavesPerEU: 1
; AccumOffset: 4
; Occupancy: 8
; WaveLimiterHint : 0
; COMPUTE_PGM_RSRC2:SCRATCH_EN: 0
; COMPUTE_PGM_RSRC2:USER_SGPR: 6
; COMPUTE_PGM_RSRC2:TRAP_HANDLER: 0
; COMPUTE_PGM_RSRC2:TGID_X_EN: 1
; COMPUTE_PGM_RSRC2:TGID_Y_EN: 0
; COMPUTE_PGM_RSRC2:TGID_Z_EN: 0
; COMPUTE_PGM_RSRC2:TIDIG_COMP_CNT: 0
; COMPUTE_PGM_RSRC3_GFX90A:ACCUM_OFFSET: 0
; COMPUTE_PGM_RSRC3_GFX90A:TG_SPLIT: 0
	.section	.text._ZN7rocprim17ROCPRIM_400000_NS6detail17trampoline_kernelINS0_14default_configENS1_27upper_bound_config_selectorIflEEZNS1_14transform_implILb0ES3_S5_N6thrust23THRUST_200600_302600_NS17counting_iteratorIfNS8_11use_defaultESA_SA_EEPlZNS1_13binary_searchIS3_S5_PfSB_SC_NS1_21upper_bound_search_opENS8_6detail16wrapped_functionINS0_4lessIvEEbEEEE10hipError_tPvRmT1_T2_T3_mmT4_T5_P12ihipStream_tbEUlRKfE_EESL_SP_SQ_mSR_SU_bEUlT_E_NS1_11comp_targetILNS1_3genE10ELNS1_11target_archE1201ELNS1_3gpuE5ELNS1_3repE0EEENS1_30default_config_static_selectorELNS0_4arch9wavefront6targetE1EEEvSO_,"axG",@progbits,_ZN7rocprim17ROCPRIM_400000_NS6detail17trampoline_kernelINS0_14default_configENS1_27upper_bound_config_selectorIflEEZNS1_14transform_implILb0ES3_S5_N6thrust23THRUST_200600_302600_NS17counting_iteratorIfNS8_11use_defaultESA_SA_EEPlZNS1_13binary_searchIS3_S5_PfSB_SC_NS1_21upper_bound_search_opENS8_6detail16wrapped_functionINS0_4lessIvEEbEEEE10hipError_tPvRmT1_T2_T3_mmT4_T5_P12ihipStream_tbEUlRKfE_EESL_SP_SQ_mSR_SU_bEUlT_E_NS1_11comp_targetILNS1_3genE10ELNS1_11target_archE1201ELNS1_3gpuE5ELNS1_3repE0EEENS1_30default_config_static_selectorELNS0_4arch9wavefront6targetE1EEEvSO_,comdat
	.protected	_ZN7rocprim17ROCPRIM_400000_NS6detail17trampoline_kernelINS0_14default_configENS1_27upper_bound_config_selectorIflEEZNS1_14transform_implILb0ES3_S5_N6thrust23THRUST_200600_302600_NS17counting_iteratorIfNS8_11use_defaultESA_SA_EEPlZNS1_13binary_searchIS3_S5_PfSB_SC_NS1_21upper_bound_search_opENS8_6detail16wrapped_functionINS0_4lessIvEEbEEEE10hipError_tPvRmT1_T2_T3_mmT4_T5_P12ihipStream_tbEUlRKfE_EESL_SP_SQ_mSR_SU_bEUlT_E_NS1_11comp_targetILNS1_3genE10ELNS1_11target_archE1201ELNS1_3gpuE5ELNS1_3repE0EEENS1_30default_config_static_selectorELNS0_4arch9wavefront6targetE1EEEvSO_ ; -- Begin function _ZN7rocprim17ROCPRIM_400000_NS6detail17trampoline_kernelINS0_14default_configENS1_27upper_bound_config_selectorIflEEZNS1_14transform_implILb0ES3_S5_N6thrust23THRUST_200600_302600_NS17counting_iteratorIfNS8_11use_defaultESA_SA_EEPlZNS1_13binary_searchIS3_S5_PfSB_SC_NS1_21upper_bound_search_opENS8_6detail16wrapped_functionINS0_4lessIvEEbEEEE10hipError_tPvRmT1_T2_T3_mmT4_T5_P12ihipStream_tbEUlRKfE_EESL_SP_SQ_mSR_SU_bEUlT_E_NS1_11comp_targetILNS1_3genE10ELNS1_11target_archE1201ELNS1_3gpuE5ELNS1_3repE0EEENS1_30default_config_static_selectorELNS0_4arch9wavefront6targetE1EEEvSO_
	.globl	_ZN7rocprim17ROCPRIM_400000_NS6detail17trampoline_kernelINS0_14default_configENS1_27upper_bound_config_selectorIflEEZNS1_14transform_implILb0ES3_S5_N6thrust23THRUST_200600_302600_NS17counting_iteratorIfNS8_11use_defaultESA_SA_EEPlZNS1_13binary_searchIS3_S5_PfSB_SC_NS1_21upper_bound_search_opENS8_6detail16wrapped_functionINS0_4lessIvEEbEEEE10hipError_tPvRmT1_T2_T3_mmT4_T5_P12ihipStream_tbEUlRKfE_EESL_SP_SQ_mSR_SU_bEUlT_E_NS1_11comp_targetILNS1_3genE10ELNS1_11target_archE1201ELNS1_3gpuE5ELNS1_3repE0EEENS1_30default_config_static_selectorELNS0_4arch9wavefront6targetE1EEEvSO_
	.p2align	8
	.type	_ZN7rocprim17ROCPRIM_400000_NS6detail17trampoline_kernelINS0_14default_configENS1_27upper_bound_config_selectorIflEEZNS1_14transform_implILb0ES3_S5_N6thrust23THRUST_200600_302600_NS17counting_iteratorIfNS8_11use_defaultESA_SA_EEPlZNS1_13binary_searchIS3_S5_PfSB_SC_NS1_21upper_bound_search_opENS8_6detail16wrapped_functionINS0_4lessIvEEbEEEE10hipError_tPvRmT1_T2_T3_mmT4_T5_P12ihipStream_tbEUlRKfE_EESL_SP_SQ_mSR_SU_bEUlT_E_NS1_11comp_targetILNS1_3genE10ELNS1_11target_archE1201ELNS1_3gpuE5ELNS1_3repE0EEENS1_30default_config_static_selectorELNS0_4arch9wavefront6targetE1EEEvSO_,@function
_ZN7rocprim17ROCPRIM_400000_NS6detail17trampoline_kernelINS0_14default_configENS1_27upper_bound_config_selectorIflEEZNS1_14transform_implILb0ES3_S5_N6thrust23THRUST_200600_302600_NS17counting_iteratorIfNS8_11use_defaultESA_SA_EEPlZNS1_13binary_searchIS3_S5_PfSB_SC_NS1_21upper_bound_search_opENS8_6detail16wrapped_functionINS0_4lessIvEEbEEEE10hipError_tPvRmT1_T2_T3_mmT4_T5_P12ihipStream_tbEUlRKfE_EESL_SP_SQ_mSR_SU_bEUlT_E_NS1_11comp_targetILNS1_3genE10ELNS1_11target_archE1201ELNS1_3gpuE5ELNS1_3repE0EEENS1_30default_config_static_selectorELNS0_4arch9wavefront6targetE1EEEvSO_: ; @_ZN7rocprim17ROCPRIM_400000_NS6detail17trampoline_kernelINS0_14default_configENS1_27upper_bound_config_selectorIflEEZNS1_14transform_implILb0ES3_S5_N6thrust23THRUST_200600_302600_NS17counting_iteratorIfNS8_11use_defaultESA_SA_EEPlZNS1_13binary_searchIS3_S5_PfSB_SC_NS1_21upper_bound_search_opENS8_6detail16wrapped_functionINS0_4lessIvEEbEEEE10hipError_tPvRmT1_T2_T3_mmT4_T5_P12ihipStream_tbEUlRKfE_EESL_SP_SQ_mSR_SU_bEUlT_E_NS1_11comp_targetILNS1_3genE10ELNS1_11target_archE1201ELNS1_3gpuE5ELNS1_3repE0EEENS1_30default_config_static_selectorELNS0_4arch9wavefront6targetE1EEEvSO_
; %bb.0:
	.section	.rodata,"a",@progbits
	.p2align	6, 0x0
	.amdhsa_kernel _ZN7rocprim17ROCPRIM_400000_NS6detail17trampoline_kernelINS0_14default_configENS1_27upper_bound_config_selectorIflEEZNS1_14transform_implILb0ES3_S5_N6thrust23THRUST_200600_302600_NS17counting_iteratorIfNS8_11use_defaultESA_SA_EEPlZNS1_13binary_searchIS3_S5_PfSB_SC_NS1_21upper_bound_search_opENS8_6detail16wrapped_functionINS0_4lessIvEEbEEEE10hipError_tPvRmT1_T2_T3_mmT4_T5_P12ihipStream_tbEUlRKfE_EESL_SP_SQ_mSR_SU_bEUlT_E_NS1_11comp_targetILNS1_3genE10ELNS1_11target_archE1201ELNS1_3gpuE5ELNS1_3repE0EEENS1_30default_config_static_selectorELNS0_4arch9wavefront6targetE1EEEvSO_
		.amdhsa_group_segment_fixed_size 0
		.amdhsa_private_segment_fixed_size 0
		.amdhsa_kernarg_size 56
		.amdhsa_user_sgpr_count 6
		.amdhsa_user_sgpr_private_segment_buffer 1
		.amdhsa_user_sgpr_dispatch_ptr 0
		.amdhsa_user_sgpr_queue_ptr 0
		.amdhsa_user_sgpr_kernarg_segment_ptr 1
		.amdhsa_user_sgpr_dispatch_id 0
		.amdhsa_user_sgpr_flat_scratch_init 0
		.amdhsa_user_sgpr_kernarg_preload_length 0
		.amdhsa_user_sgpr_kernarg_preload_offset 0
		.amdhsa_user_sgpr_private_segment_size 0
		.amdhsa_uses_dynamic_stack 0
		.amdhsa_system_sgpr_private_segment_wavefront_offset 0
		.amdhsa_system_sgpr_workgroup_id_x 1
		.amdhsa_system_sgpr_workgroup_id_y 0
		.amdhsa_system_sgpr_workgroup_id_z 0
		.amdhsa_system_sgpr_workgroup_info 0
		.amdhsa_system_vgpr_workitem_id 0
		.amdhsa_next_free_vgpr 1
		.amdhsa_next_free_sgpr 0
		.amdhsa_accum_offset 4
		.amdhsa_reserve_vcc 0
		.amdhsa_reserve_flat_scratch 0
		.amdhsa_float_round_mode_32 0
		.amdhsa_float_round_mode_16_64 0
		.amdhsa_float_denorm_mode_32 3
		.amdhsa_float_denorm_mode_16_64 3
		.amdhsa_dx10_clamp 1
		.amdhsa_ieee_mode 1
		.amdhsa_fp16_overflow 0
		.amdhsa_tg_split 0
		.amdhsa_exception_fp_ieee_invalid_op 0
		.amdhsa_exception_fp_denorm_src 0
		.amdhsa_exception_fp_ieee_div_zero 0
		.amdhsa_exception_fp_ieee_overflow 0
		.amdhsa_exception_fp_ieee_underflow 0
		.amdhsa_exception_fp_ieee_inexact 0
		.amdhsa_exception_int_div_zero 0
	.end_amdhsa_kernel
	.section	.text._ZN7rocprim17ROCPRIM_400000_NS6detail17trampoline_kernelINS0_14default_configENS1_27upper_bound_config_selectorIflEEZNS1_14transform_implILb0ES3_S5_N6thrust23THRUST_200600_302600_NS17counting_iteratorIfNS8_11use_defaultESA_SA_EEPlZNS1_13binary_searchIS3_S5_PfSB_SC_NS1_21upper_bound_search_opENS8_6detail16wrapped_functionINS0_4lessIvEEbEEEE10hipError_tPvRmT1_T2_T3_mmT4_T5_P12ihipStream_tbEUlRKfE_EESL_SP_SQ_mSR_SU_bEUlT_E_NS1_11comp_targetILNS1_3genE10ELNS1_11target_archE1201ELNS1_3gpuE5ELNS1_3repE0EEENS1_30default_config_static_selectorELNS0_4arch9wavefront6targetE1EEEvSO_,"axG",@progbits,_ZN7rocprim17ROCPRIM_400000_NS6detail17trampoline_kernelINS0_14default_configENS1_27upper_bound_config_selectorIflEEZNS1_14transform_implILb0ES3_S5_N6thrust23THRUST_200600_302600_NS17counting_iteratorIfNS8_11use_defaultESA_SA_EEPlZNS1_13binary_searchIS3_S5_PfSB_SC_NS1_21upper_bound_search_opENS8_6detail16wrapped_functionINS0_4lessIvEEbEEEE10hipError_tPvRmT1_T2_T3_mmT4_T5_P12ihipStream_tbEUlRKfE_EESL_SP_SQ_mSR_SU_bEUlT_E_NS1_11comp_targetILNS1_3genE10ELNS1_11target_archE1201ELNS1_3gpuE5ELNS1_3repE0EEENS1_30default_config_static_selectorELNS0_4arch9wavefront6targetE1EEEvSO_,comdat
.Lfunc_end104:
	.size	_ZN7rocprim17ROCPRIM_400000_NS6detail17trampoline_kernelINS0_14default_configENS1_27upper_bound_config_selectorIflEEZNS1_14transform_implILb0ES3_S5_N6thrust23THRUST_200600_302600_NS17counting_iteratorIfNS8_11use_defaultESA_SA_EEPlZNS1_13binary_searchIS3_S5_PfSB_SC_NS1_21upper_bound_search_opENS8_6detail16wrapped_functionINS0_4lessIvEEbEEEE10hipError_tPvRmT1_T2_T3_mmT4_T5_P12ihipStream_tbEUlRKfE_EESL_SP_SQ_mSR_SU_bEUlT_E_NS1_11comp_targetILNS1_3genE10ELNS1_11target_archE1201ELNS1_3gpuE5ELNS1_3repE0EEENS1_30default_config_static_selectorELNS0_4arch9wavefront6targetE1EEEvSO_, .Lfunc_end104-_ZN7rocprim17ROCPRIM_400000_NS6detail17trampoline_kernelINS0_14default_configENS1_27upper_bound_config_selectorIflEEZNS1_14transform_implILb0ES3_S5_N6thrust23THRUST_200600_302600_NS17counting_iteratorIfNS8_11use_defaultESA_SA_EEPlZNS1_13binary_searchIS3_S5_PfSB_SC_NS1_21upper_bound_search_opENS8_6detail16wrapped_functionINS0_4lessIvEEbEEEE10hipError_tPvRmT1_T2_T3_mmT4_T5_P12ihipStream_tbEUlRKfE_EESL_SP_SQ_mSR_SU_bEUlT_E_NS1_11comp_targetILNS1_3genE10ELNS1_11target_archE1201ELNS1_3gpuE5ELNS1_3repE0EEENS1_30default_config_static_selectorELNS0_4arch9wavefront6targetE1EEEvSO_
                                        ; -- End function
	.section	.AMDGPU.csdata,"",@progbits
; Kernel info:
; codeLenInByte = 0
; NumSgprs: 4
; NumVgprs: 0
; NumAgprs: 0
; TotalNumVgprs: 0
; ScratchSize: 0
; MemoryBound: 0
; FloatMode: 240
; IeeeMode: 1
; LDSByteSize: 0 bytes/workgroup (compile time only)
; SGPRBlocks: 0
; VGPRBlocks: 0
; NumSGPRsForWavesPerEU: 4
; NumVGPRsForWavesPerEU: 1
; AccumOffset: 4
; Occupancy: 8
; WaveLimiterHint : 0
; COMPUTE_PGM_RSRC2:SCRATCH_EN: 0
; COMPUTE_PGM_RSRC2:USER_SGPR: 6
; COMPUTE_PGM_RSRC2:TRAP_HANDLER: 0
; COMPUTE_PGM_RSRC2:TGID_X_EN: 1
; COMPUTE_PGM_RSRC2:TGID_Y_EN: 0
; COMPUTE_PGM_RSRC2:TGID_Z_EN: 0
; COMPUTE_PGM_RSRC2:TIDIG_COMP_CNT: 0
; COMPUTE_PGM_RSRC3_GFX90A:ACCUM_OFFSET: 0
; COMPUTE_PGM_RSRC3_GFX90A:TG_SPLIT: 0
	.section	.text._ZN7rocprim17ROCPRIM_400000_NS6detail17trampoline_kernelINS0_14default_configENS1_27upper_bound_config_selectorIflEEZNS1_14transform_implILb0ES3_S5_N6thrust23THRUST_200600_302600_NS17counting_iteratorIfNS8_11use_defaultESA_SA_EEPlZNS1_13binary_searchIS3_S5_PfSB_SC_NS1_21upper_bound_search_opENS8_6detail16wrapped_functionINS0_4lessIvEEbEEEE10hipError_tPvRmT1_T2_T3_mmT4_T5_P12ihipStream_tbEUlRKfE_EESL_SP_SQ_mSR_SU_bEUlT_E_NS1_11comp_targetILNS1_3genE10ELNS1_11target_archE1200ELNS1_3gpuE4ELNS1_3repE0EEENS1_30default_config_static_selectorELNS0_4arch9wavefront6targetE1EEEvSO_,"axG",@progbits,_ZN7rocprim17ROCPRIM_400000_NS6detail17trampoline_kernelINS0_14default_configENS1_27upper_bound_config_selectorIflEEZNS1_14transform_implILb0ES3_S5_N6thrust23THRUST_200600_302600_NS17counting_iteratorIfNS8_11use_defaultESA_SA_EEPlZNS1_13binary_searchIS3_S5_PfSB_SC_NS1_21upper_bound_search_opENS8_6detail16wrapped_functionINS0_4lessIvEEbEEEE10hipError_tPvRmT1_T2_T3_mmT4_T5_P12ihipStream_tbEUlRKfE_EESL_SP_SQ_mSR_SU_bEUlT_E_NS1_11comp_targetILNS1_3genE10ELNS1_11target_archE1200ELNS1_3gpuE4ELNS1_3repE0EEENS1_30default_config_static_selectorELNS0_4arch9wavefront6targetE1EEEvSO_,comdat
	.protected	_ZN7rocprim17ROCPRIM_400000_NS6detail17trampoline_kernelINS0_14default_configENS1_27upper_bound_config_selectorIflEEZNS1_14transform_implILb0ES3_S5_N6thrust23THRUST_200600_302600_NS17counting_iteratorIfNS8_11use_defaultESA_SA_EEPlZNS1_13binary_searchIS3_S5_PfSB_SC_NS1_21upper_bound_search_opENS8_6detail16wrapped_functionINS0_4lessIvEEbEEEE10hipError_tPvRmT1_T2_T3_mmT4_T5_P12ihipStream_tbEUlRKfE_EESL_SP_SQ_mSR_SU_bEUlT_E_NS1_11comp_targetILNS1_3genE10ELNS1_11target_archE1200ELNS1_3gpuE4ELNS1_3repE0EEENS1_30default_config_static_selectorELNS0_4arch9wavefront6targetE1EEEvSO_ ; -- Begin function _ZN7rocprim17ROCPRIM_400000_NS6detail17trampoline_kernelINS0_14default_configENS1_27upper_bound_config_selectorIflEEZNS1_14transform_implILb0ES3_S5_N6thrust23THRUST_200600_302600_NS17counting_iteratorIfNS8_11use_defaultESA_SA_EEPlZNS1_13binary_searchIS3_S5_PfSB_SC_NS1_21upper_bound_search_opENS8_6detail16wrapped_functionINS0_4lessIvEEbEEEE10hipError_tPvRmT1_T2_T3_mmT4_T5_P12ihipStream_tbEUlRKfE_EESL_SP_SQ_mSR_SU_bEUlT_E_NS1_11comp_targetILNS1_3genE10ELNS1_11target_archE1200ELNS1_3gpuE4ELNS1_3repE0EEENS1_30default_config_static_selectorELNS0_4arch9wavefront6targetE1EEEvSO_
	.globl	_ZN7rocprim17ROCPRIM_400000_NS6detail17trampoline_kernelINS0_14default_configENS1_27upper_bound_config_selectorIflEEZNS1_14transform_implILb0ES3_S5_N6thrust23THRUST_200600_302600_NS17counting_iteratorIfNS8_11use_defaultESA_SA_EEPlZNS1_13binary_searchIS3_S5_PfSB_SC_NS1_21upper_bound_search_opENS8_6detail16wrapped_functionINS0_4lessIvEEbEEEE10hipError_tPvRmT1_T2_T3_mmT4_T5_P12ihipStream_tbEUlRKfE_EESL_SP_SQ_mSR_SU_bEUlT_E_NS1_11comp_targetILNS1_3genE10ELNS1_11target_archE1200ELNS1_3gpuE4ELNS1_3repE0EEENS1_30default_config_static_selectorELNS0_4arch9wavefront6targetE1EEEvSO_
	.p2align	8
	.type	_ZN7rocprim17ROCPRIM_400000_NS6detail17trampoline_kernelINS0_14default_configENS1_27upper_bound_config_selectorIflEEZNS1_14transform_implILb0ES3_S5_N6thrust23THRUST_200600_302600_NS17counting_iteratorIfNS8_11use_defaultESA_SA_EEPlZNS1_13binary_searchIS3_S5_PfSB_SC_NS1_21upper_bound_search_opENS8_6detail16wrapped_functionINS0_4lessIvEEbEEEE10hipError_tPvRmT1_T2_T3_mmT4_T5_P12ihipStream_tbEUlRKfE_EESL_SP_SQ_mSR_SU_bEUlT_E_NS1_11comp_targetILNS1_3genE10ELNS1_11target_archE1200ELNS1_3gpuE4ELNS1_3repE0EEENS1_30default_config_static_selectorELNS0_4arch9wavefront6targetE1EEEvSO_,@function
_ZN7rocprim17ROCPRIM_400000_NS6detail17trampoline_kernelINS0_14default_configENS1_27upper_bound_config_selectorIflEEZNS1_14transform_implILb0ES3_S5_N6thrust23THRUST_200600_302600_NS17counting_iteratorIfNS8_11use_defaultESA_SA_EEPlZNS1_13binary_searchIS3_S5_PfSB_SC_NS1_21upper_bound_search_opENS8_6detail16wrapped_functionINS0_4lessIvEEbEEEE10hipError_tPvRmT1_T2_T3_mmT4_T5_P12ihipStream_tbEUlRKfE_EESL_SP_SQ_mSR_SU_bEUlT_E_NS1_11comp_targetILNS1_3genE10ELNS1_11target_archE1200ELNS1_3gpuE4ELNS1_3repE0EEENS1_30default_config_static_selectorELNS0_4arch9wavefront6targetE1EEEvSO_: ; @_ZN7rocprim17ROCPRIM_400000_NS6detail17trampoline_kernelINS0_14default_configENS1_27upper_bound_config_selectorIflEEZNS1_14transform_implILb0ES3_S5_N6thrust23THRUST_200600_302600_NS17counting_iteratorIfNS8_11use_defaultESA_SA_EEPlZNS1_13binary_searchIS3_S5_PfSB_SC_NS1_21upper_bound_search_opENS8_6detail16wrapped_functionINS0_4lessIvEEbEEEE10hipError_tPvRmT1_T2_T3_mmT4_T5_P12ihipStream_tbEUlRKfE_EESL_SP_SQ_mSR_SU_bEUlT_E_NS1_11comp_targetILNS1_3genE10ELNS1_11target_archE1200ELNS1_3gpuE4ELNS1_3repE0EEENS1_30default_config_static_selectorELNS0_4arch9wavefront6targetE1EEEvSO_
; %bb.0:
	.section	.rodata,"a",@progbits
	.p2align	6, 0x0
	.amdhsa_kernel _ZN7rocprim17ROCPRIM_400000_NS6detail17trampoline_kernelINS0_14default_configENS1_27upper_bound_config_selectorIflEEZNS1_14transform_implILb0ES3_S5_N6thrust23THRUST_200600_302600_NS17counting_iteratorIfNS8_11use_defaultESA_SA_EEPlZNS1_13binary_searchIS3_S5_PfSB_SC_NS1_21upper_bound_search_opENS8_6detail16wrapped_functionINS0_4lessIvEEbEEEE10hipError_tPvRmT1_T2_T3_mmT4_T5_P12ihipStream_tbEUlRKfE_EESL_SP_SQ_mSR_SU_bEUlT_E_NS1_11comp_targetILNS1_3genE10ELNS1_11target_archE1200ELNS1_3gpuE4ELNS1_3repE0EEENS1_30default_config_static_selectorELNS0_4arch9wavefront6targetE1EEEvSO_
		.amdhsa_group_segment_fixed_size 0
		.amdhsa_private_segment_fixed_size 0
		.amdhsa_kernarg_size 56
		.amdhsa_user_sgpr_count 6
		.amdhsa_user_sgpr_private_segment_buffer 1
		.amdhsa_user_sgpr_dispatch_ptr 0
		.amdhsa_user_sgpr_queue_ptr 0
		.amdhsa_user_sgpr_kernarg_segment_ptr 1
		.amdhsa_user_sgpr_dispatch_id 0
		.amdhsa_user_sgpr_flat_scratch_init 0
		.amdhsa_user_sgpr_kernarg_preload_length 0
		.amdhsa_user_sgpr_kernarg_preload_offset 0
		.amdhsa_user_sgpr_private_segment_size 0
		.amdhsa_uses_dynamic_stack 0
		.amdhsa_system_sgpr_private_segment_wavefront_offset 0
		.amdhsa_system_sgpr_workgroup_id_x 1
		.amdhsa_system_sgpr_workgroup_id_y 0
		.amdhsa_system_sgpr_workgroup_id_z 0
		.amdhsa_system_sgpr_workgroup_info 0
		.amdhsa_system_vgpr_workitem_id 0
		.amdhsa_next_free_vgpr 1
		.amdhsa_next_free_sgpr 0
		.amdhsa_accum_offset 4
		.amdhsa_reserve_vcc 0
		.amdhsa_reserve_flat_scratch 0
		.amdhsa_float_round_mode_32 0
		.amdhsa_float_round_mode_16_64 0
		.amdhsa_float_denorm_mode_32 3
		.amdhsa_float_denorm_mode_16_64 3
		.amdhsa_dx10_clamp 1
		.amdhsa_ieee_mode 1
		.amdhsa_fp16_overflow 0
		.amdhsa_tg_split 0
		.amdhsa_exception_fp_ieee_invalid_op 0
		.amdhsa_exception_fp_denorm_src 0
		.amdhsa_exception_fp_ieee_div_zero 0
		.amdhsa_exception_fp_ieee_overflow 0
		.amdhsa_exception_fp_ieee_underflow 0
		.amdhsa_exception_fp_ieee_inexact 0
		.amdhsa_exception_int_div_zero 0
	.end_amdhsa_kernel
	.section	.text._ZN7rocprim17ROCPRIM_400000_NS6detail17trampoline_kernelINS0_14default_configENS1_27upper_bound_config_selectorIflEEZNS1_14transform_implILb0ES3_S5_N6thrust23THRUST_200600_302600_NS17counting_iteratorIfNS8_11use_defaultESA_SA_EEPlZNS1_13binary_searchIS3_S5_PfSB_SC_NS1_21upper_bound_search_opENS8_6detail16wrapped_functionINS0_4lessIvEEbEEEE10hipError_tPvRmT1_T2_T3_mmT4_T5_P12ihipStream_tbEUlRKfE_EESL_SP_SQ_mSR_SU_bEUlT_E_NS1_11comp_targetILNS1_3genE10ELNS1_11target_archE1200ELNS1_3gpuE4ELNS1_3repE0EEENS1_30default_config_static_selectorELNS0_4arch9wavefront6targetE1EEEvSO_,"axG",@progbits,_ZN7rocprim17ROCPRIM_400000_NS6detail17trampoline_kernelINS0_14default_configENS1_27upper_bound_config_selectorIflEEZNS1_14transform_implILb0ES3_S5_N6thrust23THRUST_200600_302600_NS17counting_iteratorIfNS8_11use_defaultESA_SA_EEPlZNS1_13binary_searchIS3_S5_PfSB_SC_NS1_21upper_bound_search_opENS8_6detail16wrapped_functionINS0_4lessIvEEbEEEE10hipError_tPvRmT1_T2_T3_mmT4_T5_P12ihipStream_tbEUlRKfE_EESL_SP_SQ_mSR_SU_bEUlT_E_NS1_11comp_targetILNS1_3genE10ELNS1_11target_archE1200ELNS1_3gpuE4ELNS1_3repE0EEENS1_30default_config_static_selectorELNS0_4arch9wavefront6targetE1EEEvSO_,comdat
.Lfunc_end105:
	.size	_ZN7rocprim17ROCPRIM_400000_NS6detail17trampoline_kernelINS0_14default_configENS1_27upper_bound_config_selectorIflEEZNS1_14transform_implILb0ES3_S5_N6thrust23THRUST_200600_302600_NS17counting_iteratorIfNS8_11use_defaultESA_SA_EEPlZNS1_13binary_searchIS3_S5_PfSB_SC_NS1_21upper_bound_search_opENS8_6detail16wrapped_functionINS0_4lessIvEEbEEEE10hipError_tPvRmT1_T2_T3_mmT4_T5_P12ihipStream_tbEUlRKfE_EESL_SP_SQ_mSR_SU_bEUlT_E_NS1_11comp_targetILNS1_3genE10ELNS1_11target_archE1200ELNS1_3gpuE4ELNS1_3repE0EEENS1_30default_config_static_selectorELNS0_4arch9wavefront6targetE1EEEvSO_, .Lfunc_end105-_ZN7rocprim17ROCPRIM_400000_NS6detail17trampoline_kernelINS0_14default_configENS1_27upper_bound_config_selectorIflEEZNS1_14transform_implILb0ES3_S5_N6thrust23THRUST_200600_302600_NS17counting_iteratorIfNS8_11use_defaultESA_SA_EEPlZNS1_13binary_searchIS3_S5_PfSB_SC_NS1_21upper_bound_search_opENS8_6detail16wrapped_functionINS0_4lessIvEEbEEEE10hipError_tPvRmT1_T2_T3_mmT4_T5_P12ihipStream_tbEUlRKfE_EESL_SP_SQ_mSR_SU_bEUlT_E_NS1_11comp_targetILNS1_3genE10ELNS1_11target_archE1200ELNS1_3gpuE4ELNS1_3repE0EEENS1_30default_config_static_selectorELNS0_4arch9wavefront6targetE1EEEvSO_
                                        ; -- End function
	.section	.AMDGPU.csdata,"",@progbits
; Kernel info:
; codeLenInByte = 0
; NumSgprs: 4
; NumVgprs: 0
; NumAgprs: 0
; TotalNumVgprs: 0
; ScratchSize: 0
; MemoryBound: 0
; FloatMode: 240
; IeeeMode: 1
; LDSByteSize: 0 bytes/workgroup (compile time only)
; SGPRBlocks: 0
; VGPRBlocks: 0
; NumSGPRsForWavesPerEU: 4
; NumVGPRsForWavesPerEU: 1
; AccumOffset: 4
; Occupancy: 8
; WaveLimiterHint : 0
; COMPUTE_PGM_RSRC2:SCRATCH_EN: 0
; COMPUTE_PGM_RSRC2:USER_SGPR: 6
; COMPUTE_PGM_RSRC2:TRAP_HANDLER: 0
; COMPUTE_PGM_RSRC2:TGID_X_EN: 1
; COMPUTE_PGM_RSRC2:TGID_Y_EN: 0
; COMPUTE_PGM_RSRC2:TGID_Z_EN: 0
; COMPUTE_PGM_RSRC2:TIDIG_COMP_CNT: 0
; COMPUTE_PGM_RSRC3_GFX90A:ACCUM_OFFSET: 0
; COMPUTE_PGM_RSRC3_GFX90A:TG_SPLIT: 0
	.section	.text._ZN7rocprim17ROCPRIM_400000_NS6detail17trampoline_kernelINS0_14default_configENS1_27upper_bound_config_selectorIflEEZNS1_14transform_implILb0ES3_S5_N6thrust23THRUST_200600_302600_NS17counting_iteratorIfNS8_11use_defaultESA_SA_EEPlZNS1_13binary_searchIS3_S5_PfSB_SC_NS1_21upper_bound_search_opENS8_6detail16wrapped_functionINS0_4lessIvEEbEEEE10hipError_tPvRmT1_T2_T3_mmT4_T5_P12ihipStream_tbEUlRKfE_EESL_SP_SQ_mSR_SU_bEUlT_E_NS1_11comp_targetILNS1_3genE9ELNS1_11target_archE1100ELNS1_3gpuE3ELNS1_3repE0EEENS1_30default_config_static_selectorELNS0_4arch9wavefront6targetE1EEEvSO_,"axG",@progbits,_ZN7rocprim17ROCPRIM_400000_NS6detail17trampoline_kernelINS0_14default_configENS1_27upper_bound_config_selectorIflEEZNS1_14transform_implILb0ES3_S5_N6thrust23THRUST_200600_302600_NS17counting_iteratorIfNS8_11use_defaultESA_SA_EEPlZNS1_13binary_searchIS3_S5_PfSB_SC_NS1_21upper_bound_search_opENS8_6detail16wrapped_functionINS0_4lessIvEEbEEEE10hipError_tPvRmT1_T2_T3_mmT4_T5_P12ihipStream_tbEUlRKfE_EESL_SP_SQ_mSR_SU_bEUlT_E_NS1_11comp_targetILNS1_3genE9ELNS1_11target_archE1100ELNS1_3gpuE3ELNS1_3repE0EEENS1_30default_config_static_selectorELNS0_4arch9wavefront6targetE1EEEvSO_,comdat
	.protected	_ZN7rocprim17ROCPRIM_400000_NS6detail17trampoline_kernelINS0_14default_configENS1_27upper_bound_config_selectorIflEEZNS1_14transform_implILb0ES3_S5_N6thrust23THRUST_200600_302600_NS17counting_iteratorIfNS8_11use_defaultESA_SA_EEPlZNS1_13binary_searchIS3_S5_PfSB_SC_NS1_21upper_bound_search_opENS8_6detail16wrapped_functionINS0_4lessIvEEbEEEE10hipError_tPvRmT1_T2_T3_mmT4_T5_P12ihipStream_tbEUlRKfE_EESL_SP_SQ_mSR_SU_bEUlT_E_NS1_11comp_targetILNS1_3genE9ELNS1_11target_archE1100ELNS1_3gpuE3ELNS1_3repE0EEENS1_30default_config_static_selectorELNS0_4arch9wavefront6targetE1EEEvSO_ ; -- Begin function _ZN7rocprim17ROCPRIM_400000_NS6detail17trampoline_kernelINS0_14default_configENS1_27upper_bound_config_selectorIflEEZNS1_14transform_implILb0ES3_S5_N6thrust23THRUST_200600_302600_NS17counting_iteratorIfNS8_11use_defaultESA_SA_EEPlZNS1_13binary_searchIS3_S5_PfSB_SC_NS1_21upper_bound_search_opENS8_6detail16wrapped_functionINS0_4lessIvEEbEEEE10hipError_tPvRmT1_T2_T3_mmT4_T5_P12ihipStream_tbEUlRKfE_EESL_SP_SQ_mSR_SU_bEUlT_E_NS1_11comp_targetILNS1_3genE9ELNS1_11target_archE1100ELNS1_3gpuE3ELNS1_3repE0EEENS1_30default_config_static_selectorELNS0_4arch9wavefront6targetE1EEEvSO_
	.globl	_ZN7rocprim17ROCPRIM_400000_NS6detail17trampoline_kernelINS0_14default_configENS1_27upper_bound_config_selectorIflEEZNS1_14transform_implILb0ES3_S5_N6thrust23THRUST_200600_302600_NS17counting_iteratorIfNS8_11use_defaultESA_SA_EEPlZNS1_13binary_searchIS3_S5_PfSB_SC_NS1_21upper_bound_search_opENS8_6detail16wrapped_functionINS0_4lessIvEEbEEEE10hipError_tPvRmT1_T2_T3_mmT4_T5_P12ihipStream_tbEUlRKfE_EESL_SP_SQ_mSR_SU_bEUlT_E_NS1_11comp_targetILNS1_3genE9ELNS1_11target_archE1100ELNS1_3gpuE3ELNS1_3repE0EEENS1_30default_config_static_selectorELNS0_4arch9wavefront6targetE1EEEvSO_
	.p2align	8
	.type	_ZN7rocprim17ROCPRIM_400000_NS6detail17trampoline_kernelINS0_14default_configENS1_27upper_bound_config_selectorIflEEZNS1_14transform_implILb0ES3_S5_N6thrust23THRUST_200600_302600_NS17counting_iteratorIfNS8_11use_defaultESA_SA_EEPlZNS1_13binary_searchIS3_S5_PfSB_SC_NS1_21upper_bound_search_opENS8_6detail16wrapped_functionINS0_4lessIvEEbEEEE10hipError_tPvRmT1_T2_T3_mmT4_T5_P12ihipStream_tbEUlRKfE_EESL_SP_SQ_mSR_SU_bEUlT_E_NS1_11comp_targetILNS1_3genE9ELNS1_11target_archE1100ELNS1_3gpuE3ELNS1_3repE0EEENS1_30default_config_static_selectorELNS0_4arch9wavefront6targetE1EEEvSO_,@function
_ZN7rocprim17ROCPRIM_400000_NS6detail17trampoline_kernelINS0_14default_configENS1_27upper_bound_config_selectorIflEEZNS1_14transform_implILb0ES3_S5_N6thrust23THRUST_200600_302600_NS17counting_iteratorIfNS8_11use_defaultESA_SA_EEPlZNS1_13binary_searchIS3_S5_PfSB_SC_NS1_21upper_bound_search_opENS8_6detail16wrapped_functionINS0_4lessIvEEbEEEE10hipError_tPvRmT1_T2_T3_mmT4_T5_P12ihipStream_tbEUlRKfE_EESL_SP_SQ_mSR_SU_bEUlT_E_NS1_11comp_targetILNS1_3genE9ELNS1_11target_archE1100ELNS1_3gpuE3ELNS1_3repE0EEENS1_30default_config_static_selectorELNS0_4arch9wavefront6targetE1EEEvSO_: ; @_ZN7rocprim17ROCPRIM_400000_NS6detail17trampoline_kernelINS0_14default_configENS1_27upper_bound_config_selectorIflEEZNS1_14transform_implILb0ES3_S5_N6thrust23THRUST_200600_302600_NS17counting_iteratorIfNS8_11use_defaultESA_SA_EEPlZNS1_13binary_searchIS3_S5_PfSB_SC_NS1_21upper_bound_search_opENS8_6detail16wrapped_functionINS0_4lessIvEEbEEEE10hipError_tPvRmT1_T2_T3_mmT4_T5_P12ihipStream_tbEUlRKfE_EESL_SP_SQ_mSR_SU_bEUlT_E_NS1_11comp_targetILNS1_3genE9ELNS1_11target_archE1100ELNS1_3gpuE3ELNS1_3repE0EEENS1_30default_config_static_selectorELNS0_4arch9wavefront6targetE1EEEvSO_
; %bb.0:
	.section	.rodata,"a",@progbits
	.p2align	6, 0x0
	.amdhsa_kernel _ZN7rocprim17ROCPRIM_400000_NS6detail17trampoline_kernelINS0_14default_configENS1_27upper_bound_config_selectorIflEEZNS1_14transform_implILb0ES3_S5_N6thrust23THRUST_200600_302600_NS17counting_iteratorIfNS8_11use_defaultESA_SA_EEPlZNS1_13binary_searchIS3_S5_PfSB_SC_NS1_21upper_bound_search_opENS8_6detail16wrapped_functionINS0_4lessIvEEbEEEE10hipError_tPvRmT1_T2_T3_mmT4_T5_P12ihipStream_tbEUlRKfE_EESL_SP_SQ_mSR_SU_bEUlT_E_NS1_11comp_targetILNS1_3genE9ELNS1_11target_archE1100ELNS1_3gpuE3ELNS1_3repE0EEENS1_30default_config_static_selectorELNS0_4arch9wavefront6targetE1EEEvSO_
		.amdhsa_group_segment_fixed_size 0
		.amdhsa_private_segment_fixed_size 0
		.amdhsa_kernarg_size 56
		.amdhsa_user_sgpr_count 6
		.amdhsa_user_sgpr_private_segment_buffer 1
		.amdhsa_user_sgpr_dispatch_ptr 0
		.amdhsa_user_sgpr_queue_ptr 0
		.amdhsa_user_sgpr_kernarg_segment_ptr 1
		.amdhsa_user_sgpr_dispatch_id 0
		.amdhsa_user_sgpr_flat_scratch_init 0
		.amdhsa_user_sgpr_kernarg_preload_length 0
		.amdhsa_user_sgpr_kernarg_preload_offset 0
		.amdhsa_user_sgpr_private_segment_size 0
		.amdhsa_uses_dynamic_stack 0
		.amdhsa_system_sgpr_private_segment_wavefront_offset 0
		.amdhsa_system_sgpr_workgroup_id_x 1
		.amdhsa_system_sgpr_workgroup_id_y 0
		.amdhsa_system_sgpr_workgroup_id_z 0
		.amdhsa_system_sgpr_workgroup_info 0
		.amdhsa_system_vgpr_workitem_id 0
		.amdhsa_next_free_vgpr 1
		.amdhsa_next_free_sgpr 0
		.amdhsa_accum_offset 4
		.amdhsa_reserve_vcc 0
		.amdhsa_reserve_flat_scratch 0
		.amdhsa_float_round_mode_32 0
		.amdhsa_float_round_mode_16_64 0
		.amdhsa_float_denorm_mode_32 3
		.amdhsa_float_denorm_mode_16_64 3
		.amdhsa_dx10_clamp 1
		.amdhsa_ieee_mode 1
		.amdhsa_fp16_overflow 0
		.amdhsa_tg_split 0
		.amdhsa_exception_fp_ieee_invalid_op 0
		.amdhsa_exception_fp_denorm_src 0
		.amdhsa_exception_fp_ieee_div_zero 0
		.amdhsa_exception_fp_ieee_overflow 0
		.amdhsa_exception_fp_ieee_underflow 0
		.amdhsa_exception_fp_ieee_inexact 0
		.amdhsa_exception_int_div_zero 0
	.end_amdhsa_kernel
	.section	.text._ZN7rocprim17ROCPRIM_400000_NS6detail17trampoline_kernelINS0_14default_configENS1_27upper_bound_config_selectorIflEEZNS1_14transform_implILb0ES3_S5_N6thrust23THRUST_200600_302600_NS17counting_iteratorIfNS8_11use_defaultESA_SA_EEPlZNS1_13binary_searchIS3_S5_PfSB_SC_NS1_21upper_bound_search_opENS8_6detail16wrapped_functionINS0_4lessIvEEbEEEE10hipError_tPvRmT1_T2_T3_mmT4_T5_P12ihipStream_tbEUlRKfE_EESL_SP_SQ_mSR_SU_bEUlT_E_NS1_11comp_targetILNS1_3genE9ELNS1_11target_archE1100ELNS1_3gpuE3ELNS1_3repE0EEENS1_30default_config_static_selectorELNS0_4arch9wavefront6targetE1EEEvSO_,"axG",@progbits,_ZN7rocprim17ROCPRIM_400000_NS6detail17trampoline_kernelINS0_14default_configENS1_27upper_bound_config_selectorIflEEZNS1_14transform_implILb0ES3_S5_N6thrust23THRUST_200600_302600_NS17counting_iteratorIfNS8_11use_defaultESA_SA_EEPlZNS1_13binary_searchIS3_S5_PfSB_SC_NS1_21upper_bound_search_opENS8_6detail16wrapped_functionINS0_4lessIvEEbEEEE10hipError_tPvRmT1_T2_T3_mmT4_T5_P12ihipStream_tbEUlRKfE_EESL_SP_SQ_mSR_SU_bEUlT_E_NS1_11comp_targetILNS1_3genE9ELNS1_11target_archE1100ELNS1_3gpuE3ELNS1_3repE0EEENS1_30default_config_static_selectorELNS0_4arch9wavefront6targetE1EEEvSO_,comdat
.Lfunc_end106:
	.size	_ZN7rocprim17ROCPRIM_400000_NS6detail17trampoline_kernelINS0_14default_configENS1_27upper_bound_config_selectorIflEEZNS1_14transform_implILb0ES3_S5_N6thrust23THRUST_200600_302600_NS17counting_iteratorIfNS8_11use_defaultESA_SA_EEPlZNS1_13binary_searchIS3_S5_PfSB_SC_NS1_21upper_bound_search_opENS8_6detail16wrapped_functionINS0_4lessIvEEbEEEE10hipError_tPvRmT1_T2_T3_mmT4_T5_P12ihipStream_tbEUlRKfE_EESL_SP_SQ_mSR_SU_bEUlT_E_NS1_11comp_targetILNS1_3genE9ELNS1_11target_archE1100ELNS1_3gpuE3ELNS1_3repE0EEENS1_30default_config_static_selectorELNS0_4arch9wavefront6targetE1EEEvSO_, .Lfunc_end106-_ZN7rocprim17ROCPRIM_400000_NS6detail17trampoline_kernelINS0_14default_configENS1_27upper_bound_config_selectorIflEEZNS1_14transform_implILb0ES3_S5_N6thrust23THRUST_200600_302600_NS17counting_iteratorIfNS8_11use_defaultESA_SA_EEPlZNS1_13binary_searchIS3_S5_PfSB_SC_NS1_21upper_bound_search_opENS8_6detail16wrapped_functionINS0_4lessIvEEbEEEE10hipError_tPvRmT1_T2_T3_mmT4_T5_P12ihipStream_tbEUlRKfE_EESL_SP_SQ_mSR_SU_bEUlT_E_NS1_11comp_targetILNS1_3genE9ELNS1_11target_archE1100ELNS1_3gpuE3ELNS1_3repE0EEENS1_30default_config_static_selectorELNS0_4arch9wavefront6targetE1EEEvSO_
                                        ; -- End function
	.section	.AMDGPU.csdata,"",@progbits
; Kernel info:
; codeLenInByte = 0
; NumSgprs: 4
; NumVgprs: 0
; NumAgprs: 0
; TotalNumVgprs: 0
; ScratchSize: 0
; MemoryBound: 0
; FloatMode: 240
; IeeeMode: 1
; LDSByteSize: 0 bytes/workgroup (compile time only)
; SGPRBlocks: 0
; VGPRBlocks: 0
; NumSGPRsForWavesPerEU: 4
; NumVGPRsForWavesPerEU: 1
; AccumOffset: 4
; Occupancy: 8
; WaveLimiterHint : 0
; COMPUTE_PGM_RSRC2:SCRATCH_EN: 0
; COMPUTE_PGM_RSRC2:USER_SGPR: 6
; COMPUTE_PGM_RSRC2:TRAP_HANDLER: 0
; COMPUTE_PGM_RSRC2:TGID_X_EN: 1
; COMPUTE_PGM_RSRC2:TGID_Y_EN: 0
; COMPUTE_PGM_RSRC2:TGID_Z_EN: 0
; COMPUTE_PGM_RSRC2:TIDIG_COMP_CNT: 0
; COMPUTE_PGM_RSRC3_GFX90A:ACCUM_OFFSET: 0
; COMPUTE_PGM_RSRC3_GFX90A:TG_SPLIT: 0
	.section	.text._ZN7rocprim17ROCPRIM_400000_NS6detail17trampoline_kernelINS0_14default_configENS1_27upper_bound_config_selectorIflEEZNS1_14transform_implILb0ES3_S5_N6thrust23THRUST_200600_302600_NS17counting_iteratorIfNS8_11use_defaultESA_SA_EEPlZNS1_13binary_searchIS3_S5_PfSB_SC_NS1_21upper_bound_search_opENS8_6detail16wrapped_functionINS0_4lessIvEEbEEEE10hipError_tPvRmT1_T2_T3_mmT4_T5_P12ihipStream_tbEUlRKfE_EESL_SP_SQ_mSR_SU_bEUlT_E_NS1_11comp_targetILNS1_3genE8ELNS1_11target_archE1030ELNS1_3gpuE2ELNS1_3repE0EEENS1_30default_config_static_selectorELNS0_4arch9wavefront6targetE1EEEvSO_,"axG",@progbits,_ZN7rocprim17ROCPRIM_400000_NS6detail17trampoline_kernelINS0_14default_configENS1_27upper_bound_config_selectorIflEEZNS1_14transform_implILb0ES3_S5_N6thrust23THRUST_200600_302600_NS17counting_iteratorIfNS8_11use_defaultESA_SA_EEPlZNS1_13binary_searchIS3_S5_PfSB_SC_NS1_21upper_bound_search_opENS8_6detail16wrapped_functionINS0_4lessIvEEbEEEE10hipError_tPvRmT1_T2_T3_mmT4_T5_P12ihipStream_tbEUlRKfE_EESL_SP_SQ_mSR_SU_bEUlT_E_NS1_11comp_targetILNS1_3genE8ELNS1_11target_archE1030ELNS1_3gpuE2ELNS1_3repE0EEENS1_30default_config_static_selectorELNS0_4arch9wavefront6targetE1EEEvSO_,comdat
	.protected	_ZN7rocprim17ROCPRIM_400000_NS6detail17trampoline_kernelINS0_14default_configENS1_27upper_bound_config_selectorIflEEZNS1_14transform_implILb0ES3_S5_N6thrust23THRUST_200600_302600_NS17counting_iteratorIfNS8_11use_defaultESA_SA_EEPlZNS1_13binary_searchIS3_S5_PfSB_SC_NS1_21upper_bound_search_opENS8_6detail16wrapped_functionINS0_4lessIvEEbEEEE10hipError_tPvRmT1_T2_T3_mmT4_T5_P12ihipStream_tbEUlRKfE_EESL_SP_SQ_mSR_SU_bEUlT_E_NS1_11comp_targetILNS1_3genE8ELNS1_11target_archE1030ELNS1_3gpuE2ELNS1_3repE0EEENS1_30default_config_static_selectorELNS0_4arch9wavefront6targetE1EEEvSO_ ; -- Begin function _ZN7rocprim17ROCPRIM_400000_NS6detail17trampoline_kernelINS0_14default_configENS1_27upper_bound_config_selectorIflEEZNS1_14transform_implILb0ES3_S5_N6thrust23THRUST_200600_302600_NS17counting_iteratorIfNS8_11use_defaultESA_SA_EEPlZNS1_13binary_searchIS3_S5_PfSB_SC_NS1_21upper_bound_search_opENS8_6detail16wrapped_functionINS0_4lessIvEEbEEEE10hipError_tPvRmT1_T2_T3_mmT4_T5_P12ihipStream_tbEUlRKfE_EESL_SP_SQ_mSR_SU_bEUlT_E_NS1_11comp_targetILNS1_3genE8ELNS1_11target_archE1030ELNS1_3gpuE2ELNS1_3repE0EEENS1_30default_config_static_selectorELNS0_4arch9wavefront6targetE1EEEvSO_
	.globl	_ZN7rocprim17ROCPRIM_400000_NS6detail17trampoline_kernelINS0_14default_configENS1_27upper_bound_config_selectorIflEEZNS1_14transform_implILb0ES3_S5_N6thrust23THRUST_200600_302600_NS17counting_iteratorIfNS8_11use_defaultESA_SA_EEPlZNS1_13binary_searchIS3_S5_PfSB_SC_NS1_21upper_bound_search_opENS8_6detail16wrapped_functionINS0_4lessIvEEbEEEE10hipError_tPvRmT1_T2_T3_mmT4_T5_P12ihipStream_tbEUlRKfE_EESL_SP_SQ_mSR_SU_bEUlT_E_NS1_11comp_targetILNS1_3genE8ELNS1_11target_archE1030ELNS1_3gpuE2ELNS1_3repE0EEENS1_30default_config_static_selectorELNS0_4arch9wavefront6targetE1EEEvSO_
	.p2align	8
	.type	_ZN7rocprim17ROCPRIM_400000_NS6detail17trampoline_kernelINS0_14default_configENS1_27upper_bound_config_selectorIflEEZNS1_14transform_implILb0ES3_S5_N6thrust23THRUST_200600_302600_NS17counting_iteratorIfNS8_11use_defaultESA_SA_EEPlZNS1_13binary_searchIS3_S5_PfSB_SC_NS1_21upper_bound_search_opENS8_6detail16wrapped_functionINS0_4lessIvEEbEEEE10hipError_tPvRmT1_T2_T3_mmT4_T5_P12ihipStream_tbEUlRKfE_EESL_SP_SQ_mSR_SU_bEUlT_E_NS1_11comp_targetILNS1_3genE8ELNS1_11target_archE1030ELNS1_3gpuE2ELNS1_3repE0EEENS1_30default_config_static_selectorELNS0_4arch9wavefront6targetE1EEEvSO_,@function
_ZN7rocprim17ROCPRIM_400000_NS6detail17trampoline_kernelINS0_14default_configENS1_27upper_bound_config_selectorIflEEZNS1_14transform_implILb0ES3_S5_N6thrust23THRUST_200600_302600_NS17counting_iteratorIfNS8_11use_defaultESA_SA_EEPlZNS1_13binary_searchIS3_S5_PfSB_SC_NS1_21upper_bound_search_opENS8_6detail16wrapped_functionINS0_4lessIvEEbEEEE10hipError_tPvRmT1_T2_T3_mmT4_T5_P12ihipStream_tbEUlRKfE_EESL_SP_SQ_mSR_SU_bEUlT_E_NS1_11comp_targetILNS1_3genE8ELNS1_11target_archE1030ELNS1_3gpuE2ELNS1_3repE0EEENS1_30default_config_static_selectorELNS0_4arch9wavefront6targetE1EEEvSO_: ; @_ZN7rocprim17ROCPRIM_400000_NS6detail17trampoline_kernelINS0_14default_configENS1_27upper_bound_config_selectorIflEEZNS1_14transform_implILb0ES3_S5_N6thrust23THRUST_200600_302600_NS17counting_iteratorIfNS8_11use_defaultESA_SA_EEPlZNS1_13binary_searchIS3_S5_PfSB_SC_NS1_21upper_bound_search_opENS8_6detail16wrapped_functionINS0_4lessIvEEbEEEE10hipError_tPvRmT1_T2_T3_mmT4_T5_P12ihipStream_tbEUlRKfE_EESL_SP_SQ_mSR_SU_bEUlT_E_NS1_11comp_targetILNS1_3genE8ELNS1_11target_archE1030ELNS1_3gpuE2ELNS1_3repE0EEENS1_30default_config_static_selectorELNS0_4arch9wavefront6targetE1EEEvSO_
; %bb.0:
	.section	.rodata,"a",@progbits
	.p2align	6, 0x0
	.amdhsa_kernel _ZN7rocprim17ROCPRIM_400000_NS6detail17trampoline_kernelINS0_14default_configENS1_27upper_bound_config_selectorIflEEZNS1_14transform_implILb0ES3_S5_N6thrust23THRUST_200600_302600_NS17counting_iteratorIfNS8_11use_defaultESA_SA_EEPlZNS1_13binary_searchIS3_S5_PfSB_SC_NS1_21upper_bound_search_opENS8_6detail16wrapped_functionINS0_4lessIvEEbEEEE10hipError_tPvRmT1_T2_T3_mmT4_T5_P12ihipStream_tbEUlRKfE_EESL_SP_SQ_mSR_SU_bEUlT_E_NS1_11comp_targetILNS1_3genE8ELNS1_11target_archE1030ELNS1_3gpuE2ELNS1_3repE0EEENS1_30default_config_static_selectorELNS0_4arch9wavefront6targetE1EEEvSO_
		.amdhsa_group_segment_fixed_size 0
		.amdhsa_private_segment_fixed_size 0
		.amdhsa_kernarg_size 56
		.amdhsa_user_sgpr_count 6
		.amdhsa_user_sgpr_private_segment_buffer 1
		.amdhsa_user_sgpr_dispatch_ptr 0
		.amdhsa_user_sgpr_queue_ptr 0
		.amdhsa_user_sgpr_kernarg_segment_ptr 1
		.amdhsa_user_sgpr_dispatch_id 0
		.amdhsa_user_sgpr_flat_scratch_init 0
		.amdhsa_user_sgpr_kernarg_preload_length 0
		.amdhsa_user_sgpr_kernarg_preload_offset 0
		.amdhsa_user_sgpr_private_segment_size 0
		.amdhsa_uses_dynamic_stack 0
		.amdhsa_system_sgpr_private_segment_wavefront_offset 0
		.amdhsa_system_sgpr_workgroup_id_x 1
		.amdhsa_system_sgpr_workgroup_id_y 0
		.amdhsa_system_sgpr_workgroup_id_z 0
		.amdhsa_system_sgpr_workgroup_info 0
		.amdhsa_system_vgpr_workitem_id 0
		.amdhsa_next_free_vgpr 1
		.amdhsa_next_free_sgpr 0
		.amdhsa_accum_offset 4
		.amdhsa_reserve_vcc 0
		.amdhsa_reserve_flat_scratch 0
		.amdhsa_float_round_mode_32 0
		.amdhsa_float_round_mode_16_64 0
		.amdhsa_float_denorm_mode_32 3
		.amdhsa_float_denorm_mode_16_64 3
		.amdhsa_dx10_clamp 1
		.amdhsa_ieee_mode 1
		.amdhsa_fp16_overflow 0
		.amdhsa_tg_split 0
		.amdhsa_exception_fp_ieee_invalid_op 0
		.amdhsa_exception_fp_denorm_src 0
		.amdhsa_exception_fp_ieee_div_zero 0
		.amdhsa_exception_fp_ieee_overflow 0
		.amdhsa_exception_fp_ieee_underflow 0
		.amdhsa_exception_fp_ieee_inexact 0
		.amdhsa_exception_int_div_zero 0
	.end_amdhsa_kernel
	.section	.text._ZN7rocprim17ROCPRIM_400000_NS6detail17trampoline_kernelINS0_14default_configENS1_27upper_bound_config_selectorIflEEZNS1_14transform_implILb0ES3_S5_N6thrust23THRUST_200600_302600_NS17counting_iteratorIfNS8_11use_defaultESA_SA_EEPlZNS1_13binary_searchIS3_S5_PfSB_SC_NS1_21upper_bound_search_opENS8_6detail16wrapped_functionINS0_4lessIvEEbEEEE10hipError_tPvRmT1_T2_T3_mmT4_T5_P12ihipStream_tbEUlRKfE_EESL_SP_SQ_mSR_SU_bEUlT_E_NS1_11comp_targetILNS1_3genE8ELNS1_11target_archE1030ELNS1_3gpuE2ELNS1_3repE0EEENS1_30default_config_static_selectorELNS0_4arch9wavefront6targetE1EEEvSO_,"axG",@progbits,_ZN7rocprim17ROCPRIM_400000_NS6detail17trampoline_kernelINS0_14default_configENS1_27upper_bound_config_selectorIflEEZNS1_14transform_implILb0ES3_S5_N6thrust23THRUST_200600_302600_NS17counting_iteratorIfNS8_11use_defaultESA_SA_EEPlZNS1_13binary_searchIS3_S5_PfSB_SC_NS1_21upper_bound_search_opENS8_6detail16wrapped_functionINS0_4lessIvEEbEEEE10hipError_tPvRmT1_T2_T3_mmT4_T5_P12ihipStream_tbEUlRKfE_EESL_SP_SQ_mSR_SU_bEUlT_E_NS1_11comp_targetILNS1_3genE8ELNS1_11target_archE1030ELNS1_3gpuE2ELNS1_3repE0EEENS1_30default_config_static_selectorELNS0_4arch9wavefront6targetE1EEEvSO_,comdat
.Lfunc_end107:
	.size	_ZN7rocprim17ROCPRIM_400000_NS6detail17trampoline_kernelINS0_14default_configENS1_27upper_bound_config_selectorIflEEZNS1_14transform_implILb0ES3_S5_N6thrust23THRUST_200600_302600_NS17counting_iteratorIfNS8_11use_defaultESA_SA_EEPlZNS1_13binary_searchIS3_S5_PfSB_SC_NS1_21upper_bound_search_opENS8_6detail16wrapped_functionINS0_4lessIvEEbEEEE10hipError_tPvRmT1_T2_T3_mmT4_T5_P12ihipStream_tbEUlRKfE_EESL_SP_SQ_mSR_SU_bEUlT_E_NS1_11comp_targetILNS1_3genE8ELNS1_11target_archE1030ELNS1_3gpuE2ELNS1_3repE0EEENS1_30default_config_static_selectorELNS0_4arch9wavefront6targetE1EEEvSO_, .Lfunc_end107-_ZN7rocprim17ROCPRIM_400000_NS6detail17trampoline_kernelINS0_14default_configENS1_27upper_bound_config_selectorIflEEZNS1_14transform_implILb0ES3_S5_N6thrust23THRUST_200600_302600_NS17counting_iteratorIfNS8_11use_defaultESA_SA_EEPlZNS1_13binary_searchIS3_S5_PfSB_SC_NS1_21upper_bound_search_opENS8_6detail16wrapped_functionINS0_4lessIvEEbEEEE10hipError_tPvRmT1_T2_T3_mmT4_T5_P12ihipStream_tbEUlRKfE_EESL_SP_SQ_mSR_SU_bEUlT_E_NS1_11comp_targetILNS1_3genE8ELNS1_11target_archE1030ELNS1_3gpuE2ELNS1_3repE0EEENS1_30default_config_static_selectorELNS0_4arch9wavefront6targetE1EEEvSO_
                                        ; -- End function
	.section	.AMDGPU.csdata,"",@progbits
; Kernel info:
; codeLenInByte = 0
; NumSgprs: 4
; NumVgprs: 0
; NumAgprs: 0
; TotalNumVgprs: 0
; ScratchSize: 0
; MemoryBound: 0
; FloatMode: 240
; IeeeMode: 1
; LDSByteSize: 0 bytes/workgroup (compile time only)
; SGPRBlocks: 0
; VGPRBlocks: 0
; NumSGPRsForWavesPerEU: 4
; NumVGPRsForWavesPerEU: 1
; AccumOffset: 4
; Occupancy: 8
; WaveLimiterHint : 0
; COMPUTE_PGM_RSRC2:SCRATCH_EN: 0
; COMPUTE_PGM_RSRC2:USER_SGPR: 6
; COMPUTE_PGM_RSRC2:TRAP_HANDLER: 0
; COMPUTE_PGM_RSRC2:TGID_X_EN: 1
; COMPUTE_PGM_RSRC2:TGID_Y_EN: 0
; COMPUTE_PGM_RSRC2:TGID_Z_EN: 0
; COMPUTE_PGM_RSRC2:TIDIG_COMP_CNT: 0
; COMPUTE_PGM_RSRC3_GFX90A:ACCUM_OFFSET: 0
; COMPUTE_PGM_RSRC3_GFX90A:TG_SPLIT: 0
	.section	.text._Z18upper_bound_kernelIyEvmPT_Pl,"axG",@progbits,_Z18upper_bound_kernelIyEvmPT_Pl,comdat
	.protected	_Z18upper_bound_kernelIyEvmPT_Pl ; -- Begin function _Z18upper_bound_kernelIyEvmPT_Pl
	.globl	_Z18upper_bound_kernelIyEvmPT_Pl
	.p2align	8
	.type	_Z18upper_bound_kernelIyEvmPT_Pl,@function
_Z18upper_bound_kernelIyEvmPT_Pl:       ; @_Z18upper_bound_kernelIyEvmPT_Pl
; %bb.0:
	s_load_dwordx4 s[8:11], s[4:5], 0x0
	s_load_dwordx2 s[6:7], s[4:5], 0x10
	s_mov_b64 s[2:3], 0
	s_waitcnt lgkmcnt(0)
	v_cmp_lt_i64_e64 s[0:1], s[8:9], 1
	s_and_b64 s[0:1], exec, s[0:1]
	s_mov_b64 vcc, s[0:1]
	s_cbranch_vccnz .LBB108_3
; %bb.1:
	s_mov_b64 s[4:5], s[8:9]
.LBB108_2:                              ; =>This Inner Loop Header: Depth=1
	s_sub_u32 s12, s4, s2
	s_subb_u32 s13, s5, s3
	s_lshr_b32 s14, s13, 31
	s_add_u32 s12, s12, s14
	s_addc_u32 s13, s13, 0
	s_ashr_i64 s[12:13], s[12:13], 1
	s_add_u32 s12, s12, s2
	s_addc_u32 s13, s13, s3
	s_lshl_b64 s[14:15], s[12:13], 3
	s_add_u32 s14, s10, s14
	s_addc_u32 s15, s11, s15
	s_load_dwordx2 s[14:15], s[14:15], 0x0
	s_add_u32 s16, s12, 1
	s_addc_u32 s17, s13, 0
	s_waitcnt lgkmcnt(0)
	s_cmp_eq_u64 s[14:15], 0
	s_cselect_b32 s5, s5, s13
	s_cselect_b32 s4, s4, s12
	;; [unrolled: 1-line block ×4, first 2 shown]
	v_pk_mov_b32 v[0:1], s[4:5], s[4:5] op_sel:[0,1]
	v_cmp_lt_i64_e32 vcc, s[2:3], v[0:1]
	s_cbranch_vccnz .LBB108_2
.LBB108_3:
	v_cmp_gt_i64_e64 s[4:5], s[8:9], 0
	v_cndmask_b32_e64 v3, 0, 1, s[4:5]
	v_mov_b32_e32 v2, 0
	v_pk_mov_b32 v[0:1], s[2:3], s[2:3] op_sel:[0,1]
	v_cmp_ne_u32_e64 s[2:3], 1, v3
	s_andn2_b64 vcc, exec, s[4:5]
	s_mov_b64 s[4:5], 0
	global_store_dwordx2 v2, v[0:1], s[6:7]
	s_cbranch_vccnz .LBB108_6
; %bb.4:
	s_mov_b64 s[12:13], s[8:9]
.LBB108_5:                              ; =>This Inner Loop Header: Depth=1
	s_sub_u32 s14, s12, s4
	s_subb_u32 s15, s13, s5
	s_lshr_b32 s16, s15, 31
	s_add_u32 s14, s14, s16
	s_addc_u32 s15, s15, 0
	s_ashr_i64 s[14:15], s[14:15], 1
	s_add_u32 s14, s14, s4
	s_addc_u32 s15, s15, s5
	s_lshl_b64 s[16:17], s[14:15], 3
	s_add_u32 s16, s10, s16
	s_addc_u32 s17, s11, s17
	s_load_dwordx2 s[16:17], s[16:17], 0x0
	s_add_u32 s18, s14, 1
	s_addc_u32 s19, s15, 0
	s_waitcnt lgkmcnt(0)
	v_cmp_gt_u64_e64 s[16:17], s[16:17], 1
	s_and_b64 s[16:17], s[16:17], exec
	s_cselect_b32 s13, s15, s13
	s_cselect_b32 s12, s14, s12
	;; [unrolled: 1-line block ×4, first 2 shown]
	v_pk_mov_b32 v[0:1], s[12:13], s[12:13] op_sel:[0,1]
	v_cmp_lt_i64_e32 vcc, s[4:5], v[0:1]
	s_cbranch_vccnz .LBB108_5
.LBB108_6:
	v_mov_b32_e32 v2, 0
	v_pk_mov_b32 v[0:1], s[4:5], s[4:5] op_sel:[0,1]
	s_and_b64 vcc, exec, s[2:3]
	s_mov_b64 s[4:5], 0
	global_store_dwordx2 v2, v[0:1], s[6:7] offset:8
	s_cbranch_vccnz .LBB108_9
; %bb.7:
	s_mov_b64 s[12:13], s[8:9]
.LBB108_8:                              ; =>This Inner Loop Header: Depth=1
	s_sub_u32 s14, s12, s4
	s_subb_u32 s15, s13, s5
	s_lshr_b32 s16, s15, 31
	s_add_u32 s14, s14, s16
	s_addc_u32 s15, s15, 0
	s_ashr_i64 s[14:15], s[14:15], 1
	s_add_u32 s14, s14, s4
	s_addc_u32 s15, s15, s5
	s_lshl_b64 s[16:17], s[14:15], 3
	s_add_u32 s16, s10, s16
	s_addc_u32 s17, s11, s17
	s_load_dwordx2 s[16:17], s[16:17], 0x0
	s_add_u32 s18, s14, 1
	s_addc_u32 s19, s15, 0
	s_waitcnt lgkmcnt(0)
	v_cmp_gt_u64_e64 s[16:17], s[16:17], 2
	s_and_b64 s[16:17], s[16:17], exec
	s_cselect_b32 s13, s15, s13
	s_cselect_b32 s12, s14, s12
	s_cselect_b32 s5, s5, s19
	s_cselect_b32 s4, s4, s18
	v_pk_mov_b32 v[0:1], s[12:13], s[12:13] op_sel:[0,1]
	v_cmp_lt_i64_e32 vcc, s[4:5], v[0:1]
	s_cbranch_vccnz .LBB108_8
.LBB108_9:
	v_mov_b32_e32 v2, 0
	v_pk_mov_b32 v[0:1], s[4:5], s[4:5] op_sel:[0,1]
	s_and_b64 vcc, exec, s[2:3]
	s_mov_b64 s[4:5], 0
	global_store_dwordx2 v2, v[0:1], s[6:7] offset:16
	s_cbranch_vccnz .LBB108_12
; %bb.10:
	s_mov_b64 s[12:13], s[8:9]
.LBB108_11:                             ; =>This Inner Loop Header: Depth=1
	s_sub_u32 s14, s12, s4
	s_subb_u32 s15, s13, s5
	s_lshr_b32 s16, s15, 31
	s_add_u32 s14, s14, s16
	s_addc_u32 s15, s15, 0
	s_ashr_i64 s[14:15], s[14:15], 1
	s_add_u32 s14, s14, s4
	s_addc_u32 s15, s15, s5
	s_lshl_b64 s[16:17], s[14:15], 3
	s_add_u32 s16, s10, s16
	s_addc_u32 s17, s11, s17
	s_load_dwordx2 s[16:17], s[16:17], 0x0
	s_add_u32 s18, s14, 1
	s_addc_u32 s19, s15, 0
	s_waitcnt lgkmcnt(0)
	v_cmp_gt_u64_e64 s[16:17], s[16:17], 3
	s_and_b64 s[16:17], s[16:17], exec
	s_cselect_b32 s13, s15, s13
	s_cselect_b32 s12, s14, s12
	s_cselect_b32 s5, s5, s19
	s_cselect_b32 s4, s4, s18
	v_pk_mov_b32 v[0:1], s[12:13], s[12:13] op_sel:[0,1]
	v_cmp_lt_i64_e32 vcc, s[4:5], v[0:1]
	s_cbranch_vccnz .LBB108_11
.LBB108_12:
	v_mov_b32_e32 v2, 0
	v_pk_mov_b32 v[0:1], s[4:5], s[4:5] op_sel:[0,1]
	s_and_b64 vcc, exec, s[2:3]
	s_mov_b64 s[4:5], 0
	global_store_dwordx2 v2, v[0:1], s[6:7] offset:24
	s_cbranch_vccnz .LBB108_15
; %bb.13:
	s_mov_b64 s[12:13], s[8:9]
.LBB108_14:                             ; =>This Inner Loop Header: Depth=1
	s_sub_u32 s14, s12, s4
	s_subb_u32 s15, s13, s5
	s_lshr_b32 s16, s15, 31
	s_add_u32 s14, s14, s16
	s_addc_u32 s15, s15, 0
	s_ashr_i64 s[14:15], s[14:15], 1
	s_add_u32 s14, s14, s4
	s_addc_u32 s15, s15, s5
	s_lshl_b64 s[16:17], s[14:15], 3
	s_add_u32 s16, s10, s16
	s_addc_u32 s17, s11, s17
	s_load_dwordx2 s[16:17], s[16:17], 0x0
	s_add_u32 s18, s14, 1
	s_addc_u32 s19, s15, 0
	s_waitcnt lgkmcnt(0)
	v_cmp_gt_u64_e64 s[16:17], s[16:17], 4
	s_and_b64 s[16:17], s[16:17], exec
	s_cselect_b32 s13, s15, s13
	s_cselect_b32 s12, s14, s12
	s_cselect_b32 s5, s5, s19
	s_cselect_b32 s4, s4, s18
	v_pk_mov_b32 v[0:1], s[12:13], s[12:13] op_sel:[0,1]
	v_cmp_lt_i64_e32 vcc, s[4:5], v[0:1]
	s_cbranch_vccnz .LBB108_14
.LBB108_15:
	;; [unrolled: 34-line block ×5, first 2 shown]
	v_mov_b32_e32 v0, 0
	v_pk_mov_b32 v[2:3], s[2:3], s[2:3] op_sel:[0,1]
	s_mov_b64 vcc, s[0:1]
	global_store_dwordx2 v0, v[2:3], s[6:7] offset:56
	s_cbranch_vccz .LBB108_26
; %bb.25:
	v_mov_b32_e32 v1, v0
	global_store_dwordx2 v0, v[0:1], s[6:7] offset:64
	s_mov_b64 s[0:1], 0
	s_cbranch_execz .LBB108_27
	s_branch .LBB108_31
.LBB108_26:
                                        ; implicit-def: $sgpr0_sgpr1
.LBB108_27:
	s_mov_b64 s[0:1], 0
	s_mov_b64 s[2:3], s[8:9]
.LBB108_28:                             ; =>This Inner Loop Header: Depth=1
	s_sub_u32 s4, s2, s0
	s_subb_u32 s5, s3, s1
	s_lshr_b32 s12, s5, 31
	s_add_u32 s4, s4, s12
	s_addc_u32 s5, s5, 0
	s_ashr_i64 s[4:5], s[4:5], 1
	s_add_u32 s4, s4, s0
	s_addc_u32 s5, s5, s1
	s_lshl_b64 s[12:13], s[4:5], 3
	s_add_u32 s12, s10, s12
	s_addc_u32 s13, s11, s13
	s_load_dwordx2 s[12:13], s[12:13], 0x0
	s_add_u32 s14, s4, 1
	s_addc_u32 s15, s5, 0
	s_waitcnt lgkmcnt(0)
	v_cmp_gt_u64_e64 s[12:13], s[12:13], 8
	s_and_b64 s[12:13], s[12:13], exec
	s_cselect_b32 s3, s5, s3
	s_cselect_b32 s2, s4, s2
	;; [unrolled: 1-line block ×4, first 2 shown]
	v_pk_mov_b32 v[0:1], s[2:3], s[2:3] op_sel:[0,1]
	v_cmp_lt_i64_e32 vcc, s[0:1], v[0:1]
	s_cbranch_vccnz .LBB108_28
; %bb.29:
	v_mov_b32_e32 v2, 0
	v_pk_mov_b32 v[0:1], s[0:1], s[0:1] op_sel:[0,1]
	s_mov_b64 s[0:1], 0
	global_store_dwordx2 v2, v[0:1], s[6:7] offset:64
.LBB108_30:                             ; =>This Inner Loop Header: Depth=1
	s_sub_u32 s2, s8, s0
	s_subb_u32 s3, s9, s1
	s_lshr_b32 s4, s3, 31
	s_add_u32 s2, s2, s4
	s_addc_u32 s3, s3, 0
	s_ashr_i64 s[2:3], s[2:3], 1
	s_add_u32 s2, s2, s0
	s_addc_u32 s3, s3, s1
	s_lshl_b64 s[4:5], s[2:3], 3
	s_add_u32 s4, s10, s4
	s_addc_u32 s5, s11, s5
	s_load_dwordx2 s[4:5], s[4:5], 0x0
	s_add_u32 s12, s2, 1
	s_addc_u32 s13, s3, 0
	s_waitcnt lgkmcnt(0)
	v_cmp_gt_u64_e64 s[4:5], s[4:5], 9
	s_and_b64 s[4:5], s[4:5], exec
	s_cselect_b32 s9, s3, s9
	s_cselect_b32 s8, s2, s8
	;; [unrolled: 1-line block ×4, first 2 shown]
	v_pk_mov_b32 v[0:1], s[8:9], s[8:9] op_sel:[0,1]
	v_cmp_ge_i64_e32 vcc, s[0:1], v[0:1]
	s_cbranch_vccz .LBB108_30
.LBB108_31:
	v_mov_b32_e32 v2, 0
	v_pk_mov_b32 v[0:1], s[0:1], s[0:1] op_sel:[0,1]
	global_store_dwordx2 v2, v[0:1], s[6:7] offset:72
	s_endpgm
	.section	.rodata,"a",@progbits
	.p2align	6, 0x0
	.amdhsa_kernel _Z18upper_bound_kernelIyEvmPT_Pl
		.amdhsa_group_segment_fixed_size 0
		.amdhsa_private_segment_fixed_size 0
		.amdhsa_kernarg_size 24
		.amdhsa_user_sgpr_count 6
		.amdhsa_user_sgpr_private_segment_buffer 1
		.amdhsa_user_sgpr_dispatch_ptr 0
		.amdhsa_user_sgpr_queue_ptr 0
		.amdhsa_user_sgpr_kernarg_segment_ptr 1
		.amdhsa_user_sgpr_dispatch_id 0
		.amdhsa_user_sgpr_flat_scratch_init 0
		.amdhsa_user_sgpr_kernarg_preload_length 0
		.amdhsa_user_sgpr_kernarg_preload_offset 0
		.amdhsa_user_sgpr_private_segment_size 0
		.amdhsa_uses_dynamic_stack 0
		.amdhsa_system_sgpr_private_segment_wavefront_offset 0
		.amdhsa_system_sgpr_workgroup_id_x 1
		.amdhsa_system_sgpr_workgroup_id_y 0
		.amdhsa_system_sgpr_workgroup_id_z 0
		.amdhsa_system_sgpr_workgroup_info 0
		.amdhsa_system_vgpr_workitem_id 0
		.amdhsa_next_free_vgpr 4
		.amdhsa_next_free_sgpr 20
		.amdhsa_accum_offset 4
		.amdhsa_reserve_vcc 1
		.amdhsa_reserve_flat_scratch 0
		.amdhsa_float_round_mode_32 0
		.amdhsa_float_round_mode_16_64 0
		.amdhsa_float_denorm_mode_32 3
		.amdhsa_float_denorm_mode_16_64 3
		.amdhsa_dx10_clamp 1
		.amdhsa_ieee_mode 1
		.amdhsa_fp16_overflow 0
		.amdhsa_tg_split 0
		.amdhsa_exception_fp_ieee_invalid_op 0
		.amdhsa_exception_fp_denorm_src 0
		.amdhsa_exception_fp_ieee_div_zero 0
		.amdhsa_exception_fp_ieee_overflow 0
		.amdhsa_exception_fp_ieee_underflow 0
		.amdhsa_exception_fp_ieee_inexact 0
		.amdhsa_exception_int_div_zero 0
	.end_amdhsa_kernel
	.section	.text._Z18upper_bound_kernelIyEvmPT_Pl,"axG",@progbits,_Z18upper_bound_kernelIyEvmPT_Pl,comdat
.Lfunc_end108:
	.size	_Z18upper_bound_kernelIyEvmPT_Pl, .Lfunc_end108-_Z18upper_bound_kernelIyEvmPT_Pl
                                        ; -- End function
	.section	.AMDGPU.csdata,"",@progbits
; Kernel info:
; codeLenInByte = 1504
; NumSgprs: 24
; NumVgprs: 4
; NumAgprs: 0
; TotalNumVgprs: 4
; ScratchSize: 0
; MemoryBound: 0
; FloatMode: 240
; IeeeMode: 1
; LDSByteSize: 0 bytes/workgroup (compile time only)
; SGPRBlocks: 2
; VGPRBlocks: 0
; NumSGPRsForWavesPerEU: 24
; NumVGPRsForWavesPerEU: 4
; AccumOffset: 4
; Occupancy: 8
; WaveLimiterHint : 0
; COMPUTE_PGM_RSRC2:SCRATCH_EN: 0
; COMPUTE_PGM_RSRC2:USER_SGPR: 6
; COMPUTE_PGM_RSRC2:TRAP_HANDLER: 0
; COMPUTE_PGM_RSRC2:TGID_X_EN: 1
; COMPUTE_PGM_RSRC2:TGID_Y_EN: 0
; COMPUTE_PGM_RSRC2:TGID_Z_EN: 0
; COMPUTE_PGM_RSRC2:TIDIG_COMP_CNT: 0
; COMPUTE_PGM_RSRC3_GFX90A:ACCUM_OFFSET: 0
; COMPUTE_PGM_RSRC3_GFX90A:TG_SPLIT: 0
	.section	.text._ZN7rocprim17ROCPRIM_400000_NS6detail17trampoline_kernelINS0_14default_configENS1_27upper_bound_config_selectorIylEEZNS1_14transform_implILb0ES3_S5_N6thrust23THRUST_200600_302600_NS17counting_iteratorIyNS8_11use_defaultESA_SA_EEPlZNS1_13binary_searchIS3_S5_PySB_SC_NS1_21upper_bound_search_opENS8_6detail16wrapped_functionINS0_4lessIvEEbEEEE10hipError_tPvRmT1_T2_T3_mmT4_T5_P12ihipStream_tbEUlRKyE_EESL_SP_SQ_mSR_SU_bEUlT_E_NS1_11comp_targetILNS1_3genE0ELNS1_11target_archE4294967295ELNS1_3gpuE0ELNS1_3repE0EEENS1_30default_config_static_selectorELNS0_4arch9wavefront6targetE1EEEvSO_,"axG",@progbits,_ZN7rocprim17ROCPRIM_400000_NS6detail17trampoline_kernelINS0_14default_configENS1_27upper_bound_config_selectorIylEEZNS1_14transform_implILb0ES3_S5_N6thrust23THRUST_200600_302600_NS17counting_iteratorIyNS8_11use_defaultESA_SA_EEPlZNS1_13binary_searchIS3_S5_PySB_SC_NS1_21upper_bound_search_opENS8_6detail16wrapped_functionINS0_4lessIvEEbEEEE10hipError_tPvRmT1_T2_T3_mmT4_T5_P12ihipStream_tbEUlRKyE_EESL_SP_SQ_mSR_SU_bEUlT_E_NS1_11comp_targetILNS1_3genE0ELNS1_11target_archE4294967295ELNS1_3gpuE0ELNS1_3repE0EEENS1_30default_config_static_selectorELNS0_4arch9wavefront6targetE1EEEvSO_,comdat
	.protected	_ZN7rocprim17ROCPRIM_400000_NS6detail17trampoline_kernelINS0_14default_configENS1_27upper_bound_config_selectorIylEEZNS1_14transform_implILb0ES3_S5_N6thrust23THRUST_200600_302600_NS17counting_iteratorIyNS8_11use_defaultESA_SA_EEPlZNS1_13binary_searchIS3_S5_PySB_SC_NS1_21upper_bound_search_opENS8_6detail16wrapped_functionINS0_4lessIvEEbEEEE10hipError_tPvRmT1_T2_T3_mmT4_T5_P12ihipStream_tbEUlRKyE_EESL_SP_SQ_mSR_SU_bEUlT_E_NS1_11comp_targetILNS1_3genE0ELNS1_11target_archE4294967295ELNS1_3gpuE0ELNS1_3repE0EEENS1_30default_config_static_selectorELNS0_4arch9wavefront6targetE1EEEvSO_ ; -- Begin function _ZN7rocprim17ROCPRIM_400000_NS6detail17trampoline_kernelINS0_14default_configENS1_27upper_bound_config_selectorIylEEZNS1_14transform_implILb0ES3_S5_N6thrust23THRUST_200600_302600_NS17counting_iteratorIyNS8_11use_defaultESA_SA_EEPlZNS1_13binary_searchIS3_S5_PySB_SC_NS1_21upper_bound_search_opENS8_6detail16wrapped_functionINS0_4lessIvEEbEEEE10hipError_tPvRmT1_T2_T3_mmT4_T5_P12ihipStream_tbEUlRKyE_EESL_SP_SQ_mSR_SU_bEUlT_E_NS1_11comp_targetILNS1_3genE0ELNS1_11target_archE4294967295ELNS1_3gpuE0ELNS1_3repE0EEENS1_30default_config_static_selectorELNS0_4arch9wavefront6targetE1EEEvSO_
	.globl	_ZN7rocprim17ROCPRIM_400000_NS6detail17trampoline_kernelINS0_14default_configENS1_27upper_bound_config_selectorIylEEZNS1_14transform_implILb0ES3_S5_N6thrust23THRUST_200600_302600_NS17counting_iteratorIyNS8_11use_defaultESA_SA_EEPlZNS1_13binary_searchIS3_S5_PySB_SC_NS1_21upper_bound_search_opENS8_6detail16wrapped_functionINS0_4lessIvEEbEEEE10hipError_tPvRmT1_T2_T3_mmT4_T5_P12ihipStream_tbEUlRKyE_EESL_SP_SQ_mSR_SU_bEUlT_E_NS1_11comp_targetILNS1_3genE0ELNS1_11target_archE4294967295ELNS1_3gpuE0ELNS1_3repE0EEENS1_30default_config_static_selectorELNS0_4arch9wavefront6targetE1EEEvSO_
	.p2align	8
	.type	_ZN7rocprim17ROCPRIM_400000_NS6detail17trampoline_kernelINS0_14default_configENS1_27upper_bound_config_selectorIylEEZNS1_14transform_implILb0ES3_S5_N6thrust23THRUST_200600_302600_NS17counting_iteratorIyNS8_11use_defaultESA_SA_EEPlZNS1_13binary_searchIS3_S5_PySB_SC_NS1_21upper_bound_search_opENS8_6detail16wrapped_functionINS0_4lessIvEEbEEEE10hipError_tPvRmT1_T2_T3_mmT4_T5_P12ihipStream_tbEUlRKyE_EESL_SP_SQ_mSR_SU_bEUlT_E_NS1_11comp_targetILNS1_3genE0ELNS1_11target_archE4294967295ELNS1_3gpuE0ELNS1_3repE0EEENS1_30default_config_static_selectorELNS0_4arch9wavefront6targetE1EEEvSO_,@function
_ZN7rocprim17ROCPRIM_400000_NS6detail17trampoline_kernelINS0_14default_configENS1_27upper_bound_config_selectorIylEEZNS1_14transform_implILb0ES3_S5_N6thrust23THRUST_200600_302600_NS17counting_iteratorIyNS8_11use_defaultESA_SA_EEPlZNS1_13binary_searchIS3_S5_PySB_SC_NS1_21upper_bound_search_opENS8_6detail16wrapped_functionINS0_4lessIvEEbEEEE10hipError_tPvRmT1_T2_T3_mmT4_T5_P12ihipStream_tbEUlRKyE_EESL_SP_SQ_mSR_SU_bEUlT_E_NS1_11comp_targetILNS1_3genE0ELNS1_11target_archE4294967295ELNS1_3gpuE0ELNS1_3repE0EEENS1_30default_config_static_selectorELNS0_4arch9wavefront6targetE1EEEvSO_: ; @_ZN7rocprim17ROCPRIM_400000_NS6detail17trampoline_kernelINS0_14default_configENS1_27upper_bound_config_selectorIylEEZNS1_14transform_implILb0ES3_S5_N6thrust23THRUST_200600_302600_NS17counting_iteratorIyNS8_11use_defaultESA_SA_EEPlZNS1_13binary_searchIS3_S5_PySB_SC_NS1_21upper_bound_search_opENS8_6detail16wrapped_functionINS0_4lessIvEEbEEEE10hipError_tPvRmT1_T2_T3_mmT4_T5_P12ihipStream_tbEUlRKyE_EESL_SP_SQ_mSR_SU_bEUlT_E_NS1_11comp_targetILNS1_3genE0ELNS1_11target_archE4294967295ELNS1_3gpuE0ELNS1_3repE0EEENS1_30default_config_static_selectorELNS0_4arch9wavefront6targetE1EEEvSO_
; %bb.0:
	.section	.rodata,"a",@progbits
	.p2align	6, 0x0
	.amdhsa_kernel _ZN7rocprim17ROCPRIM_400000_NS6detail17trampoline_kernelINS0_14default_configENS1_27upper_bound_config_selectorIylEEZNS1_14transform_implILb0ES3_S5_N6thrust23THRUST_200600_302600_NS17counting_iteratorIyNS8_11use_defaultESA_SA_EEPlZNS1_13binary_searchIS3_S5_PySB_SC_NS1_21upper_bound_search_opENS8_6detail16wrapped_functionINS0_4lessIvEEbEEEE10hipError_tPvRmT1_T2_T3_mmT4_T5_P12ihipStream_tbEUlRKyE_EESL_SP_SQ_mSR_SU_bEUlT_E_NS1_11comp_targetILNS1_3genE0ELNS1_11target_archE4294967295ELNS1_3gpuE0ELNS1_3repE0EEENS1_30default_config_static_selectorELNS0_4arch9wavefront6targetE1EEEvSO_
		.amdhsa_group_segment_fixed_size 0
		.amdhsa_private_segment_fixed_size 0
		.amdhsa_kernarg_size 56
		.amdhsa_user_sgpr_count 6
		.amdhsa_user_sgpr_private_segment_buffer 1
		.amdhsa_user_sgpr_dispatch_ptr 0
		.amdhsa_user_sgpr_queue_ptr 0
		.amdhsa_user_sgpr_kernarg_segment_ptr 1
		.amdhsa_user_sgpr_dispatch_id 0
		.amdhsa_user_sgpr_flat_scratch_init 0
		.amdhsa_user_sgpr_kernarg_preload_length 0
		.amdhsa_user_sgpr_kernarg_preload_offset 0
		.amdhsa_user_sgpr_private_segment_size 0
		.amdhsa_uses_dynamic_stack 0
		.amdhsa_system_sgpr_private_segment_wavefront_offset 0
		.amdhsa_system_sgpr_workgroup_id_x 1
		.amdhsa_system_sgpr_workgroup_id_y 0
		.amdhsa_system_sgpr_workgroup_id_z 0
		.amdhsa_system_sgpr_workgroup_info 0
		.amdhsa_system_vgpr_workitem_id 0
		.amdhsa_next_free_vgpr 1
		.amdhsa_next_free_sgpr 0
		.amdhsa_accum_offset 4
		.amdhsa_reserve_vcc 0
		.amdhsa_reserve_flat_scratch 0
		.amdhsa_float_round_mode_32 0
		.amdhsa_float_round_mode_16_64 0
		.amdhsa_float_denorm_mode_32 3
		.amdhsa_float_denorm_mode_16_64 3
		.amdhsa_dx10_clamp 1
		.amdhsa_ieee_mode 1
		.amdhsa_fp16_overflow 0
		.amdhsa_tg_split 0
		.amdhsa_exception_fp_ieee_invalid_op 0
		.amdhsa_exception_fp_denorm_src 0
		.amdhsa_exception_fp_ieee_div_zero 0
		.amdhsa_exception_fp_ieee_overflow 0
		.amdhsa_exception_fp_ieee_underflow 0
		.amdhsa_exception_fp_ieee_inexact 0
		.amdhsa_exception_int_div_zero 0
	.end_amdhsa_kernel
	.section	.text._ZN7rocprim17ROCPRIM_400000_NS6detail17trampoline_kernelINS0_14default_configENS1_27upper_bound_config_selectorIylEEZNS1_14transform_implILb0ES3_S5_N6thrust23THRUST_200600_302600_NS17counting_iteratorIyNS8_11use_defaultESA_SA_EEPlZNS1_13binary_searchIS3_S5_PySB_SC_NS1_21upper_bound_search_opENS8_6detail16wrapped_functionINS0_4lessIvEEbEEEE10hipError_tPvRmT1_T2_T3_mmT4_T5_P12ihipStream_tbEUlRKyE_EESL_SP_SQ_mSR_SU_bEUlT_E_NS1_11comp_targetILNS1_3genE0ELNS1_11target_archE4294967295ELNS1_3gpuE0ELNS1_3repE0EEENS1_30default_config_static_selectorELNS0_4arch9wavefront6targetE1EEEvSO_,"axG",@progbits,_ZN7rocprim17ROCPRIM_400000_NS6detail17trampoline_kernelINS0_14default_configENS1_27upper_bound_config_selectorIylEEZNS1_14transform_implILb0ES3_S5_N6thrust23THRUST_200600_302600_NS17counting_iteratorIyNS8_11use_defaultESA_SA_EEPlZNS1_13binary_searchIS3_S5_PySB_SC_NS1_21upper_bound_search_opENS8_6detail16wrapped_functionINS0_4lessIvEEbEEEE10hipError_tPvRmT1_T2_T3_mmT4_T5_P12ihipStream_tbEUlRKyE_EESL_SP_SQ_mSR_SU_bEUlT_E_NS1_11comp_targetILNS1_3genE0ELNS1_11target_archE4294967295ELNS1_3gpuE0ELNS1_3repE0EEENS1_30default_config_static_selectorELNS0_4arch9wavefront6targetE1EEEvSO_,comdat
.Lfunc_end109:
	.size	_ZN7rocprim17ROCPRIM_400000_NS6detail17trampoline_kernelINS0_14default_configENS1_27upper_bound_config_selectorIylEEZNS1_14transform_implILb0ES3_S5_N6thrust23THRUST_200600_302600_NS17counting_iteratorIyNS8_11use_defaultESA_SA_EEPlZNS1_13binary_searchIS3_S5_PySB_SC_NS1_21upper_bound_search_opENS8_6detail16wrapped_functionINS0_4lessIvEEbEEEE10hipError_tPvRmT1_T2_T3_mmT4_T5_P12ihipStream_tbEUlRKyE_EESL_SP_SQ_mSR_SU_bEUlT_E_NS1_11comp_targetILNS1_3genE0ELNS1_11target_archE4294967295ELNS1_3gpuE0ELNS1_3repE0EEENS1_30default_config_static_selectorELNS0_4arch9wavefront6targetE1EEEvSO_, .Lfunc_end109-_ZN7rocprim17ROCPRIM_400000_NS6detail17trampoline_kernelINS0_14default_configENS1_27upper_bound_config_selectorIylEEZNS1_14transform_implILb0ES3_S5_N6thrust23THRUST_200600_302600_NS17counting_iteratorIyNS8_11use_defaultESA_SA_EEPlZNS1_13binary_searchIS3_S5_PySB_SC_NS1_21upper_bound_search_opENS8_6detail16wrapped_functionINS0_4lessIvEEbEEEE10hipError_tPvRmT1_T2_T3_mmT4_T5_P12ihipStream_tbEUlRKyE_EESL_SP_SQ_mSR_SU_bEUlT_E_NS1_11comp_targetILNS1_3genE0ELNS1_11target_archE4294967295ELNS1_3gpuE0ELNS1_3repE0EEENS1_30default_config_static_selectorELNS0_4arch9wavefront6targetE1EEEvSO_
                                        ; -- End function
	.section	.AMDGPU.csdata,"",@progbits
; Kernel info:
; codeLenInByte = 0
; NumSgprs: 4
; NumVgprs: 0
; NumAgprs: 0
; TotalNumVgprs: 0
; ScratchSize: 0
; MemoryBound: 0
; FloatMode: 240
; IeeeMode: 1
; LDSByteSize: 0 bytes/workgroup (compile time only)
; SGPRBlocks: 0
; VGPRBlocks: 0
; NumSGPRsForWavesPerEU: 4
; NumVGPRsForWavesPerEU: 1
; AccumOffset: 4
; Occupancy: 8
; WaveLimiterHint : 0
; COMPUTE_PGM_RSRC2:SCRATCH_EN: 0
; COMPUTE_PGM_RSRC2:USER_SGPR: 6
; COMPUTE_PGM_RSRC2:TRAP_HANDLER: 0
; COMPUTE_PGM_RSRC2:TGID_X_EN: 1
; COMPUTE_PGM_RSRC2:TGID_Y_EN: 0
; COMPUTE_PGM_RSRC2:TGID_Z_EN: 0
; COMPUTE_PGM_RSRC2:TIDIG_COMP_CNT: 0
; COMPUTE_PGM_RSRC3_GFX90A:ACCUM_OFFSET: 0
; COMPUTE_PGM_RSRC3_GFX90A:TG_SPLIT: 0
	.section	.text._ZN7rocprim17ROCPRIM_400000_NS6detail17trampoline_kernelINS0_14default_configENS1_27upper_bound_config_selectorIylEEZNS1_14transform_implILb0ES3_S5_N6thrust23THRUST_200600_302600_NS17counting_iteratorIyNS8_11use_defaultESA_SA_EEPlZNS1_13binary_searchIS3_S5_PySB_SC_NS1_21upper_bound_search_opENS8_6detail16wrapped_functionINS0_4lessIvEEbEEEE10hipError_tPvRmT1_T2_T3_mmT4_T5_P12ihipStream_tbEUlRKyE_EESL_SP_SQ_mSR_SU_bEUlT_E_NS1_11comp_targetILNS1_3genE5ELNS1_11target_archE942ELNS1_3gpuE9ELNS1_3repE0EEENS1_30default_config_static_selectorELNS0_4arch9wavefront6targetE1EEEvSO_,"axG",@progbits,_ZN7rocprim17ROCPRIM_400000_NS6detail17trampoline_kernelINS0_14default_configENS1_27upper_bound_config_selectorIylEEZNS1_14transform_implILb0ES3_S5_N6thrust23THRUST_200600_302600_NS17counting_iteratorIyNS8_11use_defaultESA_SA_EEPlZNS1_13binary_searchIS3_S5_PySB_SC_NS1_21upper_bound_search_opENS8_6detail16wrapped_functionINS0_4lessIvEEbEEEE10hipError_tPvRmT1_T2_T3_mmT4_T5_P12ihipStream_tbEUlRKyE_EESL_SP_SQ_mSR_SU_bEUlT_E_NS1_11comp_targetILNS1_3genE5ELNS1_11target_archE942ELNS1_3gpuE9ELNS1_3repE0EEENS1_30default_config_static_selectorELNS0_4arch9wavefront6targetE1EEEvSO_,comdat
	.protected	_ZN7rocprim17ROCPRIM_400000_NS6detail17trampoline_kernelINS0_14default_configENS1_27upper_bound_config_selectorIylEEZNS1_14transform_implILb0ES3_S5_N6thrust23THRUST_200600_302600_NS17counting_iteratorIyNS8_11use_defaultESA_SA_EEPlZNS1_13binary_searchIS3_S5_PySB_SC_NS1_21upper_bound_search_opENS8_6detail16wrapped_functionINS0_4lessIvEEbEEEE10hipError_tPvRmT1_T2_T3_mmT4_T5_P12ihipStream_tbEUlRKyE_EESL_SP_SQ_mSR_SU_bEUlT_E_NS1_11comp_targetILNS1_3genE5ELNS1_11target_archE942ELNS1_3gpuE9ELNS1_3repE0EEENS1_30default_config_static_selectorELNS0_4arch9wavefront6targetE1EEEvSO_ ; -- Begin function _ZN7rocprim17ROCPRIM_400000_NS6detail17trampoline_kernelINS0_14default_configENS1_27upper_bound_config_selectorIylEEZNS1_14transform_implILb0ES3_S5_N6thrust23THRUST_200600_302600_NS17counting_iteratorIyNS8_11use_defaultESA_SA_EEPlZNS1_13binary_searchIS3_S5_PySB_SC_NS1_21upper_bound_search_opENS8_6detail16wrapped_functionINS0_4lessIvEEbEEEE10hipError_tPvRmT1_T2_T3_mmT4_T5_P12ihipStream_tbEUlRKyE_EESL_SP_SQ_mSR_SU_bEUlT_E_NS1_11comp_targetILNS1_3genE5ELNS1_11target_archE942ELNS1_3gpuE9ELNS1_3repE0EEENS1_30default_config_static_selectorELNS0_4arch9wavefront6targetE1EEEvSO_
	.globl	_ZN7rocprim17ROCPRIM_400000_NS6detail17trampoline_kernelINS0_14default_configENS1_27upper_bound_config_selectorIylEEZNS1_14transform_implILb0ES3_S5_N6thrust23THRUST_200600_302600_NS17counting_iteratorIyNS8_11use_defaultESA_SA_EEPlZNS1_13binary_searchIS3_S5_PySB_SC_NS1_21upper_bound_search_opENS8_6detail16wrapped_functionINS0_4lessIvEEbEEEE10hipError_tPvRmT1_T2_T3_mmT4_T5_P12ihipStream_tbEUlRKyE_EESL_SP_SQ_mSR_SU_bEUlT_E_NS1_11comp_targetILNS1_3genE5ELNS1_11target_archE942ELNS1_3gpuE9ELNS1_3repE0EEENS1_30default_config_static_selectorELNS0_4arch9wavefront6targetE1EEEvSO_
	.p2align	8
	.type	_ZN7rocprim17ROCPRIM_400000_NS6detail17trampoline_kernelINS0_14default_configENS1_27upper_bound_config_selectorIylEEZNS1_14transform_implILb0ES3_S5_N6thrust23THRUST_200600_302600_NS17counting_iteratorIyNS8_11use_defaultESA_SA_EEPlZNS1_13binary_searchIS3_S5_PySB_SC_NS1_21upper_bound_search_opENS8_6detail16wrapped_functionINS0_4lessIvEEbEEEE10hipError_tPvRmT1_T2_T3_mmT4_T5_P12ihipStream_tbEUlRKyE_EESL_SP_SQ_mSR_SU_bEUlT_E_NS1_11comp_targetILNS1_3genE5ELNS1_11target_archE942ELNS1_3gpuE9ELNS1_3repE0EEENS1_30default_config_static_selectorELNS0_4arch9wavefront6targetE1EEEvSO_,@function
_ZN7rocprim17ROCPRIM_400000_NS6detail17trampoline_kernelINS0_14default_configENS1_27upper_bound_config_selectorIylEEZNS1_14transform_implILb0ES3_S5_N6thrust23THRUST_200600_302600_NS17counting_iteratorIyNS8_11use_defaultESA_SA_EEPlZNS1_13binary_searchIS3_S5_PySB_SC_NS1_21upper_bound_search_opENS8_6detail16wrapped_functionINS0_4lessIvEEbEEEE10hipError_tPvRmT1_T2_T3_mmT4_T5_P12ihipStream_tbEUlRKyE_EESL_SP_SQ_mSR_SU_bEUlT_E_NS1_11comp_targetILNS1_3genE5ELNS1_11target_archE942ELNS1_3gpuE9ELNS1_3repE0EEENS1_30default_config_static_selectorELNS0_4arch9wavefront6targetE1EEEvSO_: ; @_ZN7rocprim17ROCPRIM_400000_NS6detail17trampoline_kernelINS0_14default_configENS1_27upper_bound_config_selectorIylEEZNS1_14transform_implILb0ES3_S5_N6thrust23THRUST_200600_302600_NS17counting_iteratorIyNS8_11use_defaultESA_SA_EEPlZNS1_13binary_searchIS3_S5_PySB_SC_NS1_21upper_bound_search_opENS8_6detail16wrapped_functionINS0_4lessIvEEbEEEE10hipError_tPvRmT1_T2_T3_mmT4_T5_P12ihipStream_tbEUlRKyE_EESL_SP_SQ_mSR_SU_bEUlT_E_NS1_11comp_targetILNS1_3genE5ELNS1_11target_archE942ELNS1_3gpuE9ELNS1_3repE0EEENS1_30default_config_static_selectorELNS0_4arch9wavefront6targetE1EEEvSO_
; %bb.0:
	.section	.rodata,"a",@progbits
	.p2align	6, 0x0
	.amdhsa_kernel _ZN7rocprim17ROCPRIM_400000_NS6detail17trampoline_kernelINS0_14default_configENS1_27upper_bound_config_selectorIylEEZNS1_14transform_implILb0ES3_S5_N6thrust23THRUST_200600_302600_NS17counting_iteratorIyNS8_11use_defaultESA_SA_EEPlZNS1_13binary_searchIS3_S5_PySB_SC_NS1_21upper_bound_search_opENS8_6detail16wrapped_functionINS0_4lessIvEEbEEEE10hipError_tPvRmT1_T2_T3_mmT4_T5_P12ihipStream_tbEUlRKyE_EESL_SP_SQ_mSR_SU_bEUlT_E_NS1_11comp_targetILNS1_3genE5ELNS1_11target_archE942ELNS1_3gpuE9ELNS1_3repE0EEENS1_30default_config_static_selectorELNS0_4arch9wavefront6targetE1EEEvSO_
		.amdhsa_group_segment_fixed_size 0
		.amdhsa_private_segment_fixed_size 0
		.amdhsa_kernarg_size 56
		.amdhsa_user_sgpr_count 6
		.amdhsa_user_sgpr_private_segment_buffer 1
		.amdhsa_user_sgpr_dispatch_ptr 0
		.amdhsa_user_sgpr_queue_ptr 0
		.amdhsa_user_sgpr_kernarg_segment_ptr 1
		.amdhsa_user_sgpr_dispatch_id 0
		.amdhsa_user_sgpr_flat_scratch_init 0
		.amdhsa_user_sgpr_kernarg_preload_length 0
		.amdhsa_user_sgpr_kernarg_preload_offset 0
		.amdhsa_user_sgpr_private_segment_size 0
		.amdhsa_uses_dynamic_stack 0
		.amdhsa_system_sgpr_private_segment_wavefront_offset 0
		.amdhsa_system_sgpr_workgroup_id_x 1
		.amdhsa_system_sgpr_workgroup_id_y 0
		.amdhsa_system_sgpr_workgroup_id_z 0
		.amdhsa_system_sgpr_workgroup_info 0
		.amdhsa_system_vgpr_workitem_id 0
		.amdhsa_next_free_vgpr 1
		.amdhsa_next_free_sgpr 0
		.amdhsa_accum_offset 4
		.amdhsa_reserve_vcc 0
		.amdhsa_reserve_flat_scratch 0
		.amdhsa_float_round_mode_32 0
		.amdhsa_float_round_mode_16_64 0
		.amdhsa_float_denorm_mode_32 3
		.amdhsa_float_denorm_mode_16_64 3
		.amdhsa_dx10_clamp 1
		.amdhsa_ieee_mode 1
		.amdhsa_fp16_overflow 0
		.amdhsa_tg_split 0
		.amdhsa_exception_fp_ieee_invalid_op 0
		.amdhsa_exception_fp_denorm_src 0
		.amdhsa_exception_fp_ieee_div_zero 0
		.amdhsa_exception_fp_ieee_overflow 0
		.amdhsa_exception_fp_ieee_underflow 0
		.amdhsa_exception_fp_ieee_inexact 0
		.amdhsa_exception_int_div_zero 0
	.end_amdhsa_kernel
	.section	.text._ZN7rocprim17ROCPRIM_400000_NS6detail17trampoline_kernelINS0_14default_configENS1_27upper_bound_config_selectorIylEEZNS1_14transform_implILb0ES3_S5_N6thrust23THRUST_200600_302600_NS17counting_iteratorIyNS8_11use_defaultESA_SA_EEPlZNS1_13binary_searchIS3_S5_PySB_SC_NS1_21upper_bound_search_opENS8_6detail16wrapped_functionINS0_4lessIvEEbEEEE10hipError_tPvRmT1_T2_T3_mmT4_T5_P12ihipStream_tbEUlRKyE_EESL_SP_SQ_mSR_SU_bEUlT_E_NS1_11comp_targetILNS1_3genE5ELNS1_11target_archE942ELNS1_3gpuE9ELNS1_3repE0EEENS1_30default_config_static_selectorELNS0_4arch9wavefront6targetE1EEEvSO_,"axG",@progbits,_ZN7rocprim17ROCPRIM_400000_NS6detail17trampoline_kernelINS0_14default_configENS1_27upper_bound_config_selectorIylEEZNS1_14transform_implILb0ES3_S5_N6thrust23THRUST_200600_302600_NS17counting_iteratorIyNS8_11use_defaultESA_SA_EEPlZNS1_13binary_searchIS3_S5_PySB_SC_NS1_21upper_bound_search_opENS8_6detail16wrapped_functionINS0_4lessIvEEbEEEE10hipError_tPvRmT1_T2_T3_mmT4_T5_P12ihipStream_tbEUlRKyE_EESL_SP_SQ_mSR_SU_bEUlT_E_NS1_11comp_targetILNS1_3genE5ELNS1_11target_archE942ELNS1_3gpuE9ELNS1_3repE0EEENS1_30default_config_static_selectorELNS0_4arch9wavefront6targetE1EEEvSO_,comdat
.Lfunc_end110:
	.size	_ZN7rocprim17ROCPRIM_400000_NS6detail17trampoline_kernelINS0_14default_configENS1_27upper_bound_config_selectorIylEEZNS1_14transform_implILb0ES3_S5_N6thrust23THRUST_200600_302600_NS17counting_iteratorIyNS8_11use_defaultESA_SA_EEPlZNS1_13binary_searchIS3_S5_PySB_SC_NS1_21upper_bound_search_opENS8_6detail16wrapped_functionINS0_4lessIvEEbEEEE10hipError_tPvRmT1_T2_T3_mmT4_T5_P12ihipStream_tbEUlRKyE_EESL_SP_SQ_mSR_SU_bEUlT_E_NS1_11comp_targetILNS1_3genE5ELNS1_11target_archE942ELNS1_3gpuE9ELNS1_3repE0EEENS1_30default_config_static_selectorELNS0_4arch9wavefront6targetE1EEEvSO_, .Lfunc_end110-_ZN7rocprim17ROCPRIM_400000_NS6detail17trampoline_kernelINS0_14default_configENS1_27upper_bound_config_selectorIylEEZNS1_14transform_implILb0ES3_S5_N6thrust23THRUST_200600_302600_NS17counting_iteratorIyNS8_11use_defaultESA_SA_EEPlZNS1_13binary_searchIS3_S5_PySB_SC_NS1_21upper_bound_search_opENS8_6detail16wrapped_functionINS0_4lessIvEEbEEEE10hipError_tPvRmT1_T2_T3_mmT4_T5_P12ihipStream_tbEUlRKyE_EESL_SP_SQ_mSR_SU_bEUlT_E_NS1_11comp_targetILNS1_3genE5ELNS1_11target_archE942ELNS1_3gpuE9ELNS1_3repE0EEENS1_30default_config_static_selectorELNS0_4arch9wavefront6targetE1EEEvSO_
                                        ; -- End function
	.section	.AMDGPU.csdata,"",@progbits
; Kernel info:
; codeLenInByte = 0
; NumSgprs: 4
; NumVgprs: 0
; NumAgprs: 0
; TotalNumVgprs: 0
; ScratchSize: 0
; MemoryBound: 0
; FloatMode: 240
; IeeeMode: 1
; LDSByteSize: 0 bytes/workgroup (compile time only)
; SGPRBlocks: 0
; VGPRBlocks: 0
; NumSGPRsForWavesPerEU: 4
; NumVGPRsForWavesPerEU: 1
; AccumOffset: 4
; Occupancy: 8
; WaveLimiterHint : 0
; COMPUTE_PGM_RSRC2:SCRATCH_EN: 0
; COMPUTE_PGM_RSRC2:USER_SGPR: 6
; COMPUTE_PGM_RSRC2:TRAP_HANDLER: 0
; COMPUTE_PGM_RSRC2:TGID_X_EN: 1
; COMPUTE_PGM_RSRC2:TGID_Y_EN: 0
; COMPUTE_PGM_RSRC2:TGID_Z_EN: 0
; COMPUTE_PGM_RSRC2:TIDIG_COMP_CNT: 0
; COMPUTE_PGM_RSRC3_GFX90A:ACCUM_OFFSET: 0
; COMPUTE_PGM_RSRC3_GFX90A:TG_SPLIT: 0
	.section	.text._ZN7rocprim17ROCPRIM_400000_NS6detail17trampoline_kernelINS0_14default_configENS1_27upper_bound_config_selectorIylEEZNS1_14transform_implILb0ES3_S5_N6thrust23THRUST_200600_302600_NS17counting_iteratorIyNS8_11use_defaultESA_SA_EEPlZNS1_13binary_searchIS3_S5_PySB_SC_NS1_21upper_bound_search_opENS8_6detail16wrapped_functionINS0_4lessIvEEbEEEE10hipError_tPvRmT1_T2_T3_mmT4_T5_P12ihipStream_tbEUlRKyE_EESL_SP_SQ_mSR_SU_bEUlT_E_NS1_11comp_targetILNS1_3genE4ELNS1_11target_archE910ELNS1_3gpuE8ELNS1_3repE0EEENS1_30default_config_static_selectorELNS0_4arch9wavefront6targetE1EEEvSO_,"axG",@progbits,_ZN7rocprim17ROCPRIM_400000_NS6detail17trampoline_kernelINS0_14default_configENS1_27upper_bound_config_selectorIylEEZNS1_14transform_implILb0ES3_S5_N6thrust23THRUST_200600_302600_NS17counting_iteratorIyNS8_11use_defaultESA_SA_EEPlZNS1_13binary_searchIS3_S5_PySB_SC_NS1_21upper_bound_search_opENS8_6detail16wrapped_functionINS0_4lessIvEEbEEEE10hipError_tPvRmT1_T2_T3_mmT4_T5_P12ihipStream_tbEUlRKyE_EESL_SP_SQ_mSR_SU_bEUlT_E_NS1_11comp_targetILNS1_3genE4ELNS1_11target_archE910ELNS1_3gpuE8ELNS1_3repE0EEENS1_30default_config_static_selectorELNS0_4arch9wavefront6targetE1EEEvSO_,comdat
	.protected	_ZN7rocprim17ROCPRIM_400000_NS6detail17trampoline_kernelINS0_14default_configENS1_27upper_bound_config_selectorIylEEZNS1_14transform_implILb0ES3_S5_N6thrust23THRUST_200600_302600_NS17counting_iteratorIyNS8_11use_defaultESA_SA_EEPlZNS1_13binary_searchIS3_S5_PySB_SC_NS1_21upper_bound_search_opENS8_6detail16wrapped_functionINS0_4lessIvEEbEEEE10hipError_tPvRmT1_T2_T3_mmT4_T5_P12ihipStream_tbEUlRKyE_EESL_SP_SQ_mSR_SU_bEUlT_E_NS1_11comp_targetILNS1_3genE4ELNS1_11target_archE910ELNS1_3gpuE8ELNS1_3repE0EEENS1_30default_config_static_selectorELNS0_4arch9wavefront6targetE1EEEvSO_ ; -- Begin function _ZN7rocprim17ROCPRIM_400000_NS6detail17trampoline_kernelINS0_14default_configENS1_27upper_bound_config_selectorIylEEZNS1_14transform_implILb0ES3_S5_N6thrust23THRUST_200600_302600_NS17counting_iteratorIyNS8_11use_defaultESA_SA_EEPlZNS1_13binary_searchIS3_S5_PySB_SC_NS1_21upper_bound_search_opENS8_6detail16wrapped_functionINS0_4lessIvEEbEEEE10hipError_tPvRmT1_T2_T3_mmT4_T5_P12ihipStream_tbEUlRKyE_EESL_SP_SQ_mSR_SU_bEUlT_E_NS1_11comp_targetILNS1_3genE4ELNS1_11target_archE910ELNS1_3gpuE8ELNS1_3repE0EEENS1_30default_config_static_selectorELNS0_4arch9wavefront6targetE1EEEvSO_
	.globl	_ZN7rocprim17ROCPRIM_400000_NS6detail17trampoline_kernelINS0_14default_configENS1_27upper_bound_config_selectorIylEEZNS1_14transform_implILb0ES3_S5_N6thrust23THRUST_200600_302600_NS17counting_iteratorIyNS8_11use_defaultESA_SA_EEPlZNS1_13binary_searchIS3_S5_PySB_SC_NS1_21upper_bound_search_opENS8_6detail16wrapped_functionINS0_4lessIvEEbEEEE10hipError_tPvRmT1_T2_T3_mmT4_T5_P12ihipStream_tbEUlRKyE_EESL_SP_SQ_mSR_SU_bEUlT_E_NS1_11comp_targetILNS1_3genE4ELNS1_11target_archE910ELNS1_3gpuE8ELNS1_3repE0EEENS1_30default_config_static_selectorELNS0_4arch9wavefront6targetE1EEEvSO_
	.p2align	8
	.type	_ZN7rocprim17ROCPRIM_400000_NS6detail17trampoline_kernelINS0_14default_configENS1_27upper_bound_config_selectorIylEEZNS1_14transform_implILb0ES3_S5_N6thrust23THRUST_200600_302600_NS17counting_iteratorIyNS8_11use_defaultESA_SA_EEPlZNS1_13binary_searchIS3_S5_PySB_SC_NS1_21upper_bound_search_opENS8_6detail16wrapped_functionINS0_4lessIvEEbEEEE10hipError_tPvRmT1_T2_T3_mmT4_T5_P12ihipStream_tbEUlRKyE_EESL_SP_SQ_mSR_SU_bEUlT_E_NS1_11comp_targetILNS1_3genE4ELNS1_11target_archE910ELNS1_3gpuE8ELNS1_3repE0EEENS1_30default_config_static_selectorELNS0_4arch9wavefront6targetE1EEEvSO_,@function
_ZN7rocprim17ROCPRIM_400000_NS6detail17trampoline_kernelINS0_14default_configENS1_27upper_bound_config_selectorIylEEZNS1_14transform_implILb0ES3_S5_N6thrust23THRUST_200600_302600_NS17counting_iteratorIyNS8_11use_defaultESA_SA_EEPlZNS1_13binary_searchIS3_S5_PySB_SC_NS1_21upper_bound_search_opENS8_6detail16wrapped_functionINS0_4lessIvEEbEEEE10hipError_tPvRmT1_T2_T3_mmT4_T5_P12ihipStream_tbEUlRKyE_EESL_SP_SQ_mSR_SU_bEUlT_E_NS1_11comp_targetILNS1_3genE4ELNS1_11target_archE910ELNS1_3gpuE8ELNS1_3repE0EEENS1_30default_config_static_selectorELNS0_4arch9wavefront6targetE1EEEvSO_: ; @_ZN7rocprim17ROCPRIM_400000_NS6detail17trampoline_kernelINS0_14default_configENS1_27upper_bound_config_selectorIylEEZNS1_14transform_implILb0ES3_S5_N6thrust23THRUST_200600_302600_NS17counting_iteratorIyNS8_11use_defaultESA_SA_EEPlZNS1_13binary_searchIS3_S5_PySB_SC_NS1_21upper_bound_search_opENS8_6detail16wrapped_functionINS0_4lessIvEEbEEEE10hipError_tPvRmT1_T2_T3_mmT4_T5_P12ihipStream_tbEUlRKyE_EESL_SP_SQ_mSR_SU_bEUlT_E_NS1_11comp_targetILNS1_3genE4ELNS1_11target_archE910ELNS1_3gpuE8ELNS1_3repE0EEENS1_30default_config_static_selectorELNS0_4arch9wavefront6targetE1EEEvSO_
; %bb.0:
	s_load_dwordx4 s[0:3], s[4:5], 0x0
	s_load_dwordx2 s[12:13], s[4:5], 0x28
	s_load_dword s7, s[4:5], 0x38
	s_load_dwordx4 s[8:11], s[4:5], 0x18
	s_waitcnt lgkmcnt(0)
	s_add_u32 s16, s2, s0
	s_addc_u32 s17, s3, s1
	s_lshl_b32 s0, s6, 6
	s_add_i32 s7, s7, -1
	s_cmp_lg_u32 s6, s7
	s_mov_b32 s1, 0
	s_cbranch_scc0 .LBB111_6
; %bb.1:
	v_mov_b32_e32 v1, 0
	s_mov_b64 s[14:15], 0
	s_cmp_eq_u64 s[12:13], 0
	v_pk_mov_b32 v[2:3], 0, 0
	s_cbranch_scc1 .LBB111_5
; %bb.2:
	s_add_u32 s6, s16, s0
	s_addc_u32 s7, s17, 0
	v_mov_b32_e32 v2, s7
	v_add_co_u32_e32 v4, vcc, s6, v0
	v_addc_co_u32_e32 v5, vcc, 0, v2, vcc
	s_mov_b64 s[6:7], 0
	v_pk_mov_b32 v[2:3], 0, 0
	v_pk_mov_b32 v[6:7], s[12:13], s[12:13] op_sel:[0,1]
	v_mov_b32_e32 v8, s11
.LBB111_3:                              ; =>This Inner Loop Header: Depth=1
	v_sub_co_u32_e32 v10, vcc, v6, v2
	v_subb_co_u32_e32 v11, vcc, v7, v3, vcc
	v_lshrrev_b64 v[12:13], 1, v[10:11]
	v_add_co_u32_e32 v9, vcc, v12, v2
	v_lshrrev_b64 v[10:11], 6, v[10:11]
	v_addc_co_u32_e32 v12, vcc, v13, v3, vcc
	v_add_co_u32_e32 v10, vcc, v9, v10
	v_addc_co_u32_e32 v11, vcc, v12, v11, vcc
	v_lshlrev_b64 v[12:13], 3, v[10:11]
	v_add_co_u32_e32 v12, vcc, s10, v12
	v_addc_co_u32_e32 v13, vcc, v8, v13, vcc
	global_load_dwordx2 v[12:13], v[12:13], off
	v_add_co_u32_e32 v9, vcc, 1, v10
	v_addc_co_u32_e32 v14, vcc, 0, v11, vcc
	s_waitcnt vmcnt(0)
	v_cmp_gt_u64_e32 vcc, v[12:13], v[4:5]
	v_cndmask_b32_e32 v7, v7, v11, vcc
	v_cndmask_b32_e32 v6, v6, v10, vcc
	v_cndmask_b32_e32 v3, v14, v3, vcc
	v_cndmask_b32_e32 v2, v9, v2, vcc
	v_cmp_ge_u64_e32 vcc, v[2:3], v[6:7]
	s_or_b64 s[6:7], vcc, s[6:7]
	s_andn2_b64 exec, exec, s[6:7]
	s_cbranch_execnz .LBB111_3
; %bb.4:
	s_or_b64 exec, exec, s[6:7]
.LBB111_5:
	s_mov_b64 s[6:7], -1
	s_andn2_b64 vcc, exec, s[14:15]
	s_cbranch_vccz .LBB111_7
	s_branch .LBB111_13
.LBB111_6:
	s_mov_b64 s[6:7], 0
                                        ; implicit-def: $vgpr2_vgpr3
.LBB111_7:
	s_load_dword s4, s[4:5], 0x10
	v_mov_b32_e32 v1, 0
                                        ; implicit-def: $vgpr2_vgpr3
	s_waitcnt lgkmcnt(0)
	s_sub_i32 s4, s4, s0
	v_cmp_gt_u32_e64 s[6:7], s4, v0
	s_and_saveexec_b64 s[4:5], s[6:7]
	s_cbranch_execz .LBB111_12
; %bb.8:
	s_mov_b64 s[14:15], 0
	s_cmp_eq_u64 s[12:13], 0
	v_pk_mov_b32 v[2:3], 0, 0
	s_cbranch_scc1 .LBB111_12
; %bb.9:
	s_add_u32 s16, s16, s0
	s_addc_u32 s17, s17, 0
	v_mov_b32_e32 v2, s17
	v_add_co_u32_e32 v4, vcc, s16, v0
	v_addc_co_u32_e32 v5, vcc, 0, v2, vcc
	v_pk_mov_b32 v[2:3], 0, 0
	v_pk_mov_b32 v[6:7], s[12:13], s[12:13] op_sel:[0,1]
	v_mov_b32_e32 v8, s11
.LBB111_10:                             ; =>This Inner Loop Header: Depth=1
	v_sub_co_u32_e32 v10, vcc, v6, v2
	v_subb_co_u32_e32 v11, vcc, v7, v3, vcc
	v_lshrrev_b64 v[12:13], 1, v[10:11]
	v_add_co_u32_e32 v9, vcc, v12, v2
	v_lshrrev_b64 v[10:11], 6, v[10:11]
	v_addc_co_u32_e32 v12, vcc, v13, v3, vcc
	v_add_co_u32_e32 v10, vcc, v9, v10
	v_addc_co_u32_e32 v11, vcc, v12, v11, vcc
	v_lshlrev_b64 v[12:13], 3, v[10:11]
	v_add_co_u32_e32 v12, vcc, s10, v12
	v_addc_co_u32_e32 v13, vcc, v8, v13, vcc
	global_load_dwordx2 v[12:13], v[12:13], off
	v_add_co_u32_e32 v9, vcc, 1, v10
	v_addc_co_u32_e32 v14, vcc, 0, v11, vcc
	s_waitcnt vmcnt(0)
	v_cmp_gt_u64_e32 vcc, v[12:13], v[4:5]
	v_cndmask_b32_e32 v7, v7, v11, vcc
	v_cndmask_b32_e32 v6, v6, v10, vcc
	;; [unrolled: 1-line block ×4, first 2 shown]
	v_cmp_ge_u64_e32 vcc, v[2:3], v[6:7]
	s_or_b64 s[14:15], vcc, s[14:15]
	s_andn2_b64 exec, exec, s[14:15]
	s_cbranch_execnz .LBB111_10
; %bb.11:
	s_or_b64 exec, exec, s[14:15]
.LBB111_12:
	s_or_b64 exec, exec, s[4:5]
.LBB111_13:
	s_and_saveexec_b64 s[4:5], s[6:7]
	s_cbranch_execnz .LBB111_15
; %bb.14:
	s_endpgm
.LBB111_15:
	s_lshl_b64 s[2:3], s[2:3], 3
	s_add_u32 s2, s8, s2
	s_addc_u32 s3, s9, s3
	s_lshl_b64 s[0:1], s[0:1], 3
	s_add_u32 s0, s2, s0
	s_addc_u32 s1, s3, s1
	v_lshlrev_b64 v[0:1], 3, v[0:1]
	v_mov_b32_e32 v4, s1
	v_add_co_u32_e32 v0, vcc, s0, v0
	v_addc_co_u32_e32 v1, vcc, v4, v1, vcc
	global_store_dwordx2 v[0:1], v[2:3], off
	s_endpgm
	.section	.rodata,"a",@progbits
	.p2align	6, 0x0
	.amdhsa_kernel _ZN7rocprim17ROCPRIM_400000_NS6detail17trampoline_kernelINS0_14default_configENS1_27upper_bound_config_selectorIylEEZNS1_14transform_implILb0ES3_S5_N6thrust23THRUST_200600_302600_NS17counting_iteratorIyNS8_11use_defaultESA_SA_EEPlZNS1_13binary_searchIS3_S5_PySB_SC_NS1_21upper_bound_search_opENS8_6detail16wrapped_functionINS0_4lessIvEEbEEEE10hipError_tPvRmT1_T2_T3_mmT4_T5_P12ihipStream_tbEUlRKyE_EESL_SP_SQ_mSR_SU_bEUlT_E_NS1_11comp_targetILNS1_3genE4ELNS1_11target_archE910ELNS1_3gpuE8ELNS1_3repE0EEENS1_30default_config_static_selectorELNS0_4arch9wavefront6targetE1EEEvSO_
		.amdhsa_group_segment_fixed_size 0
		.amdhsa_private_segment_fixed_size 0
		.amdhsa_kernarg_size 312
		.amdhsa_user_sgpr_count 6
		.amdhsa_user_sgpr_private_segment_buffer 1
		.amdhsa_user_sgpr_dispatch_ptr 0
		.amdhsa_user_sgpr_queue_ptr 0
		.amdhsa_user_sgpr_kernarg_segment_ptr 1
		.amdhsa_user_sgpr_dispatch_id 0
		.amdhsa_user_sgpr_flat_scratch_init 0
		.amdhsa_user_sgpr_kernarg_preload_length 0
		.amdhsa_user_sgpr_kernarg_preload_offset 0
		.amdhsa_user_sgpr_private_segment_size 0
		.amdhsa_uses_dynamic_stack 0
		.amdhsa_system_sgpr_private_segment_wavefront_offset 0
		.amdhsa_system_sgpr_workgroup_id_x 1
		.amdhsa_system_sgpr_workgroup_id_y 0
		.amdhsa_system_sgpr_workgroup_id_z 0
		.amdhsa_system_sgpr_workgroup_info 0
		.amdhsa_system_vgpr_workitem_id 0
		.amdhsa_next_free_vgpr 15
		.amdhsa_next_free_sgpr 18
		.amdhsa_accum_offset 16
		.amdhsa_reserve_vcc 1
		.amdhsa_reserve_flat_scratch 0
		.amdhsa_float_round_mode_32 0
		.amdhsa_float_round_mode_16_64 0
		.amdhsa_float_denorm_mode_32 3
		.amdhsa_float_denorm_mode_16_64 3
		.amdhsa_dx10_clamp 1
		.amdhsa_ieee_mode 1
		.amdhsa_fp16_overflow 0
		.amdhsa_tg_split 0
		.amdhsa_exception_fp_ieee_invalid_op 0
		.amdhsa_exception_fp_denorm_src 0
		.amdhsa_exception_fp_ieee_div_zero 0
		.amdhsa_exception_fp_ieee_overflow 0
		.amdhsa_exception_fp_ieee_underflow 0
		.amdhsa_exception_fp_ieee_inexact 0
		.amdhsa_exception_int_div_zero 0
	.end_amdhsa_kernel
	.section	.text._ZN7rocprim17ROCPRIM_400000_NS6detail17trampoline_kernelINS0_14default_configENS1_27upper_bound_config_selectorIylEEZNS1_14transform_implILb0ES3_S5_N6thrust23THRUST_200600_302600_NS17counting_iteratorIyNS8_11use_defaultESA_SA_EEPlZNS1_13binary_searchIS3_S5_PySB_SC_NS1_21upper_bound_search_opENS8_6detail16wrapped_functionINS0_4lessIvEEbEEEE10hipError_tPvRmT1_T2_T3_mmT4_T5_P12ihipStream_tbEUlRKyE_EESL_SP_SQ_mSR_SU_bEUlT_E_NS1_11comp_targetILNS1_3genE4ELNS1_11target_archE910ELNS1_3gpuE8ELNS1_3repE0EEENS1_30default_config_static_selectorELNS0_4arch9wavefront6targetE1EEEvSO_,"axG",@progbits,_ZN7rocprim17ROCPRIM_400000_NS6detail17trampoline_kernelINS0_14default_configENS1_27upper_bound_config_selectorIylEEZNS1_14transform_implILb0ES3_S5_N6thrust23THRUST_200600_302600_NS17counting_iteratorIyNS8_11use_defaultESA_SA_EEPlZNS1_13binary_searchIS3_S5_PySB_SC_NS1_21upper_bound_search_opENS8_6detail16wrapped_functionINS0_4lessIvEEbEEEE10hipError_tPvRmT1_T2_T3_mmT4_T5_P12ihipStream_tbEUlRKyE_EESL_SP_SQ_mSR_SU_bEUlT_E_NS1_11comp_targetILNS1_3genE4ELNS1_11target_archE910ELNS1_3gpuE8ELNS1_3repE0EEENS1_30default_config_static_selectorELNS0_4arch9wavefront6targetE1EEEvSO_,comdat
.Lfunc_end111:
	.size	_ZN7rocprim17ROCPRIM_400000_NS6detail17trampoline_kernelINS0_14default_configENS1_27upper_bound_config_selectorIylEEZNS1_14transform_implILb0ES3_S5_N6thrust23THRUST_200600_302600_NS17counting_iteratorIyNS8_11use_defaultESA_SA_EEPlZNS1_13binary_searchIS3_S5_PySB_SC_NS1_21upper_bound_search_opENS8_6detail16wrapped_functionINS0_4lessIvEEbEEEE10hipError_tPvRmT1_T2_T3_mmT4_T5_P12ihipStream_tbEUlRKyE_EESL_SP_SQ_mSR_SU_bEUlT_E_NS1_11comp_targetILNS1_3genE4ELNS1_11target_archE910ELNS1_3gpuE8ELNS1_3repE0EEENS1_30default_config_static_selectorELNS0_4arch9wavefront6targetE1EEEvSO_, .Lfunc_end111-_ZN7rocprim17ROCPRIM_400000_NS6detail17trampoline_kernelINS0_14default_configENS1_27upper_bound_config_selectorIylEEZNS1_14transform_implILb0ES3_S5_N6thrust23THRUST_200600_302600_NS17counting_iteratorIyNS8_11use_defaultESA_SA_EEPlZNS1_13binary_searchIS3_S5_PySB_SC_NS1_21upper_bound_search_opENS8_6detail16wrapped_functionINS0_4lessIvEEbEEEE10hipError_tPvRmT1_T2_T3_mmT4_T5_P12ihipStream_tbEUlRKyE_EESL_SP_SQ_mSR_SU_bEUlT_E_NS1_11comp_targetILNS1_3genE4ELNS1_11target_archE910ELNS1_3gpuE8ELNS1_3repE0EEENS1_30default_config_static_selectorELNS0_4arch9wavefront6targetE1EEEvSO_
                                        ; -- End function
	.section	.AMDGPU.csdata,"",@progbits
; Kernel info:
; codeLenInByte = 552
; NumSgprs: 22
; NumVgprs: 15
; NumAgprs: 0
; TotalNumVgprs: 15
; ScratchSize: 0
; MemoryBound: 0
; FloatMode: 240
; IeeeMode: 1
; LDSByteSize: 0 bytes/workgroup (compile time only)
; SGPRBlocks: 2
; VGPRBlocks: 1
; NumSGPRsForWavesPerEU: 22
; NumVGPRsForWavesPerEU: 15
; AccumOffset: 16
; Occupancy: 8
; WaveLimiterHint : 0
; COMPUTE_PGM_RSRC2:SCRATCH_EN: 0
; COMPUTE_PGM_RSRC2:USER_SGPR: 6
; COMPUTE_PGM_RSRC2:TRAP_HANDLER: 0
; COMPUTE_PGM_RSRC2:TGID_X_EN: 1
; COMPUTE_PGM_RSRC2:TGID_Y_EN: 0
; COMPUTE_PGM_RSRC2:TGID_Z_EN: 0
; COMPUTE_PGM_RSRC2:TIDIG_COMP_CNT: 0
; COMPUTE_PGM_RSRC3_GFX90A:ACCUM_OFFSET: 3
; COMPUTE_PGM_RSRC3_GFX90A:TG_SPLIT: 0
	.section	.text._ZN7rocprim17ROCPRIM_400000_NS6detail17trampoline_kernelINS0_14default_configENS1_27upper_bound_config_selectorIylEEZNS1_14transform_implILb0ES3_S5_N6thrust23THRUST_200600_302600_NS17counting_iteratorIyNS8_11use_defaultESA_SA_EEPlZNS1_13binary_searchIS3_S5_PySB_SC_NS1_21upper_bound_search_opENS8_6detail16wrapped_functionINS0_4lessIvEEbEEEE10hipError_tPvRmT1_T2_T3_mmT4_T5_P12ihipStream_tbEUlRKyE_EESL_SP_SQ_mSR_SU_bEUlT_E_NS1_11comp_targetILNS1_3genE3ELNS1_11target_archE908ELNS1_3gpuE7ELNS1_3repE0EEENS1_30default_config_static_selectorELNS0_4arch9wavefront6targetE1EEEvSO_,"axG",@progbits,_ZN7rocprim17ROCPRIM_400000_NS6detail17trampoline_kernelINS0_14default_configENS1_27upper_bound_config_selectorIylEEZNS1_14transform_implILb0ES3_S5_N6thrust23THRUST_200600_302600_NS17counting_iteratorIyNS8_11use_defaultESA_SA_EEPlZNS1_13binary_searchIS3_S5_PySB_SC_NS1_21upper_bound_search_opENS8_6detail16wrapped_functionINS0_4lessIvEEbEEEE10hipError_tPvRmT1_T2_T3_mmT4_T5_P12ihipStream_tbEUlRKyE_EESL_SP_SQ_mSR_SU_bEUlT_E_NS1_11comp_targetILNS1_3genE3ELNS1_11target_archE908ELNS1_3gpuE7ELNS1_3repE0EEENS1_30default_config_static_selectorELNS0_4arch9wavefront6targetE1EEEvSO_,comdat
	.protected	_ZN7rocprim17ROCPRIM_400000_NS6detail17trampoline_kernelINS0_14default_configENS1_27upper_bound_config_selectorIylEEZNS1_14transform_implILb0ES3_S5_N6thrust23THRUST_200600_302600_NS17counting_iteratorIyNS8_11use_defaultESA_SA_EEPlZNS1_13binary_searchIS3_S5_PySB_SC_NS1_21upper_bound_search_opENS8_6detail16wrapped_functionINS0_4lessIvEEbEEEE10hipError_tPvRmT1_T2_T3_mmT4_T5_P12ihipStream_tbEUlRKyE_EESL_SP_SQ_mSR_SU_bEUlT_E_NS1_11comp_targetILNS1_3genE3ELNS1_11target_archE908ELNS1_3gpuE7ELNS1_3repE0EEENS1_30default_config_static_selectorELNS0_4arch9wavefront6targetE1EEEvSO_ ; -- Begin function _ZN7rocprim17ROCPRIM_400000_NS6detail17trampoline_kernelINS0_14default_configENS1_27upper_bound_config_selectorIylEEZNS1_14transform_implILb0ES3_S5_N6thrust23THRUST_200600_302600_NS17counting_iteratorIyNS8_11use_defaultESA_SA_EEPlZNS1_13binary_searchIS3_S5_PySB_SC_NS1_21upper_bound_search_opENS8_6detail16wrapped_functionINS0_4lessIvEEbEEEE10hipError_tPvRmT1_T2_T3_mmT4_T5_P12ihipStream_tbEUlRKyE_EESL_SP_SQ_mSR_SU_bEUlT_E_NS1_11comp_targetILNS1_3genE3ELNS1_11target_archE908ELNS1_3gpuE7ELNS1_3repE0EEENS1_30default_config_static_selectorELNS0_4arch9wavefront6targetE1EEEvSO_
	.globl	_ZN7rocprim17ROCPRIM_400000_NS6detail17trampoline_kernelINS0_14default_configENS1_27upper_bound_config_selectorIylEEZNS1_14transform_implILb0ES3_S5_N6thrust23THRUST_200600_302600_NS17counting_iteratorIyNS8_11use_defaultESA_SA_EEPlZNS1_13binary_searchIS3_S5_PySB_SC_NS1_21upper_bound_search_opENS8_6detail16wrapped_functionINS0_4lessIvEEbEEEE10hipError_tPvRmT1_T2_T3_mmT4_T5_P12ihipStream_tbEUlRKyE_EESL_SP_SQ_mSR_SU_bEUlT_E_NS1_11comp_targetILNS1_3genE3ELNS1_11target_archE908ELNS1_3gpuE7ELNS1_3repE0EEENS1_30default_config_static_selectorELNS0_4arch9wavefront6targetE1EEEvSO_
	.p2align	8
	.type	_ZN7rocprim17ROCPRIM_400000_NS6detail17trampoline_kernelINS0_14default_configENS1_27upper_bound_config_selectorIylEEZNS1_14transform_implILb0ES3_S5_N6thrust23THRUST_200600_302600_NS17counting_iteratorIyNS8_11use_defaultESA_SA_EEPlZNS1_13binary_searchIS3_S5_PySB_SC_NS1_21upper_bound_search_opENS8_6detail16wrapped_functionINS0_4lessIvEEbEEEE10hipError_tPvRmT1_T2_T3_mmT4_T5_P12ihipStream_tbEUlRKyE_EESL_SP_SQ_mSR_SU_bEUlT_E_NS1_11comp_targetILNS1_3genE3ELNS1_11target_archE908ELNS1_3gpuE7ELNS1_3repE0EEENS1_30default_config_static_selectorELNS0_4arch9wavefront6targetE1EEEvSO_,@function
_ZN7rocprim17ROCPRIM_400000_NS6detail17trampoline_kernelINS0_14default_configENS1_27upper_bound_config_selectorIylEEZNS1_14transform_implILb0ES3_S5_N6thrust23THRUST_200600_302600_NS17counting_iteratorIyNS8_11use_defaultESA_SA_EEPlZNS1_13binary_searchIS3_S5_PySB_SC_NS1_21upper_bound_search_opENS8_6detail16wrapped_functionINS0_4lessIvEEbEEEE10hipError_tPvRmT1_T2_T3_mmT4_T5_P12ihipStream_tbEUlRKyE_EESL_SP_SQ_mSR_SU_bEUlT_E_NS1_11comp_targetILNS1_3genE3ELNS1_11target_archE908ELNS1_3gpuE7ELNS1_3repE0EEENS1_30default_config_static_selectorELNS0_4arch9wavefront6targetE1EEEvSO_: ; @_ZN7rocprim17ROCPRIM_400000_NS6detail17trampoline_kernelINS0_14default_configENS1_27upper_bound_config_selectorIylEEZNS1_14transform_implILb0ES3_S5_N6thrust23THRUST_200600_302600_NS17counting_iteratorIyNS8_11use_defaultESA_SA_EEPlZNS1_13binary_searchIS3_S5_PySB_SC_NS1_21upper_bound_search_opENS8_6detail16wrapped_functionINS0_4lessIvEEbEEEE10hipError_tPvRmT1_T2_T3_mmT4_T5_P12ihipStream_tbEUlRKyE_EESL_SP_SQ_mSR_SU_bEUlT_E_NS1_11comp_targetILNS1_3genE3ELNS1_11target_archE908ELNS1_3gpuE7ELNS1_3repE0EEENS1_30default_config_static_selectorELNS0_4arch9wavefront6targetE1EEEvSO_
; %bb.0:
	.section	.rodata,"a",@progbits
	.p2align	6, 0x0
	.amdhsa_kernel _ZN7rocprim17ROCPRIM_400000_NS6detail17trampoline_kernelINS0_14default_configENS1_27upper_bound_config_selectorIylEEZNS1_14transform_implILb0ES3_S5_N6thrust23THRUST_200600_302600_NS17counting_iteratorIyNS8_11use_defaultESA_SA_EEPlZNS1_13binary_searchIS3_S5_PySB_SC_NS1_21upper_bound_search_opENS8_6detail16wrapped_functionINS0_4lessIvEEbEEEE10hipError_tPvRmT1_T2_T3_mmT4_T5_P12ihipStream_tbEUlRKyE_EESL_SP_SQ_mSR_SU_bEUlT_E_NS1_11comp_targetILNS1_3genE3ELNS1_11target_archE908ELNS1_3gpuE7ELNS1_3repE0EEENS1_30default_config_static_selectorELNS0_4arch9wavefront6targetE1EEEvSO_
		.amdhsa_group_segment_fixed_size 0
		.amdhsa_private_segment_fixed_size 0
		.amdhsa_kernarg_size 56
		.amdhsa_user_sgpr_count 6
		.amdhsa_user_sgpr_private_segment_buffer 1
		.amdhsa_user_sgpr_dispatch_ptr 0
		.amdhsa_user_sgpr_queue_ptr 0
		.amdhsa_user_sgpr_kernarg_segment_ptr 1
		.amdhsa_user_sgpr_dispatch_id 0
		.amdhsa_user_sgpr_flat_scratch_init 0
		.amdhsa_user_sgpr_kernarg_preload_length 0
		.amdhsa_user_sgpr_kernarg_preload_offset 0
		.amdhsa_user_sgpr_private_segment_size 0
		.amdhsa_uses_dynamic_stack 0
		.amdhsa_system_sgpr_private_segment_wavefront_offset 0
		.amdhsa_system_sgpr_workgroup_id_x 1
		.amdhsa_system_sgpr_workgroup_id_y 0
		.amdhsa_system_sgpr_workgroup_id_z 0
		.amdhsa_system_sgpr_workgroup_info 0
		.amdhsa_system_vgpr_workitem_id 0
		.amdhsa_next_free_vgpr 1
		.amdhsa_next_free_sgpr 0
		.amdhsa_accum_offset 4
		.amdhsa_reserve_vcc 0
		.amdhsa_reserve_flat_scratch 0
		.amdhsa_float_round_mode_32 0
		.amdhsa_float_round_mode_16_64 0
		.amdhsa_float_denorm_mode_32 3
		.amdhsa_float_denorm_mode_16_64 3
		.amdhsa_dx10_clamp 1
		.amdhsa_ieee_mode 1
		.amdhsa_fp16_overflow 0
		.amdhsa_tg_split 0
		.amdhsa_exception_fp_ieee_invalid_op 0
		.amdhsa_exception_fp_denorm_src 0
		.amdhsa_exception_fp_ieee_div_zero 0
		.amdhsa_exception_fp_ieee_overflow 0
		.amdhsa_exception_fp_ieee_underflow 0
		.amdhsa_exception_fp_ieee_inexact 0
		.amdhsa_exception_int_div_zero 0
	.end_amdhsa_kernel
	.section	.text._ZN7rocprim17ROCPRIM_400000_NS6detail17trampoline_kernelINS0_14default_configENS1_27upper_bound_config_selectorIylEEZNS1_14transform_implILb0ES3_S5_N6thrust23THRUST_200600_302600_NS17counting_iteratorIyNS8_11use_defaultESA_SA_EEPlZNS1_13binary_searchIS3_S5_PySB_SC_NS1_21upper_bound_search_opENS8_6detail16wrapped_functionINS0_4lessIvEEbEEEE10hipError_tPvRmT1_T2_T3_mmT4_T5_P12ihipStream_tbEUlRKyE_EESL_SP_SQ_mSR_SU_bEUlT_E_NS1_11comp_targetILNS1_3genE3ELNS1_11target_archE908ELNS1_3gpuE7ELNS1_3repE0EEENS1_30default_config_static_selectorELNS0_4arch9wavefront6targetE1EEEvSO_,"axG",@progbits,_ZN7rocprim17ROCPRIM_400000_NS6detail17trampoline_kernelINS0_14default_configENS1_27upper_bound_config_selectorIylEEZNS1_14transform_implILb0ES3_S5_N6thrust23THRUST_200600_302600_NS17counting_iteratorIyNS8_11use_defaultESA_SA_EEPlZNS1_13binary_searchIS3_S5_PySB_SC_NS1_21upper_bound_search_opENS8_6detail16wrapped_functionINS0_4lessIvEEbEEEE10hipError_tPvRmT1_T2_T3_mmT4_T5_P12ihipStream_tbEUlRKyE_EESL_SP_SQ_mSR_SU_bEUlT_E_NS1_11comp_targetILNS1_3genE3ELNS1_11target_archE908ELNS1_3gpuE7ELNS1_3repE0EEENS1_30default_config_static_selectorELNS0_4arch9wavefront6targetE1EEEvSO_,comdat
.Lfunc_end112:
	.size	_ZN7rocprim17ROCPRIM_400000_NS6detail17trampoline_kernelINS0_14default_configENS1_27upper_bound_config_selectorIylEEZNS1_14transform_implILb0ES3_S5_N6thrust23THRUST_200600_302600_NS17counting_iteratorIyNS8_11use_defaultESA_SA_EEPlZNS1_13binary_searchIS3_S5_PySB_SC_NS1_21upper_bound_search_opENS8_6detail16wrapped_functionINS0_4lessIvEEbEEEE10hipError_tPvRmT1_T2_T3_mmT4_T5_P12ihipStream_tbEUlRKyE_EESL_SP_SQ_mSR_SU_bEUlT_E_NS1_11comp_targetILNS1_3genE3ELNS1_11target_archE908ELNS1_3gpuE7ELNS1_3repE0EEENS1_30default_config_static_selectorELNS0_4arch9wavefront6targetE1EEEvSO_, .Lfunc_end112-_ZN7rocprim17ROCPRIM_400000_NS6detail17trampoline_kernelINS0_14default_configENS1_27upper_bound_config_selectorIylEEZNS1_14transform_implILb0ES3_S5_N6thrust23THRUST_200600_302600_NS17counting_iteratorIyNS8_11use_defaultESA_SA_EEPlZNS1_13binary_searchIS3_S5_PySB_SC_NS1_21upper_bound_search_opENS8_6detail16wrapped_functionINS0_4lessIvEEbEEEE10hipError_tPvRmT1_T2_T3_mmT4_T5_P12ihipStream_tbEUlRKyE_EESL_SP_SQ_mSR_SU_bEUlT_E_NS1_11comp_targetILNS1_3genE3ELNS1_11target_archE908ELNS1_3gpuE7ELNS1_3repE0EEENS1_30default_config_static_selectorELNS0_4arch9wavefront6targetE1EEEvSO_
                                        ; -- End function
	.section	.AMDGPU.csdata,"",@progbits
; Kernel info:
; codeLenInByte = 0
; NumSgprs: 4
; NumVgprs: 0
; NumAgprs: 0
; TotalNumVgprs: 0
; ScratchSize: 0
; MemoryBound: 0
; FloatMode: 240
; IeeeMode: 1
; LDSByteSize: 0 bytes/workgroup (compile time only)
; SGPRBlocks: 0
; VGPRBlocks: 0
; NumSGPRsForWavesPerEU: 4
; NumVGPRsForWavesPerEU: 1
; AccumOffset: 4
; Occupancy: 8
; WaveLimiterHint : 0
; COMPUTE_PGM_RSRC2:SCRATCH_EN: 0
; COMPUTE_PGM_RSRC2:USER_SGPR: 6
; COMPUTE_PGM_RSRC2:TRAP_HANDLER: 0
; COMPUTE_PGM_RSRC2:TGID_X_EN: 1
; COMPUTE_PGM_RSRC2:TGID_Y_EN: 0
; COMPUTE_PGM_RSRC2:TGID_Z_EN: 0
; COMPUTE_PGM_RSRC2:TIDIG_COMP_CNT: 0
; COMPUTE_PGM_RSRC3_GFX90A:ACCUM_OFFSET: 0
; COMPUTE_PGM_RSRC3_GFX90A:TG_SPLIT: 0
	.section	.text._ZN7rocprim17ROCPRIM_400000_NS6detail17trampoline_kernelINS0_14default_configENS1_27upper_bound_config_selectorIylEEZNS1_14transform_implILb0ES3_S5_N6thrust23THRUST_200600_302600_NS17counting_iteratorIyNS8_11use_defaultESA_SA_EEPlZNS1_13binary_searchIS3_S5_PySB_SC_NS1_21upper_bound_search_opENS8_6detail16wrapped_functionINS0_4lessIvEEbEEEE10hipError_tPvRmT1_T2_T3_mmT4_T5_P12ihipStream_tbEUlRKyE_EESL_SP_SQ_mSR_SU_bEUlT_E_NS1_11comp_targetILNS1_3genE2ELNS1_11target_archE906ELNS1_3gpuE6ELNS1_3repE0EEENS1_30default_config_static_selectorELNS0_4arch9wavefront6targetE1EEEvSO_,"axG",@progbits,_ZN7rocprim17ROCPRIM_400000_NS6detail17trampoline_kernelINS0_14default_configENS1_27upper_bound_config_selectorIylEEZNS1_14transform_implILb0ES3_S5_N6thrust23THRUST_200600_302600_NS17counting_iteratorIyNS8_11use_defaultESA_SA_EEPlZNS1_13binary_searchIS3_S5_PySB_SC_NS1_21upper_bound_search_opENS8_6detail16wrapped_functionINS0_4lessIvEEbEEEE10hipError_tPvRmT1_T2_T3_mmT4_T5_P12ihipStream_tbEUlRKyE_EESL_SP_SQ_mSR_SU_bEUlT_E_NS1_11comp_targetILNS1_3genE2ELNS1_11target_archE906ELNS1_3gpuE6ELNS1_3repE0EEENS1_30default_config_static_selectorELNS0_4arch9wavefront6targetE1EEEvSO_,comdat
	.protected	_ZN7rocprim17ROCPRIM_400000_NS6detail17trampoline_kernelINS0_14default_configENS1_27upper_bound_config_selectorIylEEZNS1_14transform_implILb0ES3_S5_N6thrust23THRUST_200600_302600_NS17counting_iteratorIyNS8_11use_defaultESA_SA_EEPlZNS1_13binary_searchIS3_S5_PySB_SC_NS1_21upper_bound_search_opENS8_6detail16wrapped_functionINS0_4lessIvEEbEEEE10hipError_tPvRmT1_T2_T3_mmT4_T5_P12ihipStream_tbEUlRKyE_EESL_SP_SQ_mSR_SU_bEUlT_E_NS1_11comp_targetILNS1_3genE2ELNS1_11target_archE906ELNS1_3gpuE6ELNS1_3repE0EEENS1_30default_config_static_selectorELNS0_4arch9wavefront6targetE1EEEvSO_ ; -- Begin function _ZN7rocprim17ROCPRIM_400000_NS6detail17trampoline_kernelINS0_14default_configENS1_27upper_bound_config_selectorIylEEZNS1_14transform_implILb0ES3_S5_N6thrust23THRUST_200600_302600_NS17counting_iteratorIyNS8_11use_defaultESA_SA_EEPlZNS1_13binary_searchIS3_S5_PySB_SC_NS1_21upper_bound_search_opENS8_6detail16wrapped_functionINS0_4lessIvEEbEEEE10hipError_tPvRmT1_T2_T3_mmT4_T5_P12ihipStream_tbEUlRKyE_EESL_SP_SQ_mSR_SU_bEUlT_E_NS1_11comp_targetILNS1_3genE2ELNS1_11target_archE906ELNS1_3gpuE6ELNS1_3repE0EEENS1_30default_config_static_selectorELNS0_4arch9wavefront6targetE1EEEvSO_
	.globl	_ZN7rocprim17ROCPRIM_400000_NS6detail17trampoline_kernelINS0_14default_configENS1_27upper_bound_config_selectorIylEEZNS1_14transform_implILb0ES3_S5_N6thrust23THRUST_200600_302600_NS17counting_iteratorIyNS8_11use_defaultESA_SA_EEPlZNS1_13binary_searchIS3_S5_PySB_SC_NS1_21upper_bound_search_opENS8_6detail16wrapped_functionINS0_4lessIvEEbEEEE10hipError_tPvRmT1_T2_T3_mmT4_T5_P12ihipStream_tbEUlRKyE_EESL_SP_SQ_mSR_SU_bEUlT_E_NS1_11comp_targetILNS1_3genE2ELNS1_11target_archE906ELNS1_3gpuE6ELNS1_3repE0EEENS1_30default_config_static_selectorELNS0_4arch9wavefront6targetE1EEEvSO_
	.p2align	8
	.type	_ZN7rocprim17ROCPRIM_400000_NS6detail17trampoline_kernelINS0_14default_configENS1_27upper_bound_config_selectorIylEEZNS1_14transform_implILb0ES3_S5_N6thrust23THRUST_200600_302600_NS17counting_iteratorIyNS8_11use_defaultESA_SA_EEPlZNS1_13binary_searchIS3_S5_PySB_SC_NS1_21upper_bound_search_opENS8_6detail16wrapped_functionINS0_4lessIvEEbEEEE10hipError_tPvRmT1_T2_T3_mmT4_T5_P12ihipStream_tbEUlRKyE_EESL_SP_SQ_mSR_SU_bEUlT_E_NS1_11comp_targetILNS1_3genE2ELNS1_11target_archE906ELNS1_3gpuE6ELNS1_3repE0EEENS1_30default_config_static_selectorELNS0_4arch9wavefront6targetE1EEEvSO_,@function
_ZN7rocprim17ROCPRIM_400000_NS6detail17trampoline_kernelINS0_14default_configENS1_27upper_bound_config_selectorIylEEZNS1_14transform_implILb0ES3_S5_N6thrust23THRUST_200600_302600_NS17counting_iteratorIyNS8_11use_defaultESA_SA_EEPlZNS1_13binary_searchIS3_S5_PySB_SC_NS1_21upper_bound_search_opENS8_6detail16wrapped_functionINS0_4lessIvEEbEEEE10hipError_tPvRmT1_T2_T3_mmT4_T5_P12ihipStream_tbEUlRKyE_EESL_SP_SQ_mSR_SU_bEUlT_E_NS1_11comp_targetILNS1_3genE2ELNS1_11target_archE906ELNS1_3gpuE6ELNS1_3repE0EEENS1_30default_config_static_selectorELNS0_4arch9wavefront6targetE1EEEvSO_: ; @_ZN7rocprim17ROCPRIM_400000_NS6detail17trampoline_kernelINS0_14default_configENS1_27upper_bound_config_selectorIylEEZNS1_14transform_implILb0ES3_S5_N6thrust23THRUST_200600_302600_NS17counting_iteratorIyNS8_11use_defaultESA_SA_EEPlZNS1_13binary_searchIS3_S5_PySB_SC_NS1_21upper_bound_search_opENS8_6detail16wrapped_functionINS0_4lessIvEEbEEEE10hipError_tPvRmT1_T2_T3_mmT4_T5_P12ihipStream_tbEUlRKyE_EESL_SP_SQ_mSR_SU_bEUlT_E_NS1_11comp_targetILNS1_3genE2ELNS1_11target_archE906ELNS1_3gpuE6ELNS1_3repE0EEENS1_30default_config_static_selectorELNS0_4arch9wavefront6targetE1EEEvSO_
; %bb.0:
	.section	.rodata,"a",@progbits
	.p2align	6, 0x0
	.amdhsa_kernel _ZN7rocprim17ROCPRIM_400000_NS6detail17trampoline_kernelINS0_14default_configENS1_27upper_bound_config_selectorIylEEZNS1_14transform_implILb0ES3_S5_N6thrust23THRUST_200600_302600_NS17counting_iteratorIyNS8_11use_defaultESA_SA_EEPlZNS1_13binary_searchIS3_S5_PySB_SC_NS1_21upper_bound_search_opENS8_6detail16wrapped_functionINS0_4lessIvEEbEEEE10hipError_tPvRmT1_T2_T3_mmT4_T5_P12ihipStream_tbEUlRKyE_EESL_SP_SQ_mSR_SU_bEUlT_E_NS1_11comp_targetILNS1_3genE2ELNS1_11target_archE906ELNS1_3gpuE6ELNS1_3repE0EEENS1_30default_config_static_selectorELNS0_4arch9wavefront6targetE1EEEvSO_
		.amdhsa_group_segment_fixed_size 0
		.amdhsa_private_segment_fixed_size 0
		.amdhsa_kernarg_size 56
		.amdhsa_user_sgpr_count 6
		.amdhsa_user_sgpr_private_segment_buffer 1
		.amdhsa_user_sgpr_dispatch_ptr 0
		.amdhsa_user_sgpr_queue_ptr 0
		.amdhsa_user_sgpr_kernarg_segment_ptr 1
		.amdhsa_user_sgpr_dispatch_id 0
		.amdhsa_user_sgpr_flat_scratch_init 0
		.amdhsa_user_sgpr_kernarg_preload_length 0
		.amdhsa_user_sgpr_kernarg_preload_offset 0
		.amdhsa_user_sgpr_private_segment_size 0
		.amdhsa_uses_dynamic_stack 0
		.amdhsa_system_sgpr_private_segment_wavefront_offset 0
		.amdhsa_system_sgpr_workgroup_id_x 1
		.amdhsa_system_sgpr_workgroup_id_y 0
		.amdhsa_system_sgpr_workgroup_id_z 0
		.amdhsa_system_sgpr_workgroup_info 0
		.amdhsa_system_vgpr_workitem_id 0
		.amdhsa_next_free_vgpr 1
		.amdhsa_next_free_sgpr 0
		.amdhsa_accum_offset 4
		.amdhsa_reserve_vcc 0
		.amdhsa_reserve_flat_scratch 0
		.amdhsa_float_round_mode_32 0
		.amdhsa_float_round_mode_16_64 0
		.amdhsa_float_denorm_mode_32 3
		.amdhsa_float_denorm_mode_16_64 3
		.amdhsa_dx10_clamp 1
		.amdhsa_ieee_mode 1
		.amdhsa_fp16_overflow 0
		.amdhsa_tg_split 0
		.amdhsa_exception_fp_ieee_invalid_op 0
		.amdhsa_exception_fp_denorm_src 0
		.amdhsa_exception_fp_ieee_div_zero 0
		.amdhsa_exception_fp_ieee_overflow 0
		.amdhsa_exception_fp_ieee_underflow 0
		.amdhsa_exception_fp_ieee_inexact 0
		.amdhsa_exception_int_div_zero 0
	.end_amdhsa_kernel
	.section	.text._ZN7rocprim17ROCPRIM_400000_NS6detail17trampoline_kernelINS0_14default_configENS1_27upper_bound_config_selectorIylEEZNS1_14transform_implILb0ES3_S5_N6thrust23THRUST_200600_302600_NS17counting_iteratorIyNS8_11use_defaultESA_SA_EEPlZNS1_13binary_searchIS3_S5_PySB_SC_NS1_21upper_bound_search_opENS8_6detail16wrapped_functionINS0_4lessIvEEbEEEE10hipError_tPvRmT1_T2_T3_mmT4_T5_P12ihipStream_tbEUlRKyE_EESL_SP_SQ_mSR_SU_bEUlT_E_NS1_11comp_targetILNS1_3genE2ELNS1_11target_archE906ELNS1_3gpuE6ELNS1_3repE0EEENS1_30default_config_static_selectorELNS0_4arch9wavefront6targetE1EEEvSO_,"axG",@progbits,_ZN7rocprim17ROCPRIM_400000_NS6detail17trampoline_kernelINS0_14default_configENS1_27upper_bound_config_selectorIylEEZNS1_14transform_implILb0ES3_S5_N6thrust23THRUST_200600_302600_NS17counting_iteratorIyNS8_11use_defaultESA_SA_EEPlZNS1_13binary_searchIS3_S5_PySB_SC_NS1_21upper_bound_search_opENS8_6detail16wrapped_functionINS0_4lessIvEEbEEEE10hipError_tPvRmT1_T2_T3_mmT4_T5_P12ihipStream_tbEUlRKyE_EESL_SP_SQ_mSR_SU_bEUlT_E_NS1_11comp_targetILNS1_3genE2ELNS1_11target_archE906ELNS1_3gpuE6ELNS1_3repE0EEENS1_30default_config_static_selectorELNS0_4arch9wavefront6targetE1EEEvSO_,comdat
.Lfunc_end113:
	.size	_ZN7rocprim17ROCPRIM_400000_NS6detail17trampoline_kernelINS0_14default_configENS1_27upper_bound_config_selectorIylEEZNS1_14transform_implILb0ES3_S5_N6thrust23THRUST_200600_302600_NS17counting_iteratorIyNS8_11use_defaultESA_SA_EEPlZNS1_13binary_searchIS3_S5_PySB_SC_NS1_21upper_bound_search_opENS8_6detail16wrapped_functionINS0_4lessIvEEbEEEE10hipError_tPvRmT1_T2_T3_mmT4_T5_P12ihipStream_tbEUlRKyE_EESL_SP_SQ_mSR_SU_bEUlT_E_NS1_11comp_targetILNS1_3genE2ELNS1_11target_archE906ELNS1_3gpuE6ELNS1_3repE0EEENS1_30default_config_static_selectorELNS0_4arch9wavefront6targetE1EEEvSO_, .Lfunc_end113-_ZN7rocprim17ROCPRIM_400000_NS6detail17trampoline_kernelINS0_14default_configENS1_27upper_bound_config_selectorIylEEZNS1_14transform_implILb0ES3_S5_N6thrust23THRUST_200600_302600_NS17counting_iteratorIyNS8_11use_defaultESA_SA_EEPlZNS1_13binary_searchIS3_S5_PySB_SC_NS1_21upper_bound_search_opENS8_6detail16wrapped_functionINS0_4lessIvEEbEEEE10hipError_tPvRmT1_T2_T3_mmT4_T5_P12ihipStream_tbEUlRKyE_EESL_SP_SQ_mSR_SU_bEUlT_E_NS1_11comp_targetILNS1_3genE2ELNS1_11target_archE906ELNS1_3gpuE6ELNS1_3repE0EEENS1_30default_config_static_selectorELNS0_4arch9wavefront6targetE1EEEvSO_
                                        ; -- End function
	.section	.AMDGPU.csdata,"",@progbits
; Kernel info:
; codeLenInByte = 0
; NumSgprs: 4
; NumVgprs: 0
; NumAgprs: 0
; TotalNumVgprs: 0
; ScratchSize: 0
; MemoryBound: 0
; FloatMode: 240
; IeeeMode: 1
; LDSByteSize: 0 bytes/workgroup (compile time only)
; SGPRBlocks: 0
; VGPRBlocks: 0
; NumSGPRsForWavesPerEU: 4
; NumVGPRsForWavesPerEU: 1
; AccumOffset: 4
; Occupancy: 8
; WaveLimiterHint : 0
; COMPUTE_PGM_RSRC2:SCRATCH_EN: 0
; COMPUTE_PGM_RSRC2:USER_SGPR: 6
; COMPUTE_PGM_RSRC2:TRAP_HANDLER: 0
; COMPUTE_PGM_RSRC2:TGID_X_EN: 1
; COMPUTE_PGM_RSRC2:TGID_Y_EN: 0
; COMPUTE_PGM_RSRC2:TGID_Z_EN: 0
; COMPUTE_PGM_RSRC2:TIDIG_COMP_CNT: 0
; COMPUTE_PGM_RSRC3_GFX90A:ACCUM_OFFSET: 0
; COMPUTE_PGM_RSRC3_GFX90A:TG_SPLIT: 0
	.section	.text._ZN7rocprim17ROCPRIM_400000_NS6detail17trampoline_kernelINS0_14default_configENS1_27upper_bound_config_selectorIylEEZNS1_14transform_implILb0ES3_S5_N6thrust23THRUST_200600_302600_NS17counting_iteratorIyNS8_11use_defaultESA_SA_EEPlZNS1_13binary_searchIS3_S5_PySB_SC_NS1_21upper_bound_search_opENS8_6detail16wrapped_functionINS0_4lessIvEEbEEEE10hipError_tPvRmT1_T2_T3_mmT4_T5_P12ihipStream_tbEUlRKyE_EESL_SP_SQ_mSR_SU_bEUlT_E_NS1_11comp_targetILNS1_3genE10ELNS1_11target_archE1201ELNS1_3gpuE5ELNS1_3repE0EEENS1_30default_config_static_selectorELNS0_4arch9wavefront6targetE1EEEvSO_,"axG",@progbits,_ZN7rocprim17ROCPRIM_400000_NS6detail17trampoline_kernelINS0_14default_configENS1_27upper_bound_config_selectorIylEEZNS1_14transform_implILb0ES3_S5_N6thrust23THRUST_200600_302600_NS17counting_iteratorIyNS8_11use_defaultESA_SA_EEPlZNS1_13binary_searchIS3_S5_PySB_SC_NS1_21upper_bound_search_opENS8_6detail16wrapped_functionINS0_4lessIvEEbEEEE10hipError_tPvRmT1_T2_T3_mmT4_T5_P12ihipStream_tbEUlRKyE_EESL_SP_SQ_mSR_SU_bEUlT_E_NS1_11comp_targetILNS1_3genE10ELNS1_11target_archE1201ELNS1_3gpuE5ELNS1_3repE0EEENS1_30default_config_static_selectorELNS0_4arch9wavefront6targetE1EEEvSO_,comdat
	.protected	_ZN7rocprim17ROCPRIM_400000_NS6detail17trampoline_kernelINS0_14default_configENS1_27upper_bound_config_selectorIylEEZNS1_14transform_implILb0ES3_S5_N6thrust23THRUST_200600_302600_NS17counting_iteratorIyNS8_11use_defaultESA_SA_EEPlZNS1_13binary_searchIS3_S5_PySB_SC_NS1_21upper_bound_search_opENS8_6detail16wrapped_functionINS0_4lessIvEEbEEEE10hipError_tPvRmT1_T2_T3_mmT4_T5_P12ihipStream_tbEUlRKyE_EESL_SP_SQ_mSR_SU_bEUlT_E_NS1_11comp_targetILNS1_3genE10ELNS1_11target_archE1201ELNS1_3gpuE5ELNS1_3repE0EEENS1_30default_config_static_selectorELNS0_4arch9wavefront6targetE1EEEvSO_ ; -- Begin function _ZN7rocprim17ROCPRIM_400000_NS6detail17trampoline_kernelINS0_14default_configENS1_27upper_bound_config_selectorIylEEZNS1_14transform_implILb0ES3_S5_N6thrust23THRUST_200600_302600_NS17counting_iteratorIyNS8_11use_defaultESA_SA_EEPlZNS1_13binary_searchIS3_S5_PySB_SC_NS1_21upper_bound_search_opENS8_6detail16wrapped_functionINS0_4lessIvEEbEEEE10hipError_tPvRmT1_T2_T3_mmT4_T5_P12ihipStream_tbEUlRKyE_EESL_SP_SQ_mSR_SU_bEUlT_E_NS1_11comp_targetILNS1_3genE10ELNS1_11target_archE1201ELNS1_3gpuE5ELNS1_3repE0EEENS1_30default_config_static_selectorELNS0_4arch9wavefront6targetE1EEEvSO_
	.globl	_ZN7rocprim17ROCPRIM_400000_NS6detail17trampoline_kernelINS0_14default_configENS1_27upper_bound_config_selectorIylEEZNS1_14transform_implILb0ES3_S5_N6thrust23THRUST_200600_302600_NS17counting_iteratorIyNS8_11use_defaultESA_SA_EEPlZNS1_13binary_searchIS3_S5_PySB_SC_NS1_21upper_bound_search_opENS8_6detail16wrapped_functionINS0_4lessIvEEbEEEE10hipError_tPvRmT1_T2_T3_mmT4_T5_P12ihipStream_tbEUlRKyE_EESL_SP_SQ_mSR_SU_bEUlT_E_NS1_11comp_targetILNS1_3genE10ELNS1_11target_archE1201ELNS1_3gpuE5ELNS1_3repE0EEENS1_30default_config_static_selectorELNS0_4arch9wavefront6targetE1EEEvSO_
	.p2align	8
	.type	_ZN7rocprim17ROCPRIM_400000_NS6detail17trampoline_kernelINS0_14default_configENS1_27upper_bound_config_selectorIylEEZNS1_14transform_implILb0ES3_S5_N6thrust23THRUST_200600_302600_NS17counting_iteratorIyNS8_11use_defaultESA_SA_EEPlZNS1_13binary_searchIS3_S5_PySB_SC_NS1_21upper_bound_search_opENS8_6detail16wrapped_functionINS0_4lessIvEEbEEEE10hipError_tPvRmT1_T2_T3_mmT4_T5_P12ihipStream_tbEUlRKyE_EESL_SP_SQ_mSR_SU_bEUlT_E_NS1_11comp_targetILNS1_3genE10ELNS1_11target_archE1201ELNS1_3gpuE5ELNS1_3repE0EEENS1_30default_config_static_selectorELNS0_4arch9wavefront6targetE1EEEvSO_,@function
_ZN7rocprim17ROCPRIM_400000_NS6detail17trampoline_kernelINS0_14default_configENS1_27upper_bound_config_selectorIylEEZNS1_14transform_implILb0ES3_S5_N6thrust23THRUST_200600_302600_NS17counting_iteratorIyNS8_11use_defaultESA_SA_EEPlZNS1_13binary_searchIS3_S5_PySB_SC_NS1_21upper_bound_search_opENS8_6detail16wrapped_functionINS0_4lessIvEEbEEEE10hipError_tPvRmT1_T2_T3_mmT4_T5_P12ihipStream_tbEUlRKyE_EESL_SP_SQ_mSR_SU_bEUlT_E_NS1_11comp_targetILNS1_3genE10ELNS1_11target_archE1201ELNS1_3gpuE5ELNS1_3repE0EEENS1_30default_config_static_selectorELNS0_4arch9wavefront6targetE1EEEvSO_: ; @_ZN7rocprim17ROCPRIM_400000_NS6detail17trampoline_kernelINS0_14default_configENS1_27upper_bound_config_selectorIylEEZNS1_14transform_implILb0ES3_S5_N6thrust23THRUST_200600_302600_NS17counting_iteratorIyNS8_11use_defaultESA_SA_EEPlZNS1_13binary_searchIS3_S5_PySB_SC_NS1_21upper_bound_search_opENS8_6detail16wrapped_functionINS0_4lessIvEEbEEEE10hipError_tPvRmT1_T2_T3_mmT4_T5_P12ihipStream_tbEUlRKyE_EESL_SP_SQ_mSR_SU_bEUlT_E_NS1_11comp_targetILNS1_3genE10ELNS1_11target_archE1201ELNS1_3gpuE5ELNS1_3repE0EEENS1_30default_config_static_selectorELNS0_4arch9wavefront6targetE1EEEvSO_
; %bb.0:
	.section	.rodata,"a",@progbits
	.p2align	6, 0x0
	.amdhsa_kernel _ZN7rocprim17ROCPRIM_400000_NS6detail17trampoline_kernelINS0_14default_configENS1_27upper_bound_config_selectorIylEEZNS1_14transform_implILb0ES3_S5_N6thrust23THRUST_200600_302600_NS17counting_iteratorIyNS8_11use_defaultESA_SA_EEPlZNS1_13binary_searchIS3_S5_PySB_SC_NS1_21upper_bound_search_opENS8_6detail16wrapped_functionINS0_4lessIvEEbEEEE10hipError_tPvRmT1_T2_T3_mmT4_T5_P12ihipStream_tbEUlRKyE_EESL_SP_SQ_mSR_SU_bEUlT_E_NS1_11comp_targetILNS1_3genE10ELNS1_11target_archE1201ELNS1_3gpuE5ELNS1_3repE0EEENS1_30default_config_static_selectorELNS0_4arch9wavefront6targetE1EEEvSO_
		.amdhsa_group_segment_fixed_size 0
		.amdhsa_private_segment_fixed_size 0
		.amdhsa_kernarg_size 56
		.amdhsa_user_sgpr_count 6
		.amdhsa_user_sgpr_private_segment_buffer 1
		.amdhsa_user_sgpr_dispatch_ptr 0
		.amdhsa_user_sgpr_queue_ptr 0
		.amdhsa_user_sgpr_kernarg_segment_ptr 1
		.amdhsa_user_sgpr_dispatch_id 0
		.amdhsa_user_sgpr_flat_scratch_init 0
		.amdhsa_user_sgpr_kernarg_preload_length 0
		.amdhsa_user_sgpr_kernarg_preload_offset 0
		.amdhsa_user_sgpr_private_segment_size 0
		.amdhsa_uses_dynamic_stack 0
		.amdhsa_system_sgpr_private_segment_wavefront_offset 0
		.amdhsa_system_sgpr_workgroup_id_x 1
		.amdhsa_system_sgpr_workgroup_id_y 0
		.amdhsa_system_sgpr_workgroup_id_z 0
		.amdhsa_system_sgpr_workgroup_info 0
		.amdhsa_system_vgpr_workitem_id 0
		.amdhsa_next_free_vgpr 1
		.amdhsa_next_free_sgpr 0
		.amdhsa_accum_offset 4
		.amdhsa_reserve_vcc 0
		.amdhsa_reserve_flat_scratch 0
		.amdhsa_float_round_mode_32 0
		.amdhsa_float_round_mode_16_64 0
		.amdhsa_float_denorm_mode_32 3
		.amdhsa_float_denorm_mode_16_64 3
		.amdhsa_dx10_clamp 1
		.amdhsa_ieee_mode 1
		.amdhsa_fp16_overflow 0
		.amdhsa_tg_split 0
		.amdhsa_exception_fp_ieee_invalid_op 0
		.amdhsa_exception_fp_denorm_src 0
		.amdhsa_exception_fp_ieee_div_zero 0
		.amdhsa_exception_fp_ieee_overflow 0
		.amdhsa_exception_fp_ieee_underflow 0
		.amdhsa_exception_fp_ieee_inexact 0
		.amdhsa_exception_int_div_zero 0
	.end_amdhsa_kernel
	.section	.text._ZN7rocprim17ROCPRIM_400000_NS6detail17trampoline_kernelINS0_14default_configENS1_27upper_bound_config_selectorIylEEZNS1_14transform_implILb0ES3_S5_N6thrust23THRUST_200600_302600_NS17counting_iteratorIyNS8_11use_defaultESA_SA_EEPlZNS1_13binary_searchIS3_S5_PySB_SC_NS1_21upper_bound_search_opENS8_6detail16wrapped_functionINS0_4lessIvEEbEEEE10hipError_tPvRmT1_T2_T3_mmT4_T5_P12ihipStream_tbEUlRKyE_EESL_SP_SQ_mSR_SU_bEUlT_E_NS1_11comp_targetILNS1_3genE10ELNS1_11target_archE1201ELNS1_3gpuE5ELNS1_3repE0EEENS1_30default_config_static_selectorELNS0_4arch9wavefront6targetE1EEEvSO_,"axG",@progbits,_ZN7rocprim17ROCPRIM_400000_NS6detail17trampoline_kernelINS0_14default_configENS1_27upper_bound_config_selectorIylEEZNS1_14transform_implILb0ES3_S5_N6thrust23THRUST_200600_302600_NS17counting_iteratorIyNS8_11use_defaultESA_SA_EEPlZNS1_13binary_searchIS3_S5_PySB_SC_NS1_21upper_bound_search_opENS8_6detail16wrapped_functionINS0_4lessIvEEbEEEE10hipError_tPvRmT1_T2_T3_mmT4_T5_P12ihipStream_tbEUlRKyE_EESL_SP_SQ_mSR_SU_bEUlT_E_NS1_11comp_targetILNS1_3genE10ELNS1_11target_archE1201ELNS1_3gpuE5ELNS1_3repE0EEENS1_30default_config_static_selectorELNS0_4arch9wavefront6targetE1EEEvSO_,comdat
.Lfunc_end114:
	.size	_ZN7rocprim17ROCPRIM_400000_NS6detail17trampoline_kernelINS0_14default_configENS1_27upper_bound_config_selectorIylEEZNS1_14transform_implILb0ES3_S5_N6thrust23THRUST_200600_302600_NS17counting_iteratorIyNS8_11use_defaultESA_SA_EEPlZNS1_13binary_searchIS3_S5_PySB_SC_NS1_21upper_bound_search_opENS8_6detail16wrapped_functionINS0_4lessIvEEbEEEE10hipError_tPvRmT1_T2_T3_mmT4_T5_P12ihipStream_tbEUlRKyE_EESL_SP_SQ_mSR_SU_bEUlT_E_NS1_11comp_targetILNS1_3genE10ELNS1_11target_archE1201ELNS1_3gpuE5ELNS1_3repE0EEENS1_30default_config_static_selectorELNS0_4arch9wavefront6targetE1EEEvSO_, .Lfunc_end114-_ZN7rocprim17ROCPRIM_400000_NS6detail17trampoline_kernelINS0_14default_configENS1_27upper_bound_config_selectorIylEEZNS1_14transform_implILb0ES3_S5_N6thrust23THRUST_200600_302600_NS17counting_iteratorIyNS8_11use_defaultESA_SA_EEPlZNS1_13binary_searchIS3_S5_PySB_SC_NS1_21upper_bound_search_opENS8_6detail16wrapped_functionINS0_4lessIvEEbEEEE10hipError_tPvRmT1_T2_T3_mmT4_T5_P12ihipStream_tbEUlRKyE_EESL_SP_SQ_mSR_SU_bEUlT_E_NS1_11comp_targetILNS1_3genE10ELNS1_11target_archE1201ELNS1_3gpuE5ELNS1_3repE0EEENS1_30default_config_static_selectorELNS0_4arch9wavefront6targetE1EEEvSO_
                                        ; -- End function
	.section	.AMDGPU.csdata,"",@progbits
; Kernel info:
; codeLenInByte = 0
; NumSgprs: 4
; NumVgprs: 0
; NumAgprs: 0
; TotalNumVgprs: 0
; ScratchSize: 0
; MemoryBound: 0
; FloatMode: 240
; IeeeMode: 1
; LDSByteSize: 0 bytes/workgroup (compile time only)
; SGPRBlocks: 0
; VGPRBlocks: 0
; NumSGPRsForWavesPerEU: 4
; NumVGPRsForWavesPerEU: 1
; AccumOffset: 4
; Occupancy: 8
; WaveLimiterHint : 0
; COMPUTE_PGM_RSRC2:SCRATCH_EN: 0
; COMPUTE_PGM_RSRC2:USER_SGPR: 6
; COMPUTE_PGM_RSRC2:TRAP_HANDLER: 0
; COMPUTE_PGM_RSRC2:TGID_X_EN: 1
; COMPUTE_PGM_RSRC2:TGID_Y_EN: 0
; COMPUTE_PGM_RSRC2:TGID_Z_EN: 0
; COMPUTE_PGM_RSRC2:TIDIG_COMP_CNT: 0
; COMPUTE_PGM_RSRC3_GFX90A:ACCUM_OFFSET: 0
; COMPUTE_PGM_RSRC3_GFX90A:TG_SPLIT: 0
	.section	.text._ZN7rocprim17ROCPRIM_400000_NS6detail17trampoline_kernelINS0_14default_configENS1_27upper_bound_config_selectorIylEEZNS1_14transform_implILb0ES3_S5_N6thrust23THRUST_200600_302600_NS17counting_iteratorIyNS8_11use_defaultESA_SA_EEPlZNS1_13binary_searchIS3_S5_PySB_SC_NS1_21upper_bound_search_opENS8_6detail16wrapped_functionINS0_4lessIvEEbEEEE10hipError_tPvRmT1_T2_T3_mmT4_T5_P12ihipStream_tbEUlRKyE_EESL_SP_SQ_mSR_SU_bEUlT_E_NS1_11comp_targetILNS1_3genE10ELNS1_11target_archE1200ELNS1_3gpuE4ELNS1_3repE0EEENS1_30default_config_static_selectorELNS0_4arch9wavefront6targetE1EEEvSO_,"axG",@progbits,_ZN7rocprim17ROCPRIM_400000_NS6detail17trampoline_kernelINS0_14default_configENS1_27upper_bound_config_selectorIylEEZNS1_14transform_implILb0ES3_S5_N6thrust23THRUST_200600_302600_NS17counting_iteratorIyNS8_11use_defaultESA_SA_EEPlZNS1_13binary_searchIS3_S5_PySB_SC_NS1_21upper_bound_search_opENS8_6detail16wrapped_functionINS0_4lessIvEEbEEEE10hipError_tPvRmT1_T2_T3_mmT4_T5_P12ihipStream_tbEUlRKyE_EESL_SP_SQ_mSR_SU_bEUlT_E_NS1_11comp_targetILNS1_3genE10ELNS1_11target_archE1200ELNS1_3gpuE4ELNS1_3repE0EEENS1_30default_config_static_selectorELNS0_4arch9wavefront6targetE1EEEvSO_,comdat
	.protected	_ZN7rocprim17ROCPRIM_400000_NS6detail17trampoline_kernelINS0_14default_configENS1_27upper_bound_config_selectorIylEEZNS1_14transform_implILb0ES3_S5_N6thrust23THRUST_200600_302600_NS17counting_iteratorIyNS8_11use_defaultESA_SA_EEPlZNS1_13binary_searchIS3_S5_PySB_SC_NS1_21upper_bound_search_opENS8_6detail16wrapped_functionINS0_4lessIvEEbEEEE10hipError_tPvRmT1_T2_T3_mmT4_T5_P12ihipStream_tbEUlRKyE_EESL_SP_SQ_mSR_SU_bEUlT_E_NS1_11comp_targetILNS1_3genE10ELNS1_11target_archE1200ELNS1_3gpuE4ELNS1_3repE0EEENS1_30default_config_static_selectorELNS0_4arch9wavefront6targetE1EEEvSO_ ; -- Begin function _ZN7rocprim17ROCPRIM_400000_NS6detail17trampoline_kernelINS0_14default_configENS1_27upper_bound_config_selectorIylEEZNS1_14transform_implILb0ES3_S5_N6thrust23THRUST_200600_302600_NS17counting_iteratorIyNS8_11use_defaultESA_SA_EEPlZNS1_13binary_searchIS3_S5_PySB_SC_NS1_21upper_bound_search_opENS8_6detail16wrapped_functionINS0_4lessIvEEbEEEE10hipError_tPvRmT1_T2_T3_mmT4_T5_P12ihipStream_tbEUlRKyE_EESL_SP_SQ_mSR_SU_bEUlT_E_NS1_11comp_targetILNS1_3genE10ELNS1_11target_archE1200ELNS1_3gpuE4ELNS1_3repE0EEENS1_30default_config_static_selectorELNS0_4arch9wavefront6targetE1EEEvSO_
	.globl	_ZN7rocprim17ROCPRIM_400000_NS6detail17trampoline_kernelINS0_14default_configENS1_27upper_bound_config_selectorIylEEZNS1_14transform_implILb0ES3_S5_N6thrust23THRUST_200600_302600_NS17counting_iteratorIyNS8_11use_defaultESA_SA_EEPlZNS1_13binary_searchIS3_S5_PySB_SC_NS1_21upper_bound_search_opENS8_6detail16wrapped_functionINS0_4lessIvEEbEEEE10hipError_tPvRmT1_T2_T3_mmT4_T5_P12ihipStream_tbEUlRKyE_EESL_SP_SQ_mSR_SU_bEUlT_E_NS1_11comp_targetILNS1_3genE10ELNS1_11target_archE1200ELNS1_3gpuE4ELNS1_3repE0EEENS1_30default_config_static_selectorELNS0_4arch9wavefront6targetE1EEEvSO_
	.p2align	8
	.type	_ZN7rocprim17ROCPRIM_400000_NS6detail17trampoline_kernelINS0_14default_configENS1_27upper_bound_config_selectorIylEEZNS1_14transform_implILb0ES3_S5_N6thrust23THRUST_200600_302600_NS17counting_iteratorIyNS8_11use_defaultESA_SA_EEPlZNS1_13binary_searchIS3_S5_PySB_SC_NS1_21upper_bound_search_opENS8_6detail16wrapped_functionINS0_4lessIvEEbEEEE10hipError_tPvRmT1_T2_T3_mmT4_T5_P12ihipStream_tbEUlRKyE_EESL_SP_SQ_mSR_SU_bEUlT_E_NS1_11comp_targetILNS1_3genE10ELNS1_11target_archE1200ELNS1_3gpuE4ELNS1_3repE0EEENS1_30default_config_static_selectorELNS0_4arch9wavefront6targetE1EEEvSO_,@function
_ZN7rocprim17ROCPRIM_400000_NS6detail17trampoline_kernelINS0_14default_configENS1_27upper_bound_config_selectorIylEEZNS1_14transform_implILb0ES3_S5_N6thrust23THRUST_200600_302600_NS17counting_iteratorIyNS8_11use_defaultESA_SA_EEPlZNS1_13binary_searchIS3_S5_PySB_SC_NS1_21upper_bound_search_opENS8_6detail16wrapped_functionINS0_4lessIvEEbEEEE10hipError_tPvRmT1_T2_T3_mmT4_T5_P12ihipStream_tbEUlRKyE_EESL_SP_SQ_mSR_SU_bEUlT_E_NS1_11comp_targetILNS1_3genE10ELNS1_11target_archE1200ELNS1_3gpuE4ELNS1_3repE0EEENS1_30default_config_static_selectorELNS0_4arch9wavefront6targetE1EEEvSO_: ; @_ZN7rocprim17ROCPRIM_400000_NS6detail17trampoline_kernelINS0_14default_configENS1_27upper_bound_config_selectorIylEEZNS1_14transform_implILb0ES3_S5_N6thrust23THRUST_200600_302600_NS17counting_iteratorIyNS8_11use_defaultESA_SA_EEPlZNS1_13binary_searchIS3_S5_PySB_SC_NS1_21upper_bound_search_opENS8_6detail16wrapped_functionINS0_4lessIvEEbEEEE10hipError_tPvRmT1_T2_T3_mmT4_T5_P12ihipStream_tbEUlRKyE_EESL_SP_SQ_mSR_SU_bEUlT_E_NS1_11comp_targetILNS1_3genE10ELNS1_11target_archE1200ELNS1_3gpuE4ELNS1_3repE0EEENS1_30default_config_static_selectorELNS0_4arch9wavefront6targetE1EEEvSO_
; %bb.0:
	.section	.rodata,"a",@progbits
	.p2align	6, 0x0
	.amdhsa_kernel _ZN7rocprim17ROCPRIM_400000_NS6detail17trampoline_kernelINS0_14default_configENS1_27upper_bound_config_selectorIylEEZNS1_14transform_implILb0ES3_S5_N6thrust23THRUST_200600_302600_NS17counting_iteratorIyNS8_11use_defaultESA_SA_EEPlZNS1_13binary_searchIS3_S5_PySB_SC_NS1_21upper_bound_search_opENS8_6detail16wrapped_functionINS0_4lessIvEEbEEEE10hipError_tPvRmT1_T2_T3_mmT4_T5_P12ihipStream_tbEUlRKyE_EESL_SP_SQ_mSR_SU_bEUlT_E_NS1_11comp_targetILNS1_3genE10ELNS1_11target_archE1200ELNS1_3gpuE4ELNS1_3repE0EEENS1_30default_config_static_selectorELNS0_4arch9wavefront6targetE1EEEvSO_
		.amdhsa_group_segment_fixed_size 0
		.amdhsa_private_segment_fixed_size 0
		.amdhsa_kernarg_size 56
		.amdhsa_user_sgpr_count 6
		.amdhsa_user_sgpr_private_segment_buffer 1
		.amdhsa_user_sgpr_dispatch_ptr 0
		.amdhsa_user_sgpr_queue_ptr 0
		.amdhsa_user_sgpr_kernarg_segment_ptr 1
		.amdhsa_user_sgpr_dispatch_id 0
		.amdhsa_user_sgpr_flat_scratch_init 0
		.amdhsa_user_sgpr_kernarg_preload_length 0
		.amdhsa_user_sgpr_kernarg_preload_offset 0
		.amdhsa_user_sgpr_private_segment_size 0
		.amdhsa_uses_dynamic_stack 0
		.amdhsa_system_sgpr_private_segment_wavefront_offset 0
		.amdhsa_system_sgpr_workgroup_id_x 1
		.amdhsa_system_sgpr_workgroup_id_y 0
		.amdhsa_system_sgpr_workgroup_id_z 0
		.amdhsa_system_sgpr_workgroup_info 0
		.amdhsa_system_vgpr_workitem_id 0
		.amdhsa_next_free_vgpr 1
		.amdhsa_next_free_sgpr 0
		.amdhsa_accum_offset 4
		.amdhsa_reserve_vcc 0
		.amdhsa_reserve_flat_scratch 0
		.amdhsa_float_round_mode_32 0
		.amdhsa_float_round_mode_16_64 0
		.amdhsa_float_denorm_mode_32 3
		.amdhsa_float_denorm_mode_16_64 3
		.amdhsa_dx10_clamp 1
		.amdhsa_ieee_mode 1
		.amdhsa_fp16_overflow 0
		.amdhsa_tg_split 0
		.amdhsa_exception_fp_ieee_invalid_op 0
		.amdhsa_exception_fp_denorm_src 0
		.amdhsa_exception_fp_ieee_div_zero 0
		.amdhsa_exception_fp_ieee_overflow 0
		.amdhsa_exception_fp_ieee_underflow 0
		.amdhsa_exception_fp_ieee_inexact 0
		.amdhsa_exception_int_div_zero 0
	.end_amdhsa_kernel
	.section	.text._ZN7rocprim17ROCPRIM_400000_NS6detail17trampoline_kernelINS0_14default_configENS1_27upper_bound_config_selectorIylEEZNS1_14transform_implILb0ES3_S5_N6thrust23THRUST_200600_302600_NS17counting_iteratorIyNS8_11use_defaultESA_SA_EEPlZNS1_13binary_searchIS3_S5_PySB_SC_NS1_21upper_bound_search_opENS8_6detail16wrapped_functionINS0_4lessIvEEbEEEE10hipError_tPvRmT1_T2_T3_mmT4_T5_P12ihipStream_tbEUlRKyE_EESL_SP_SQ_mSR_SU_bEUlT_E_NS1_11comp_targetILNS1_3genE10ELNS1_11target_archE1200ELNS1_3gpuE4ELNS1_3repE0EEENS1_30default_config_static_selectorELNS0_4arch9wavefront6targetE1EEEvSO_,"axG",@progbits,_ZN7rocprim17ROCPRIM_400000_NS6detail17trampoline_kernelINS0_14default_configENS1_27upper_bound_config_selectorIylEEZNS1_14transform_implILb0ES3_S5_N6thrust23THRUST_200600_302600_NS17counting_iteratorIyNS8_11use_defaultESA_SA_EEPlZNS1_13binary_searchIS3_S5_PySB_SC_NS1_21upper_bound_search_opENS8_6detail16wrapped_functionINS0_4lessIvEEbEEEE10hipError_tPvRmT1_T2_T3_mmT4_T5_P12ihipStream_tbEUlRKyE_EESL_SP_SQ_mSR_SU_bEUlT_E_NS1_11comp_targetILNS1_3genE10ELNS1_11target_archE1200ELNS1_3gpuE4ELNS1_3repE0EEENS1_30default_config_static_selectorELNS0_4arch9wavefront6targetE1EEEvSO_,comdat
.Lfunc_end115:
	.size	_ZN7rocprim17ROCPRIM_400000_NS6detail17trampoline_kernelINS0_14default_configENS1_27upper_bound_config_selectorIylEEZNS1_14transform_implILb0ES3_S5_N6thrust23THRUST_200600_302600_NS17counting_iteratorIyNS8_11use_defaultESA_SA_EEPlZNS1_13binary_searchIS3_S5_PySB_SC_NS1_21upper_bound_search_opENS8_6detail16wrapped_functionINS0_4lessIvEEbEEEE10hipError_tPvRmT1_T2_T3_mmT4_T5_P12ihipStream_tbEUlRKyE_EESL_SP_SQ_mSR_SU_bEUlT_E_NS1_11comp_targetILNS1_3genE10ELNS1_11target_archE1200ELNS1_3gpuE4ELNS1_3repE0EEENS1_30default_config_static_selectorELNS0_4arch9wavefront6targetE1EEEvSO_, .Lfunc_end115-_ZN7rocprim17ROCPRIM_400000_NS6detail17trampoline_kernelINS0_14default_configENS1_27upper_bound_config_selectorIylEEZNS1_14transform_implILb0ES3_S5_N6thrust23THRUST_200600_302600_NS17counting_iteratorIyNS8_11use_defaultESA_SA_EEPlZNS1_13binary_searchIS3_S5_PySB_SC_NS1_21upper_bound_search_opENS8_6detail16wrapped_functionINS0_4lessIvEEbEEEE10hipError_tPvRmT1_T2_T3_mmT4_T5_P12ihipStream_tbEUlRKyE_EESL_SP_SQ_mSR_SU_bEUlT_E_NS1_11comp_targetILNS1_3genE10ELNS1_11target_archE1200ELNS1_3gpuE4ELNS1_3repE0EEENS1_30default_config_static_selectorELNS0_4arch9wavefront6targetE1EEEvSO_
                                        ; -- End function
	.section	.AMDGPU.csdata,"",@progbits
; Kernel info:
; codeLenInByte = 0
; NumSgprs: 4
; NumVgprs: 0
; NumAgprs: 0
; TotalNumVgprs: 0
; ScratchSize: 0
; MemoryBound: 0
; FloatMode: 240
; IeeeMode: 1
; LDSByteSize: 0 bytes/workgroup (compile time only)
; SGPRBlocks: 0
; VGPRBlocks: 0
; NumSGPRsForWavesPerEU: 4
; NumVGPRsForWavesPerEU: 1
; AccumOffset: 4
; Occupancy: 8
; WaveLimiterHint : 0
; COMPUTE_PGM_RSRC2:SCRATCH_EN: 0
; COMPUTE_PGM_RSRC2:USER_SGPR: 6
; COMPUTE_PGM_RSRC2:TRAP_HANDLER: 0
; COMPUTE_PGM_RSRC2:TGID_X_EN: 1
; COMPUTE_PGM_RSRC2:TGID_Y_EN: 0
; COMPUTE_PGM_RSRC2:TGID_Z_EN: 0
; COMPUTE_PGM_RSRC2:TIDIG_COMP_CNT: 0
; COMPUTE_PGM_RSRC3_GFX90A:ACCUM_OFFSET: 0
; COMPUTE_PGM_RSRC3_GFX90A:TG_SPLIT: 0
	.section	.text._ZN7rocprim17ROCPRIM_400000_NS6detail17trampoline_kernelINS0_14default_configENS1_27upper_bound_config_selectorIylEEZNS1_14transform_implILb0ES3_S5_N6thrust23THRUST_200600_302600_NS17counting_iteratorIyNS8_11use_defaultESA_SA_EEPlZNS1_13binary_searchIS3_S5_PySB_SC_NS1_21upper_bound_search_opENS8_6detail16wrapped_functionINS0_4lessIvEEbEEEE10hipError_tPvRmT1_T2_T3_mmT4_T5_P12ihipStream_tbEUlRKyE_EESL_SP_SQ_mSR_SU_bEUlT_E_NS1_11comp_targetILNS1_3genE9ELNS1_11target_archE1100ELNS1_3gpuE3ELNS1_3repE0EEENS1_30default_config_static_selectorELNS0_4arch9wavefront6targetE1EEEvSO_,"axG",@progbits,_ZN7rocprim17ROCPRIM_400000_NS6detail17trampoline_kernelINS0_14default_configENS1_27upper_bound_config_selectorIylEEZNS1_14transform_implILb0ES3_S5_N6thrust23THRUST_200600_302600_NS17counting_iteratorIyNS8_11use_defaultESA_SA_EEPlZNS1_13binary_searchIS3_S5_PySB_SC_NS1_21upper_bound_search_opENS8_6detail16wrapped_functionINS0_4lessIvEEbEEEE10hipError_tPvRmT1_T2_T3_mmT4_T5_P12ihipStream_tbEUlRKyE_EESL_SP_SQ_mSR_SU_bEUlT_E_NS1_11comp_targetILNS1_3genE9ELNS1_11target_archE1100ELNS1_3gpuE3ELNS1_3repE0EEENS1_30default_config_static_selectorELNS0_4arch9wavefront6targetE1EEEvSO_,comdat
	.protected	_ZN7rocprim17ROCPRIM_400000_NS6detail17trampoline_kernelINS0_14default_configENS1_27upper_bound_config_selectorIylEEZNS1_14transform_implILb0ES3_S5_N6thrust23THRUST_200600_302600_NS17counting_iteratorIyNS8_11use_defaultESA_SA_EEPlZNS1_13binary_searchIS3_S5_PySB_SC_NS1_21upper_bound_search_opENS8_6detail16wrapped_functionINS0_4lessIvEEbEEEE10hipError_tPvRmT1_T2_T3_mmT4_T5_P12ihipStream_tbEUlRKyE_EESL_SP_SQ_mSR_SU_bEUlT_E_NS1_11comp_targetILNS1_3genE9ELNS1_11target_archE1100ELNS1_3gpuE3ELNS1_3repE0EEENS1_30default_config_static_selectorELNS0_4arch9wavefront6targetE1EEEvSO_ ; -- Begin function _ZN7rocprim17ROCPRIM_400000_NS6detail17trampoline_kernelINS0_14default_configENS1_27upper_bound_config_selectorIylEEZNS1_14transform_implILb0ES3_S5_N6thrust23THRUST_200600_302600_NS17counting_iteratorIyNS8_11use_defaultESA_SA_EEPlZNS1_13binary_searchIS3_S5_PySB_SC_NS1_21upper_bound_search_opENS8_6detail16wrapped_functionINS0_4lessIvEEbEEEE10hipError_tPvRmT1_T2_T3_mmT4_T5_P12ihipStream_tbEUlRKyE_EESL_SP_SQ_mSR_SU_bEUlT_E_NS1_11comp_targetILNS1_3genE9ELNS1_11target_archE1100ELNS1_3gpuE3ELNS1_3repE0EEENS1_30default_config_static_selectorELNS0_4arch9wavefront6targetE1EEEvSO_
	.globl	_ZN7rocprim17ROCPRIM_400000_NS6detail17trampoline_kernelINS0_14default_configENS1_27upper_bound_config_selectorIylEEZNS1_14transform_implILb0ES3_S5_N6thrust23THRUST_200600_302600_NS17counting_iteratorIyNS8_11use_defaultESA_SA_EEPlZNS1_13binary_searchIS3_S5_PySB_SC_NS1_21upper_bound_search_opENS8_6detail16wrapped_functionINS0_4lessIvEEbEEEE10hipError_tPvRmT1_T2_T3_mmT4_T5_P12ihipStream_tbEUlRKyE_EESL_SP_SQ_mSR_SU_bEUlT_E_NS1_11comp_targetILNS1_3genE9ELNS1_11target_archE1100ELNS1_3gpuE3ELNS1_3repE0EEENS1_30default_config_static_selectorELNS0_4arch9wavefront6targetE1EEEvSO_
	.p2align	8
	.type	_ZN7rocprim17ROCPRIM_400000_NS6detail17trampoline_kernelINS0_14default_configENS1_27upper_bound_config_selectorIylEEZNS1_14transform_implILb0ES3_S5_N6thrust23THRUST_200600_302600_NS17counting_iteratorIyNS8_11use_defaultESA_SA_EEPlZNS1_13binary_searchIS3_S5_PySB_SC_NS1_21upper_bound_search_opENS8_6detail16wrapped_functionINS0_4lessIvEEbEEEE10hipError_tPvRmT1_T2_T3_mmT4_T5_P12ihipStream_tbEUlRKyE_EESL_SP_SQ_mSR_SU_bEUlT_E_NS1_11comp_targetILNS1_3genE9ELNS1_11target_archE1100ELNS1_3gpuE3ELNS1_3repE0EEENS1_30default_config_static_selectorELNS0_4arch9wavefront6targetE1EEEvSO_,@function
_ZN7rocprim17ROCPRIM_400000_NS6detail17trampoline_kernelINS0_14default_configENS1_27upper_bound_config_selectorIylEEZNS1_14transform_implILb0ES3_S5_N6thrust23THRUST_200600_302600_NS17counting_iteratorIyNS8_11use_defaultESA_SA_EEPlZNS1_13binary_searchIS3_S5_PySB_SC_NS1_21upper_bound_search_opENS8_6detail16wrapped_functionINS0_4lessIvEEbEEEE10hipError_tPvRmT1_T2_T3_mmT4_T5_P12ihipStream_tbEUlRKyE_EESL_SP_SQ_mSR_SU_bEUlT_E_NS1_11comp_targetILNS1_3genE9ELNS1_11target_archE1100ELNS1_3gpuE3ELNS1_3repE0EEENS1_30default_config_static_selectorELNS0_4arch9wavefront6targetE1EEEvSO_: ; @_ZN7rocprim17ROCPRIM_400000_NS6detail17trampoline_kernelINS0_14default_configENS1_27upper_bound_config_selectorIylEEZNS1_14transform_implILb0ES3_S5_N6thrust23THRUST_200600_302600_NS17counting_iteratorIyNS8_11use_defaultESA_SA_EEPlZNS1_13binary_searchIS3_S5_PySB_SC_NS1_21upper_bound_search_opENS8_6detail16wrapped_functionINS0_4lessIvEEbEEEE10hipError_tPvRmT1_T2_T3_mmT4_T5_P12ihipStream_tbEUlRKyE_EESL_SP_SQ_mSR_SU_bEUlT_E_NS1_11comp_targetILNS1_3genE9ELNS1_11target_archE1100ELNS1_3gpuE3ELNS1_3repE0EEENS1_30default_config_static_selectorELNS0_4arch9wavefront6targetE1EEEvSO_
; %bb.0:
	.section	.rodata,"a",@progbits
	.p2align	6, 0x0
	.amdhsa_kernel _ZN7rocprim17ROCPRIM_400000_NS6detail17trampoline_kernelINS0_14default_configENS1_27upper_bound_config_selectorIylEEZNS1_14transform_implILb0ES3_S5_N6thrust23THRUST_200600_302600_NS17counting_iteratorIyNS8_11use_defaultESA_SA_EEPlZNS1_13binary_searchIS3_S5_PySB_SC_NS1_21upper_bound_search_opENS8_6detail16wrapped_functionINS0_4lessIvEEbEEEE10hipError_tPvRmT1_T2_T3_mmT4_T5_P12ihipStream_tbEUlRKyE_EESL_SP_SQ_mSR_SU_bEUlT_E_NS1_11comp_targetILNS1_3genE9ELNS1_11target_archE1100ELNS1_3gpuE3ELNS1_3repE0EEENS1_30default_config_static_selectorELNS0_4arch9wavefront6targetE1EEEvSO_
		.amdhsa_group_segment_fixed_size 0
		.amdhsa_private_segment_fixed_size 0
		.amdhsa_kernarg_size 56
		.amdhsa_user_sgpr_count 6
		.amdhsa_user_sgpr_private_segment_buffer 1
		.amdhsa_user_sgpr_dispatch_ptr 0
		.amdhsa_user_sgpr_queue_ptr 0
		.amdhsa_user_sgpr_kernarg_segment_ptr 1
		.amdhsa_user_sgpr_dispatch_id 0
		.amdhsa_user_sgpr_flat_scratch_init 0
		.amdhsa_user_sgpr_kernarg_preload_length 0
		.amdhsa_user_sgpr_kernarg_preload_offset 0
		.amdhsa_user_sgpr_private_segment_size 0
		.amdhsa_uses_dynamic_stack 0
		.amdhsa_system_sgpr_private_segment_wavefront_offset 0
		.amdhsa_system_sgpr_workgroup_id_x 1
		.amdhsa_system_sgpr_workgroup_id_y 0
		.amdhsa_system_sgpr_workgroup_id_z 0
		.amdhsa_system_sgpr_workgroup_info 0
		.amdhsa_system_vgpr_workitem_id 0
		.amdhsa_next_free_vgpr 1
		.amdhsa_next_free_sgpr 0
		.amdhsa_accum_offset 4
		.amdhsa_reserve_vcc 0
		.amdhsa_reserve_flat_scratch 0
		.amdhsa_float_round_mode_32 0
		.amdhsa_float_round_mode_16_64 0
		.amdhsa_float_denorm_mode_32 3
		.amdhsa_float_denorm_mode_16_64 3
		.amdhsa_dx10_clamp 1
		.amdhsa_ieee_mode 1
		.amdhsa_fp16_overflow 0
		.amdhsa_tg_split 0
		.amdhsa_exception_fp_ieee_invalid_op 0
		.amdhsa_exception_fp_denorm_src 0
		.amdhsa_exception_fp_ieee_div_zero 0
		.amdhsa_exception_fp_ieee_overflow 0
		.amdhsa_exception_fp_ieee_underflow 0
		.amdhsa_exception_fp_ieee_inexact 0
		.amdhsa_exception_int_div_zero 0
	.end_amdhsa_kernel
	.section	.text._ZN7rocprim17ROCPRIM_400000_NS6detail17trampoline_kernelINS0_14default_configENS1_27upper_bound_config_selectorIylEEZNS1_14transform_implILb0ES3_S5_N6thrust23THRUST_200600_302600_NS17counting_iteratorIyNS8_11use_defaultESA_SA_EEPlZNS1_13binary_searchIS3_S5_PySB_SC_NS1_21upper_bound_search_opENS8_6detail16wrapped_functionINS0_4lessIvEEbEEEE10hipError_tPvRmT1_T2_T3_mmT4_T5_P12ihipStream_tbEUlRKyE_EESL_SP_SQ_mSR_SU_bEUlT_E_NS1_11comp_targetILNS1_3genE9ELNS1_11target_archE1100ELNS1_3gpuE3ELNS1_3repE0EEENS1_30default_config_static_selectorELNS0_4arch9wavefront6targetE1EEEvSO_,"axG",@progbits,_ZN7rocprim17ROCPRIM_400000_NS6detail17trampoline_kernelINS0_14default_configENS1_27upper_bound_config_selectorIylEEZNS1_14transform_implILb0ES3_S5_N6thrust23THRUST_200600_302600_NS17counting_iteratorIyNS8_11use_defaultESA_SA_EEPlZNS1_13binary_searchIS3_S5_PySB_SC_NS1_21upper_bound_search_opENS8_6detail16wrapped_functionINS0_4lessIvEEbEEEE10hipError_tPvRmT1_T2_T3_mmT4_T5_P12ihipStream_tbEUlRKyE_EESL_SP_SQ_mSR_SU_bEUlT_E_NS1_11comp_targetILNS1_3genE9ELNS1_11target_archE1100ELNS1_3gpuE3ELNS1_3repE0EEENS1_30default_config_static_selectorELNS0_4arch9wavefront6targetE1EEEvSO_,comdat
.Lfunc_end116:
	.size	_ZN7rocprim17ROCPRIM_400000_NS6detail17trampoline_kernelINS0_14default_configENS1_27upper_bound_config_selectorIylEEZNS1_14transform_implILb0ES3_S5_N6thrust23THRUST_200600_302600_NS17counting_iteratorIyNS8_11use_defaultESA_SA_EEPlZNS1_13binary_searchIS3_S5_PySB_SC_NS1_21upper_bound_search_opENS8_6detail16wrapped_functionINS0_4lessIvEEbEEEE10hipError_tPvRmT1_T2_T3_mmT4_T5_P12ihipStream_tbEUlRKyE_EESL_SP_SQ_mSR_SU_bEUlT_E_NS1_11comp_targetILNS1_3genE9ELNS1_11target_archE1100ELNS1_3gpuE3ELNS1_3repE0EEENS1_30default_config_static_selectorELNS0_4arch9wavefront6targetE1EEEvSO_, .Lfunc_end116-_ZN7rocprim17ROCPRIM_400000_NS6detail17trampoline_kernelINS0_14default_configENS1_27upper_bound_config_selectorIylEEZNS1_14transform_implILb0ES3_S5_N6thrust23THRUST_200600_302600_NS17counting_iteratorIyNS8_11use_defaultESA_SA_EEPlZNS1_13binary_searchIS3_S5_PySB_SC_NS1_21upper_bound_search_opENS8_6detail16wrapped_functionINS0_4lessIvEEbEEEE10hipError_tPvRmT1_T2_T3_mmT4_T5_P12ihipStream_tbEUlRKyE_EESL_SP_SQ_mSR_SU_bEUlT_E_NS1_11comp_targetILNS1_3genE9ELNS1_11target_archE1100ELNS1_3gpuE3ELNS1_3repE0EEENS1_30default_config_static_selectorELNS0_4arch9wavefront6targetE1EEEvSO_
                                        ; -- End function
	.section	.AMDGPU.csdata,"",@progbits
; Kernel info:
; codeLenInByte = 0
; NumSgprs: 4
; NumVgprs: 0
; NumAgprs: 0
; TotalNumVgprs: 0
; ScratchSize: 0
; MemoryBound: 0
; FloatMode: 240
; IeeeMode: 1
; LDSByteSize: 0 bytes/workgroup (compile time only)
; SGPRBlocks: 0
; VGPRBlocks: 0
; NumSGPRsForWavesPerEU: 4
; NumVGPRsForWavesPerEU: 1
; AccumOffset: 4
; Occupancy: 8
; WaveLimiterHint : 0
; COMPUTE_PGM_RSRC2:SCRATCH_EN: 0
; COMPUTE_PGM_RSRC2:USER_SGPR: 6
; COMPUTE_PGM_RSRC2:TRAP_HANDLER: 0
; COMPUTE_PGM_RSRC2:TGID_X_EN: 1
; COMPUTE_PGM_RSRC2:TGID_Y_EN: 0
; COMPUTE_PGM_RSRC2:TGID_Z_EN: 0
; COMPUTE_PGM_RSRC2:TIDIG_COMP_CNT: 0
; COMPUTE_PGM_RSRC3_GFX90A:ACCUM_OFFSET: 0
; COMPUTE_PGM_RSRC3_GFX90A:TG_SPLIT: 0
	.section	.text._ZN7rocprim17ROCPRIM_400000_NS6detail17trampoline_kernelINS0_14default_configENS1_27upper_bound_config_selectorIylEEZNS1_14transform_implILb0ES3_S5_N6thrust23THRUST_200600_302600_NS17counting_iteratorIyNS8_11use_defaultESA_SA_EEPlZNS1_13binary_searchIS3_S5_PySB_SC_NS1_21upper_bound_search_opENS8_6detail16wrapped_functionINS0_4lessIvEEbEEEE10hipError_tPvRmT1_T2_T3_mmT4_T5_P12ihipStream_tbEUlRKyE_EESL_SP_SQ_mSR_SU_bEUlT_E_NS1_11comp_targetILNS1_3genE8ELNS1_11target_archE1030ELNS1_3gpuE2ELNS1_3repE0EEENS1_30default_config_static_selectorELNS0_4arch9wavefront6targetE1EEEvSO_,"axG",@progbits,_ZN7rocprim17ROCPRIM_400000_NS6detail17trampoline_kernelINS0_14default_configENS1_27upper_bound_config_selectorIylEEZNS1_14transform_implILb0ES3_S5_N6thrust23THRUST_200600_302600_NS17counting_iteratorIyNS8_11use_defaultESA_SA_EEPlZNS1_13binary_searchIS3_S5_PySB_SC_NS1_21upper_bound_search_opENS8_6detail16wrapped_functionINS0_4lessIvEEbEEEE10hipError_tPvRmT1_T2_T3_mmT4_T5_P12ihipStream_tbEUlRKyE_EESL_SP_SQ_mSR_SU_bEUlT_E_NS1_11comp_targetILNS1_3genE8ELNS1_11target_archE1030ELNS1_3gpuE2ELNS1_3repE0EEENS1_30default_config_static_selectorELNS0_4arch9wavefront6targetE1EEEvSO_,comdat
	.protected	_ZN7rocprim17ROCPRIM_400000_NS6detail17trampoline_kernelINS0_14default_configENS1_27upper_bound_config_selectorIylEEZNS1_14transform_implILb0ES3_S5_N6thrust23THRUST_200600_302600_NS17counting_iteratorIyNS8_11use_defaultESA_SA_EEPlZNS1_13binary_searchIS3_S5_PySB_SC_NS1_21upper_bound_search_opENS8_6detail16wrapped_functionINS0_4lessIvEEbEEEE10hipError_tPvRmT1_T2_T3_mmT4_T5_P12ihipStream_tbEUlRKyE_EESL_SP_SQ_mSR_SU_bEUlT_E_NS1_11comp_targetILNS1_3genE8ELNS1_11target_archE1030ELNS1_3gpuE2ELNS1_3repE0EEENS1_30default_config_static_selectorELNS0_4arch9wavefront6targetE1EEEvSO_ ; -- Begin function _ZN7rocprim17ROCPRIM_400000_NS6detail17trampoline_kernelINS0_14default_configENS1_27upper_bound_config_selectorIylEEZNS1_14transform_implILb0ES3_S5_N6thrust23THRUST_200600_302600_NS17counting_iteratorIyNS8_11use_defaultESA_SA_EEPlZNS1_13binary_searchIS3_S5_PySB_SC_NS1_21upper_bound_search_opENS8_6detail16wrapped_functionINS0_4lessIvEEbEEEE10hipError_tPvRmT1_T2_T3_mmT4_T5_P12ihipStream_tbEUlRKyE_EESL_SP_SQ_mSR_SU_bEUlT_E_NS1_11comp_targetILNS1_3genE8ELNS1_11target_archE1030ELNS1_3gpuE2ELNS1_3repE0EEENS1_30default_config_static_selectorELNS0_4arch9wavefront6targetE1EEEvSO_
	.globl	_ZN7rocprim17ROCPRIM_400000_NS6detail17trampoline_kernelINS0_14default_configENS1_27upper_bound_config_selectorIylEEZNS1_14transform_implILb0ES3_S5_N6thrust23THRUST_200600_302600_NS17counting_iteratorIyNS8_11use_defaultESA_SA_EEPlZNS1_13binary_searchIS3_S5_PySB_SC_NS1_21upper_bound_search_opENS8_6detail16wrapped_functionINS0_4lessIvEEbEEEE10hipError_tPvRmT1_T2_T3_mmT4_T5_P12ihipStream_tbEUlRKyE_EESL_SP_SQ_mSR_SU_bEUlT_E_NS1_11comp_targetILNS1_3genE8ELNS1_11target_archE1030ELNS1_3gpuE2ELNS1_3repE0EEENS1_30default_config_static_selectorELNS0_4arch9wavefront6targetE1EEEvSO_
	.p2align	8
	.type	_ZN7rocprim17ROCPRIM_400000_NS6detail17trampoline_kernelINS0_14default_configENS1_27upper_bound_config_selectorIylEEZNS1_14transform_implILb0ES3_S5_N6thrust23THRUST_200600_302600_NS17counting_iteratorIyNS8_11use_defaultESA_SA_EEPlZNS1_13binary_searchIS3_S5_PySB_SC_NS1_21upper_bound_search_opENS8_6detail16wrapped_functionINS0_4lessIvEEbEEEE10hipError_tPvRmT1_T2_T3_mmT4_T5_P12ihipStream_tbEUlRKyE_EESL_SP_SQ_mSR_SU_bEUlT_E_NS1_11comp_targetILNS1_3genE8ELNS1_11target_archE1030ELNS1_3gpuE2ELNS1_3repE0EEENS1_30default_config_static_selectorELNS0_4arch9wavefront6targetE1EEEvSO_,@function
_ZN7rocprim17ROCPRIM_400000_NS6detail17trampoline_kernelINS0_14default_configENS1_27upper_bound_config_selectorIylEEZNS1_14transform_implILb0ES3_S5_N6thrust23THRUST_200600_302600_NS17counting_iteratorIyNS8_11use_defaultESA_SA_EEPlZNS1_13binary_searchIS3_S5_PySB_SC_NS1_21upper_bound_search_opENS8_6detail16wrapped_functionINS0_4lessIvEEbEEEE10hipError_tPvRmT1_T2_T3_mmT4_T5_P12ihipStream_tbEUlRKyE_EESL_SP_SQ_mSR_SU_bEUlT_E_NS1_11comp_targetILNS1_3genE8ELNS1_11target_archE1030ELNS1_3gpuE2ELNS1_3repE0EEENS1_30default_config_static_selectorELNS0_4arch9wavefront6targetE1EEEvSO_: ; @_ZN7rocprim17ROCPRIM_400000_NS6detail17trampoline_kernelINS0_14default_configENS1_27upper_bound_config_selectorIylEEZNS1_14transform_implILb0ES3_S5_N6thrust23THRUST_200600_302600_NS17counting_iteratorIyNS8_11use_defaultESA_SA_EEPlZNS1_13binary_searchIS3_S5_PySB_SC_NS1_21upper_bound_search_opENS8_6detail16wrapped_functionINS0_4lessIvEEbEEEE10hipError_tPvRmT1_T2_T3_mmT4_T5_P12ihipStream_tbEUlRKyE_EESL_SP_SQ_mSR_SU_bEUlT_E_NS1_11comp_targetILNS1_3genE8ELNS1_11target_archE1030ELNS1_3gpuE2ELNS1_3repE0EEENS1_30default_config_static_selectorELNS0_4arch9wavefront6targetE1EEEvSO_
; %bb.0:
	.section	.rodata,"a",@progbits
	.p2align	6, 0x0
	.amdhsa_kernel _ZN7rocprim17ROCPRIM_400000_NS6detail17trampoline_kernelINS0_14default_configENS1_27upper_bound_config_selectorIylEEZNS1_14transform_implILb0ES3_S5_N6thrust23THRUST_200600_302600_NS17counting_iteratorIyNS8_11use_defaultESA_SA_EEPlZNS1_13binary_searchIS3_S5_PySB_SC_NS1_21upper_bound_search_opENS8_6detail16wrapped_functionINS0_4lessIvEEbEEEE10hipError_tPvRmT1_T2_T3_mmT4_T5_P12ihipStream_tbEUlRKyE_EESL_SP_SQ_mSR_SU_bEUlT_E_NS1_11comp_targetILNS1_3genE8ELNS1_11target_archE1030ELNS1_3gpuE2ELNS1_3repE0EEENS1_30default_config_static_selectorELNS0_4arch9wavefront6targetE1EEEvSO_
		.amdhsa_group_segment_fixed_size 0
		.amdhsa_private_segment_fixed_size 0
		.amdhsa_kernarg_size 56
		.amdhsa_user_sgpr_count 6
		.amdhsa_user_sgpr_private_segment_buffer 1
		.amdhsa_user_sgpr_dispatch_ptr 0
		.amdhsa_user_sgpr_queue_ptr 0
		.amdhsa_user_sgpr_kernarg_segment_ptr 1
		.amdhsa_user_sgpr_dispatch_id 0
		.amdhsa_user_sgpr_flat_scratch_init 0
		.amdhsa_user_sgpr_kernarg_preload_length 0
		.amdhsa_user_sgpr_kernarg_preload_offset 0
		.amdhsa_user_sgpr_private_segment_size 0
		.amdhsa_uses_dynamic_stack 0
		.amdhsa_system_sgpr_private_segment_wavefront_offset 0
		.amdhsa_system_sgpr_workgroup_id_x 1
		.amdhsa_system_sgpr_workgroup_id_y 0
		.amdhsa_system_sgpr_workgroup_id_z 0
		.amdhsa_system_sgpr_workgroup_info 0
		.amdhsa_system_vgpr_workitem_id 0
		.amdhsa_next_free_vgpr 1
		.amdhsa_next_free_sgpr 0
		.amdhsa_accum_offset 4
		.amdhsa_reserve_vcc 0
		.amdhsa_reserve_flat_scratch 0
		.amdhsa_float_round_mode_32 0
		.amdhsa_float_round_mode_16_64 0
		.amdhsa_float_denorm_mode_32 3
		.amdhsa_float_denorm_mode_16_64 3
		.amdhsa_dx10_clamp 1
		.amdhsa_ieee_mode 1
		.amdhsa_fp16_overflow 0
		.amdhsa_tg_split 0
		.amdhsa_exception_fp_ieee_invalid_op 0
		.amdhsa_exception_fp_denorm_src 0
		.amdhsa_exception_fp_ieee_div_zero 0
		.amdhsa_exception_fp_ieee_overflow 0
		.amdhsa_exception_fp_ieee_underflow 0
		.amdhsa_exception_fp_ieee_inexact 0
		.amdhsa_exception_int_div_zero 0
	.end_amdhsa_kernel
	.section	.text._ZN7rocprim17ROCPRIM_400000_NS6detail17trampoline_kernelINS0_14default_configENS1_27upper_bound_config_selectorIylEEZNS1_14transform_implILb0ES3_S5_N6thrust23THRUST_200600_302600_NS17counting_iteratorIyNS8_11use_defaultESA_SA_EEPlZNS1_13binary_searchIS3_S5_PySB_SC_NS1_21upper_bound_search_opENS8_6detail16wrapped_functionINS0_4lessIvEEbEEEE10hipError_tPvRmT1_T2_T3_mmT4_T5_P12ihipStream_tbEUlRKyE_EESL_SP_SQ_mSR_SU_bEUlT_E_NS1_11comp_targetILNS1_3genE8ELNS1_11target_archE1030ELNS1_3gpuE2ELNS1_3repE0EEENS1_30default_config_static_selectorELNS0_4arch9wavefront6targetE1EEEvSO_,"axG",@progbits,_ZN7rocprim17ROCPRIM_400000_NS6detail17trampoline_kernelINS0_14default_configENS1_27upper_bound_config_selectorIylEEZNS1_14transform_implILb0ES3_S5_N6thrust23THRUST_200600_302600_NS17counting_iteratorIyNS8_11use_defaultESA_SA_EEPlZNS1_13binary_searchIS3_S5_PySB_SC_NS1_21upper_bound_search_opENS8_6detail16wrapped_functionINS0_4lessIvEEbEEEE10hipError_tPvRmT1_T2_T3_mmT4_T5_P12ihipStream_tbEUlRKyE_EESL_SP_SQ_mSR_SU_bEUlT_E_NS1_11comp_targetILNS1_3genE8ELNS1_11target_archE1030ELNS1_3gpuE2ELNS1_3repE0EEENS1_30default_config_static_selectorELNS0_4arch9wavefront6targetE1EEEvSO_,comdat
.Lfunc_end117:
	.size	_ZN7rocprim17ROCPRIM_400000_NS6detail17trampoline_kernelINS0_14default_configENS1_27upper_bound_config_selectorIylEEZNS1_14transform_implILb0ES3_S5_N6thrust23THRUST_200600_302600_NS17counting_iteratorIyNS8_11use_defaultESA_SA_EEPlZNS1_13binary_searchIS3_S5_PySB_SC_NS1_21upper_bound_search_opENS8_6detail16wrapped_functionINS0_4lessIvEEbEEEE10hipError_tPvRmT1_T2_T3_mmT4_T5_P12ihipStream_tbEUlRKyE_EESL_SP_SQ_mSR_SU_bEUlT_E_NS1_11comp_targetILNS1_3genE8ELNS1_11target_archE1030ELNS1_3gpuE2ELNS1_3repE0EEENS1_30default_config_static_selectorELNS0_4arch9wavefront6targetE1EEEvSO_, .Lfunc_end117-_ZN7rocprim17ROCPRIM_400000_NS6detail17trampoline_kernelINS0_14default_configENS1_27upper_bound_config_selectorIylEEZNS1_14transform_implILb0ES3_S5_N6thrust23THRUST_200600_302600_NS17counting_iteratorIyNS8_11use_defaultESA_SA_EEPlZNS1_13binary_searchIS3_S5_PySB_SC_NS1_21upper_bound_search_opENS8_6detail16wrapped_functionINS0_4lessIvEEbEEEE10hipError_tPvRmT1_T2_T3_mmT4_T5_P12ihipStream_tbEUlRKyE_EESL_SP_SQ_mSR_SU_bEUlT_E_NS1_11comp_targetILNS1_3genE8ELNS1_11target_archE1030ELNS1_3gpuE2ELNS1_3repE0EEENS1_30default_config_static_selectorELNS0_4arch9wavefront6targetE1EEEvSO_
                                        ; -- End function
	.section	.AMDGPU.csdata,"",@progbits
; Kernel info:
; codeLenInByte = 0
; NumSgprs: 4
; NumVgprs: 0
; NumAgprs: 0
; TotalNumVgprs: 0
; ScratchSize: 0
; MemoryBound: 0
; FloatMode: 240
; IeeeMode: 1
; LDSByteSize: 0 bytes/workgroup (compile time only)
; SGPRBlocks: 0
; VGPRBlocks: 0
; NumSGPRsForWavesPerEU: 4
; NumVGPRsForWavesPerEU: 1
; AccumOffset: 4
; Occupancy: 8
; WaveLimiterHint : 0
; COMPUTE_PGM_RSRC2:SCRATCH_EN: 0
; COMPUTE_PGM_RSRC2:USER_SGPR: 6
; COMPUTE_PGM_RSRC2:TRAP_HANDLER: 0
; COMPUTE_PGM_RSRC2:TGID_X_EN: 1
; COMPUTE_PGM_RSRC2:TGID_Y_EN: 0
; COMPUTE_PGM_RSRC2:TGID_Z_EN: 0
; COMPUTE_PGM_RSRC2:TIDIG_COMP_CNT: 0
; COMPUTE_PGM_RSRC3_GFX90A:ACCUM_OFFSET: 0
; COMPUTE_PGM_RSRC3_GFX90A:TG_SPLIT: 0
	.section	.text._Z18upper_bound_kernelIjEvmPT_Pl,"axG",@progbits,_Z18upper_bound_kernelIjEvmPT_Pl,comdat
	.protected	_Z18upper_bound_kernelIjEvmPT_Pl ; -- Begin function _Z18upper_bound_kernelIjEvmPT_Pl
	.globl	_Z18upper_bound_kernelIjEvmPT_Pl
	.p2align	8
	.type	_Z18upper_bound_kernelIjEvmPT_Pl,@function
_Z18upper_bound_kernelIjEvmPT_Pl:       ; @_Z18upper_bound_kernelIjEvmPT_Pl
; %bb.0:
	s_load_dwordx4 s[8:11], s[4:5], 0x0
	s_load_dwordx2 s[6:7], s[4:5], 0x10
	s_mov_b64 s[2:3], 0
	s_waitcnt lgkmcnt(0)
	v_cmp_lt_i64_e64 s[0:1], s[8:9], 1
	s_and_b64 s[0:1], exec, s[0:1]
	s_mov_b64 vcc, s[0:1]
	s_cbranch_vccnz .LBB118_3
; %bb.1:
	s_mov_b64 s[4:5], s[8:9]
.LBB118_2:                              ; =>This Inner Loop Header: Depth=1
	s_sub_u32 s12, s4, s2
	s_subb_u32 s13, s5, s3
	s_lshr_b32 s14, s13, 31
	s_add_u32 s12, s12, s14
	s_addc_u32 s13, s13, 0
	s_ashr_i64 s[12:13], s[12:13], 1
	s_add_u32 s12, s12, s2
	s_addc_u32 s13, s13, s3
	s_lshl_b64 s[14:15], s[12:13], 2
	s_add_u32 s14, s10, s14
	s_addc_u32 s15, s11, s15
	s_load_dword s14, s[14:15], 0x0
	s_add_u32 s15, s12, 1
	s_addc_u32 s16, s13, 0
	s_waitcnt lgkmcnt(0)
	s_cmp_eq_u32 s14, 0
	s_cselect_b32 s5, s5, s13
	s_cselect_b32 s4, s4, s12
	;; [unrolled: 1-line block ×4, first 2 shown]
	v_pk_mov_b32 v[0:1], s[4:5], s[4:5] op_sel:[0,1]
	v_cmp_lt_i64_e32 vcc, s[2:3], v[0:1]
	s_cbranch_vccnz .LBB118_2
.LBB118_3:
	v_cmp_gt_i64_e64 s[4:5], s[8:9], 0
	v_cndmask_b32_e64 v3, 0, 1, s[4:5]
	v_mov_b32_e32 v2, 0
	v_pk_mov_b32 v[0:1], s[2:3], s[2:3] op_sel:[0,1]
	v_cmp_ne_u32_e64 s[2:3], 1, v3
	s_andn2_b64 vcc, exec, s[4:5]
	s_mov_b64 s[4:5], 0
	global_store_dwordx2 v2, v[0:1], s[6:7]
	s_cbranch_vccnz .LBB118_6
; %bb.4:
	s_mov_b64 s[12:13], s[8:9]
.LBB118_5:                              ; =>This Inner Loop Header: Depth=1
	s_sub_u32 s14, s12, s4
	s_subb_u32 s15, s13, s5
	s_lshr_b32 s16, s15, 31
	s_add_u32 s14, s14, s16
	s_addc_u32 s15, s15, 0
	s_ashr_i64 s[14:15], s[14:15], 1
	s_add_u32 s14, s14, s4
	s_addc_u32 s15, s15, s5
	s_lshl_b64 s[16:17], s[14:15], 2
	s_add_u32 s16, s10, s16
	s_addc_u32 s17, s11, s17
	s_load_dword s16, s[16:17], 0x0
	s_add_u32 s17, s14, 1
	s_addc_u32 s18, s15, 0
	s_waitcnt lgkmcnt(0)
	s_cmp_gt_u32 s16, 1
	s_cselect_b32 s13, s15, s13
	s_cselect_b32 s12, s14, s12
	;; [unrolled: 1-line block ×4, first 2 shown]
	v_pk_mov_b32 v[0:1], s[12:13], s[12:13] op_sel:[0,1]
	v_cmp_lt_i64_e32 vcc, s[4:5], v[0:1]
	s_cbranch_vccnz .LBB118_5
.LBB118_6:
	v_mov_b32_e32 v2, 0
	v_pk_mov_b32 v[0:1], s[4:5], s[4:5] op_sel:[0,1]
	s_and_b64 vcc, exec, s[2:3]
	s_mov_b64 s[4:5], 0
	global_store_dwordx2 v2, v[0:1], s[6:7] offset:8
	s_cbranch_vccnz .LBB118_9
; %bb.7:
	s_mov_b64 s[12:13], s[8:9]
.LBB118_8:                              ; =>This Inner Loop Header: Depth=1
	s_sub_u32 s14, s12, s4
	s_subb_u32 s15, s13, s5
	s_lshr_b32 s16, s15, 31
	s_add_u32 s14, s14, s16
	s_addc_u32 s15, s15, 0
	s_ashr_i64 s[14:15], s[14:15], 1
	s_add_u32 s14, s14, s4
	s_addc_u32 s15, s15, s5
	s_lshl_b64 s[16:17], s[14:15], 2
	s_add_u32 s16, s10, s16
	s_addc_u32 s17, s11, s17
	s_load_dword s16, s[16:17], 0x0
	s_add_u32 s17, s14, 1
	s_addc_u32 s18, s15, 0
	s_waitcnt lgkmcnt(0)
	s_cmp_gt_u32 s16, 2
	s_cselect_b32 s13, s15, s13
	s_cselect_b32 s12, s14, s12
	;; [unrolled: 1-line block ×4, first 2 shown]
	v_pk_mov_b32 v[0:1], s[12:13], s[12:13] op_sel:[0,1]
	v_cmp_lt_i64_e32 vcc, s[4:5], v[0:1]
	s_cbranch_vccnz .LBB118_8
.LBB118_9:
	v_mov_b32_e32 v2, 0
	v_pk_mov_b32 v[0:1], s[4:5], s[4:5] op_sel:[0,1]
	s_and_b64 vcc, exec, s[2:3]
	s_mov_b64 s[4:5], 0
	global_store_dwordx2 v2, v[0:1], s[6:7] offset:16
	s_cbranch_vccnz .LBB118_12
; %bb.10:
	s_mov_b64 s[12:13], s[8:9]
.LBB118_11:                             ; =>This Inner Loop Header: Depth=1
	s_sub_u32 s14, s12, s4
	s_subb_u32 s15, s13, s5
	s_lshr_b32 s16, s15, 31
	s_add_u32 s14, s14, s16
	s_addc_u32 s15, s15, 0
	s_ashr_i64 s[14:15], s[14:15], 1
	s_add_u32 s14, s14, s4
	s_addc_u32 s15, s15, s5
	s_lshl_b64 s[16:17], s[14:15], 2
	s_add_u32 s16, s10, s16
	s_addc_u32 s17, s11, s17
	s_load_dword s16, s[16:17], 0x0
	s_add_u32 s17, s14, 1
	s_addc_u32 s18, s15, 0
	s_waitcnt lgkmcnt(0)
	s_cmp_gt_u32 s16, 3
	s_cselect_b32 s13, s15, s13
	s_cselect_b32 s12, s14, s12
	s_cselect_b32 s5, s5, s18
	s_cselect_b32 s4, s4, s17
	v_pk_mov_b32 v[0:1], s[12:13], s[12:13] op_sel:[0,1]
	v_cmp_lt_i64_e32 vcc, s[4:5], v[0:1]
	s_cbranch_vccnz .LBB118_11
.LBB118_12:
	v_mov_b32_e32 v2, 0
	v_pk_mov_b32 v[0:1], s[4:5], s[4:5] op_sel:[0,1]
	s_and_b64 vcc, exec, s[2:3]
	s_mov_b64 s[4:5], 0
	global_store_dwordx2 v2, v[0:1], s[6:7] offset:24
	s_cbranch_vccnz .LBB118_15
; %bb.13:
	s_mov_b64 s[12:13], s[8:9]
.LBB118_14:                             ; =>This Inner Loop Header: Depth=1
	s_sub_u32 s14, s12, s4
	s_subb_u32 s15, s13, s5
	s_lshr_b32 s16, s15, 31
	s_add_u32 s14, s14, s16
	s_addc_u32 s15, s15, 0
	s_ashr_i64 s[14:15], s[14:15], 1
	s_add_u32 s14, s14, s4
	s_addc_u32 s15, s15, s5
	s_lshl_b64 s[16:17], s[14:15], 2
	s_add_u32 s16, s10, s16
	s_addc_u32 s17, s11, s17
	s_load_dword s16, s[16:17], 0x0
	s_add_u32 s17, s14, 1
	s_addc_u32 s18, s15, 0
	s_waitcnt lgkmcnt(0)
	s_cmp_gt_u32 s16, 4
	s_cselect_b32 s13, s15, s13
	s_cselect_b32 s12, s14, s12
	s_cselect_b32 s5, s5, s18
	s_cselect_b32 s4, s4, s17
	v_pk_mov_b32 v[0:1], s[12:13], s[12:13] op_sel:[0,1]
	v_cmp_lt_i64_e32 vcc, s[4:5], v[0:1]
	s_cbranch_vccnz .LBB118_14
.LBB118_15:
	;; [unrolled: 33-line block ×5, first 2 shown]
	v_mov_b32_e32 v0, 0
	v_pk_mov_b32 v[2:3], s[2:3], s[2:3] op_sel:[0,1]
	s_mov_b64 vcc, s[0:1]
	global_store_dwordx2 v0, v[2:3], s[6:7] offset:56
	s_cbranch_vccz .LBB118_26
; %bb.25:
	v_mov_b32_e32 v1, v0
	global_store_dwordx2 v0, v[0:1], s[6:7] offset:64
	s_mov_b64 s[0:1], 0
	s_cbranch_execz .LBB118_27
	s_branch .LBB118_31
.LBB118_26:
                                        ; implicit-def: $sgpr0_sgpr1
.LBB118_27:
	s_mov_b64 s[0:1], 0
	s_mov_b64 s[2:3], s[8:9]
.LBB118_28:                             ; =>This Inner Loop Header: Depth=1
	s_sub_u32 s4, s2, s0
	s_subb_u32 s5, s3, s1
	s_lshr_b32 s12, s5, 31
	s_add_u32 s4, s4, s12
	s_addc_u32 s5, s5, 0
	s_ashr_i64 s[4:5], s[4:5], 1
	s_add_u32 s4, s4, s0
	s_addc_u32 s5, s5, s1
	s_lshl_b64 s[12:13], s[4:5], 2
	s_add_u32 s12, s10, s12
	s_addc_u32 s13, s11, s13
	s_load_dword s12, s[12:13], 0x0
	s_add_u32 s13, s4, 1
	s_addc_u32 s14, s5, 0
	s_waitcnt lgkmcnt(0)
	s_cmp_gt_u32 s12, 8
	s_cselect_b32 s3, s5, s3
	s_cselect_b32 s2, s4, s2
	;; [unrolled: 1-line block ×4, first 2 shown]
	v_pk_mov_b32 v[0:1], s[2:3], s[2:3] op_sel:[0,1]
	v_cmp_lt_i64_e32 vcc, s[0:1], v[0:1]
	s_cbranch_vccnz .LBB118_28
; %bb.29:
	v_mov_b32_e32 v2, 0
	v_pk_mov_b32 v[0:1], s[0:1], s[0:1] op_sel:[0,1]
	s_mov_b64 s[0:1], 0
	global_store_dwordx2 v2, v[0:1], s[6:7] offset:64
.LBB118_30:                             ; =>This Inner Loop Header: Depth=1
	s_sub_u32 s2, s8, s0
	s_subb_u32 s3, s9, s1
	s_lshr_b32 s4, s3, 31
	s_add_u32 s2, s2, s4
	s_addc_u32 s3, s3, 0
	s_ashr_i64 s[2:3], s[2:3], 1
	s_add_u32 s2, s2, s0
	s_addc_u32 s3, s3, s1
	s_lshl_b64 s[4:5], s[2:3], 2
	s_add_u32 s4, s10, s4
	s_addc_u32 s5, s11, s5
	s_load_dword s4, s[4:5], 0x0
	s_add_u32 s5, s2, 1
	s_addc_u32 s12, s3, 0
	s_waitcnt lgkmcnt(0)
	s_cmp_gt_u32 s4, 9
	s_cselect_b32 s9, s3, s9
	s_cselect_b32 s8, s2, s8
	;; [unrolled: 1-line block ×4, first 2 shown]
	v_pk_mov_b32 v[0:1], s[8:9], s[8:9] op_sel:[0,1]
	v_cmp_ge_i64_e32 vcc, s[0:1], v[0:1]
	s_cbranch_vccz .LBB118_30
.LBB118_31:
	v_mov_b32_e32 v2, 0
	v_pk_mov_b32 v[0:1], s[0:1], s[0:1] op_sel:[0,1]
	global_store_dwordx2 v2, v[0:1], s[6:7] offset:72
	s_endpgm
	.section	.rodata,"a",@progbits
	.p2align	6, 0x0
	.amdhsa_kernel _Z18upper_bound_kernelIjEvmPT_Pl
		.amdhsa_group_segment_fixed_size 0
		.amdhsa_private_segment_fixed_size 0
		.amdhsa_kernarg_size 24
		.amdhsa_user_sgpr_count 6
		.amdhsa_user_sgpr_private_segment_buffer 1
		.amdhsa_user_sgpr_dispatch_ptr 0
		.amdhsa_user_sgpr_queue_ptr 0
		.amdhsa_user_sgpr_kernarg_segment_ptr 1
		.amdhsa_user_sgpr_dispatch_id 0
		.amdhsa_user_sgpr_flat_scratch_init 0
		.amdhsa_user_sgpr_kernarg_preload_length 0
		.amdhsa_user_sgpr_kernarg_preload_offset 0
		.amdhsa_user_sgpr_private_segment_size 0
		.amdhsa_uses_dynamic_stack 0
		.amdhsa_system_sgpr_private_segment_wavefront_offset 0
		.amdhsa_system_sgpr_workgroup_id_x 1
		.amdhsa_system_sgpr_workgroup_id_y 0
		.amdhsa_system_sgpr_workgroup_id_z 0
		.amdhsa_system_sgpr_workgroup_info 0
		.amdhsa_system_vgpr_workitem_id 0
		.amdhsa_next_free_vgpr 4
		.amdhsa_next_free_sgpr 19
		.amdhsa_accum_offset 4
		.amdhsa_reserve_vcc 1
		.amdhsa_reserve_flat_scratch 0
		.amdhsa_float_round_mode_32 0
		.amdhsa_float_round_mode_16_64 0
		.amdhsa_float_denorm_mode_32 3
		.amdhsa_float_denorm_mode_16_64 3
		.amdhsa_dx10_clamp 1
		.amdhsa_ieee_mode 1
		.amdhsa_fp16_overflow 0
		.amdhsa_tg_split 0
		.amdhsa_exception_fp_ieee_invalid_op 0
		.amdhsa_exception_fp_denorm_src 0
		.amdhsa_exception_fp_ieee_div_zero 0
		.amdhsa_exception_fp_ieee_overflow 0
		.amdhsa_exception_fp_ieee_underflow 0
		.amdhsa_exception_fp_ieee_inexact 0
		.amdhsa_exception_int_div_zero 0
	.end_amdhsa_kernel
	.section	.text._Z18upper_bound_kernelIjEvmPT_Pl,"axG",@progbits,_Z18upper_bound_kernelIjEvmPT_Pl,comdat
.Lfunc_end118:
	.size	_Z18upper_bound_kernelIjEvmPT_Pl, .Lfunc_end118-_Z18upper_bound_kernelIjEvmPT_Pl
                                        ; -- End function
	.section	.AMDGPU.csdata,"",@progbits
; Kernel info:
; codeLenInByte = 1432
; NumSgprs: 23
; NumVgprs: 4
; NumAgprs: 0
; TotalNumVgprs: 4
; ScratchSize: 0
; MemoryBound: 0
; FloatMode: 240
; IeeeMode: 1
; LDSByteSize: 0 bytes/workgroup (compile time only)
; SGPRBlocks: 2
; VGPRBlocks: 0
; NumSGPRsForWavesPerEU: 23
; NumVGPRsForWavesPerEU: 4
; AccumOffset: 4
; Occupancy: 8
; WaveLimiterHint : 0
; COMPUTE_PGM_RSRC2:SCRATCH_EN: 0
; COMPUTE_PGM_RSRC2:USER_SGPR: 6
; COMPUTE_PGM_RSRC2:TRAP_HANDLER: 0
; COMPUTE_PGM_RSRC2:TGID_X_EN: 1
; COMPUTE_PGM_RSRC2:TGID_Y_EN: 0
; COMPUTE_PGM_RSRC2:TGID_Z_EN: 0
; COMPUTE_PGM_RSRC2:TIDIG_COMP_CNT: 0
; COMPUTE_PGM_RSRC3_GFX90A:ACCUM_OFFSET: 0
; COMPUTE_PGM_RSRC3_GFX90A:TG_SPLIT: 0
	.section	.text._ZN7rocprim17ROCPRIM_400000_NS6detail17trampoline_kernelINS0_14default_configENS1_27upper_bound_config_selectorIjlEEZNS1_14transform_implILb0ES3_S5_N6thrust23THRUST_200600_302600_NS17counting_iteratorIjNS8_11use_defaultESA_SA_EEPlZNS1_13binary_searchIS3_S5_PjSB_SC_NS1_21upper_bound_search_opENS8_6detail16wrapped_functionINS0_4lessIvEEbEEEE10hipError_tPvRmT1_T2_T3_mmT4_T5_P12ihipStream_tbEUlRKjE_EESL_SP_SQ_mSR_SU_bEUlT_E_NS1_11comp_targetILNS1_3genE0ELNS1_11target_archE4294967295ELNS1_3gpuE0ELNS1_3repE0EEENS1_30default_config_static_selectorELNS0_4arch9wavefront6targetE1EEEvSO_,"axG",@progbits,_ZN7rocprim17ROCPRIM_400000_NS6detail17trampoline_kernelINS0_14default_configENS1_27upper_bound_config_selectorIjlEEZNS1_14transform_implILb0ES3_S5_N6thrust23THRUST_200600_302600_NS17counting_iteratorIjNS8_11use_defaultESA_SA_EEPlZNS1_13binary_searchIS3_S5_PjSB_SC_NS1_21upper_bound_search_opENS8_6detail16wrapped_functionINS0_4lessIvEEbEEEE10hipError_tPvRmT1_T2_T3_mmT4_T5_P12ihipStream_tbEUlRKjE_EESL_SP_SQ_mSR_SU_bEUlT_E_NS1_11comp_targetILNS1_3genE0ELNS1_11target_archE4294967295ELNS1_3gpuE0ELNS1_3repE0EEENS1_30default_config_static_selectorELNS0_4arch9wavefront6targetE1EEEvSO_,comdat
	.protected	_ZN7rocprim17ROCPRIM_400000_NS6detail17trampoline_kernelINS0_14default_configENS1_27upper_bound_config_selectorIjlEEZNS1_14transform_implILb0ES3_S5_N6thrust23THRUST_200600_302600_NS17counting_iteratorIjNS8_11use_defaultESA_SA_EEPlZNS1_13binary_searchIS3_S5_PjSB_SC_NS1_21upper_bound_search_opENS8_6detail16wrapped_functionINS0_4lessIvEEbEEEE10hipError_tPvRmT1_T2_T3_mmT4_T5_P12ihipStream_tbEUlRKjE_EESL_SP_SQ_mSR_SU_bEUlT_E_NS1_11comp_targetILNS1_3genE0ELNS1_11target_archE4294967295ELNS1_3gpuE0ELNS1_3repE0EEENS1_30default_config_static_selectorELNS0_4arch9wavefront6targetE1EEEvSO_ ; -- Begin function _ZN7rocprim17ROCPRIM_400000_NS6detail17trampoline_kernelINS0_14default_configENS1_27upper_bound_config_selectorIjlEEZNS1_14transform_implILb0ES3_S5_N6thrust23THRUST_200600_302600_NS17counting_iteratorIjNS8_11use_defaultESA_SA_EEPlZNS1_13binary_searchIS3_S5_PjSB_SC_NS1_21upper_bound_search_opENS8_6detail16wrapped_functionINS0_4lessIvEEbEEEE10hipError_tPvRmT1_T2_T3_mmT4_T5_P12ihipStream_tbEUlRKjE_EESL_SP_SQ_mSR_SU_bEUlT_E_NS1_11comp_targetILNS1_3genE0ELNS1_11target_archE4294967295ELNS1_3gpuE0ELNS1_3repE0EEENS1_30default_config_static_selectorELNS0_4arch9wavefront6targetE1EEEvSO_
	.globl	_ZN7rocprim17ROCPRIM_400000_NS6detail17trampoline_kernelINS0_14default_configENS1_27upper_bound_config_selectorIjlEEZNS1_14transform_implILb0ES3_S5_N6thrust23THRUST_200600_302600_NS17counting_iteratorIjNS8_11use_defaultESA_SA_EEPlZNS1_13binary_searchIS3_S5_PjSB_SC_NS1_21upper_bound_search_opENS8_6detail16wrapped_functionINS0_4lessIvEEbEEEE10hipError_tPvRmT1_T2_T3_mmT4_T5_P12ihipStream_tbEUlRKjE_EESL_SP_SQ_mSR_SU_bEUlT_E_NS1_11comp_targetILNS1_3genE0ELNS1_11target_archE4294967295ELNS1_3gpuE0ELNS1_3repE0EEENS1_30default_config_static_selectorELNS0_4arch9wavefront6targetE1EEEvSO_
	.p2align	8
	.type	_ZN7rocprim17ROCPRIM_400000_NS6detail17trampoline_kernelINS0_14default_configENS1_27upper_bound_config_selectorIjlEEZNS1_14transform_implILb0ES3_S5_N6thrust23THRUST_200600_302600_NS17counting_iteratorIjNS8_11use_defaultESA_SA_EEPlZNS1_13binary_searchIS3_S5_PjSB_SC_NS1_21upper_bound_search_opENS8_6detail16wrapped_functionINS0_4lessIvEEbEEEE10hipError_tPvRmT1_T2_T3_mmT4_T5_P12ihipStream_tbEUlRKjE_EESL_SP_SQ_mSR_SU_bEUlT_E_NS1_11comp_targetILNS1_3genE0ELNS1_11target_archE4294967295ELNS1_3gpuE0ELNS1_3repE0EEENS1_30default_config_static_selectorELNS0_4arch9wavefront6targetE1EEEvSO_,@function
_ZN7rocprim17ROCPRIM_400000_NS6detail17trampoline_kernelINS0_14default_configENS1_27upper_bound_config_selectorIjlEEZNS1_14transform_implILb0ES3_S5_N6thrust23THRUST_200600_302600_NS17counting_iteratorIjNS8_11use_defaultESA_SA_EEPlZNS1_13binary_searchIS3_S5_PjSB_SC_NS1_21upper_bound_search_opENS8_6detail16wrapped_functionINS0_4lessIvEEbEEEE10hipError_tPvRmT1_T2_T3_mmT4_T5_P12ihipStream_tbEUlRKjE_EESL_SP_SQ_mSR_SU_bEUlT_E_NS1_11comp_targetILNS1_3genE0ELNS1_11target_archE4294967295ELNS1_3gpuE0ELNS1_3repE0EEENS1_30default_config_static_selectorELNS0_4arch9wavefront6targetE1EEEvSO_: ; @_ZN7rocprim17ROCPRIM_400000_NS6detail17trampoline_kernelINS0_14default_configENS1_27upper_bound_config_selectorIjlEEZNS1_14transform_implILb0ES3_S5_N6thrust23THRUST_200600_302600_NS17counting_iteratorIjNS8_11use_defaultESA_SA_EEPlZNS1_13binary_searchIS3_S5_PjSB_SC_NS1_21upper_bound_search_opENS8_6detail16wrapped_functionINS0_4lessIvEEbEEEE10hipError_tPvRmT1_T2_T3_mmT4_T5_P12ihipStream_tbEUlRKjE_EESL_SP_SQ_mSR_SU_bEUlT_E_NS1_11comp_targetILNS1_3genE0ELNS1_11target_archE4294967295ELNS1_3gpuE0ELNS1_3repE0EEENS1_30default_config_static_selectorELNS0_4arch9wavefront6targetE1EEEvSO_
; %bb.0:
	.section	.rodata,"a",@progbits
	.p2align	6, 0x0
	.amdhsa_kernel _ZN7rocprim17ROCPRIM_400000_NS6detail17trampoline_kernelINS0_14default_configENS1_27upper_bound_config_selectorIjlEEZNS1_14transform_implILb0ES3_S5_N6thrust23THRUST_200600_302600_NS17counting_iteratorIjNS8_11use_defaultESA_SA_EEPlZNS1_13binary_searchIS3_S5_PjSB_SC_NS1_21upper_bound_search_opENS8_6detail16wrapped_functionINS0_4lessIvEEbEEEE10hipError_tPvRmT1_T2_T3_mmT4_T5_P12ihipStream_tbEUlRKjE_EESL_SP_SQ_mSR_SU_bEUlT_E_NS1_11comp_targetILNS1_3genE0ELNS1_11target_archE4294967295ELNS1_3gpuE0ELNS1_3repE0EEENS1_30default_config_static_selectorELNS0_4arch9wavefront6targetE1EEEvSO_
		.amdhsa_group_segment_fixed_size 0
		.amdhsa_private_segment_fixed_size 0
		.amdhsa_kernarg_size 56
		.amdhsa_user_sgpr_count 6
		.amdhsa_user_sgpr_private_segment_buffer 1
		.amdhsa_user_sgpr_dispatch_ptr 0
		.amdhsa_user_sgpr_queue_ptr 0
		.amdhsa_user_sgpr_kernarg_segment_ptr 1
		.amdhsa_user_sgpr_dispatch_id 0
		.amdhsa_user_sgpr_flat_scratch_init 0
		.amdhsa_user_sgpr_kernarg_preload_length 0
		.amdhsa_user_sgpr_kernarg_preload_offset 0
		.amdhsa_user_sgpr_private_segment_size 0
		.amdhsa_uses_dynamic_stack 0
		.amdhsa_system_sgpr_private_segment_wavefront_offset 0
		.amdhsa_system_sgpr_workgroup_id_x 1
		.amdhsa_system_sgpr_workgroup_id_y 0
		.amdhsa_system_sgpr_workgroup_id_z 0
		.amdhsa_system_sgpr_workgroup_info 0
		.amdhsa_system_vgpr_workitem_id 0
		.amdhsa_next_free_vgpr 1
		.amdhsa_next_free_sgpr 0
		.amdhsa_accum_offset 4
		.amdhsa_reserve_vcc 0
		.amdhsa_reserve_flat_scratch 0
		.amdhsa_float_round_mode_32 0
		.amdhsa_float_round_mode_16_64 0
		.amdhsa_float_denorm_mode_32 3
		.amdhsa_float_denorm_mode_16_64 3
		.amdhsa_dx10_clamp 1
		.amdhsa_ieee_mode 1
		.amdhsa_fp16_overflow 0
		.amdhsa_tg_split 0
		.amdhsa_exception_fp_ieee_invalid_op 0
		.amdhsa_exception_fp_denorm_src 0
		.amdhsa_exception_fp_ieee_div_zero 0
		.amdhsa_exception_fp_ieee_overflow 0
		.amdhsa_exception_fp_ieee_underflow 0
		.amdhsa_exception_fp_ieee_inexact 0
		.amdhsa_exception_int_div_zero 0
	.end_amdhsa_kernel
	.section	.text._ZN7rocprim17ROCPRIM_400000_NS6detail17trampoline_kernelINS0_14default_configENS1_27upper_bound_config_selectorIjlEEZNS1_14transform_implILb0ES3_S5_N6thrust23THRUST_200600_302600_NS17counting_iteratorIjNS8_11use_defaultESA_SA_EEPlZNS1_13binary_searchIS3_S5_PjSB_SC_NS1_21upper_bound_search_opENS8_6detail16wrapped_functionINS0_4lessIvEEbEEEE10hipError_tPvRmT1_T2_T3_mmT4_T5_P12ihipStream_tbEUlRKjE_EESL_SP_SQ_mSR_SU_bEUlT_E_NS1_11comp_targetILNS1_3genE0ELNS1_11target_archE4294967295ELNS1_3gpuE0ELNS1_3repE0EEENS1_30default_config_static_selectorELNS0_4arch9wavefront6targetE1EEEvSO_,"axG",@progbits,_ZN7rocprim17ROCPRIM_400000_NS6detail17trampoline_kernelINS0_14default_configENS1_27upper_bound_config_selectorIjlEEZNS1_14transform_implILb0ES3_S5_N6thrust23THRUST_200600_302600_NS17counting_iteratorIjNS8_11use_defaultESA_SA_EEPlZNS1_13binary_searchIS3_S5_PjSB_SC_NS1_21upper_bound_search_opENS8_6detail16wrapped_functionINS0_4lessIvEEbEEEE10hipError_tPvRmT1_T2_T3_mmT4_T5_P12ihipStream_tbEUlRKjE_EESL_SP_SQ_mSR_SU_bEUlT_E_NS1_11comp_targetILNS1_3genE0ELNS1_11target_archE4294967295ELNS1_3gpuE0ELNS1_3repE0EEENS1_30default_config_static_selectorELNS0_4arch9wavefront6targetE1EEEvSO_,comdat
.Lfunc_end119:
	.size	_ZN7rocprim17ROCPRIM_400000_NS6detail17trampoline_kernelINS0_14default_configENS1_27upper_bound_config_selectorIjlEEZNS1_14transform_implILb0ES3_S5_N6thrust23THRUST_200600_302600_NS17counting_iteratorIjNS8_11use_defaultESA_SA_EEPlZNS1_13binary_searchIS3_S5_PjSB_SC_NS1_21upper_bound_search_opENS8_6detail16wrapped_functionINS0_4lessIvEEbEEEE10hipError_tPvRmT1_T2_T3_mmT4_T5_P12ihipStream_tbEUlRKjE_EESL_SP_SQ_mSR_SU_bEUlT_E_NS1_11comp_targetILNS1_3genE0ELNS1_11target_archE4294967295ELNS1_3gpuE0ELNS1_3repE0EEENS1_30default_config_static_selectorELNS0_4arch9wavefront6targetE1EEEvSO_, .Lfunc_end119-_ZN7rocprim17ROCPRIM_400000_NS6detail17trampoline_kernelINS0_14default_configENS1_27upper_bound_config_selectorIjlEEZNS1_14transform_implILb0ES3_S5_N6thrust23THRUST_200600_302600_NS17counting_iteratorIjNS8_11use_defaultESA_SA_EEPlZNS1_13binary_searchIS3_S5_PjSB_SC_NS1_21upper_bound_search_opENS8_6detail16wrapped_functionINS0_4lessIvEEbEEEE10hipError_tPvRmT1_T2_T3_mmT4_T5_P12ihipStream_tbEUlRKjE_EESL_SP_SQ_mSR_SU_bEUlT_E_NS1_11comp_targetILNS1_3genE0ELNS1_11target_archE4294967295ELNS1_3gpuE0ELNS1_3repE0EEENS1_30default_config_static_selectorELNS0_4arch9wavefront6targetE1EEEvSO_
                                        ; -- End function
	.section	.AMDGPU.csdata,"",@progbits
; Kernel info:
; codeLenInByte = 0
; NumSgprs: 4
; NumVgprs: 0
; NumAgprs: 0
; TotalNumVgprs: 0
; ScratchSize: 0
; MemoryBound: 0
; FloatMode: 240
; IeeeMode: 1
; LDSByteSize: 0 bytes/workgroup (compile time only)
; SGPRBlocks: 0
; VGPRBlocks: 0
; NumSGPRsForWavesPerEU: 4
; NumVGPRsForWavesPerEU: 1
; AccumOffset: 4
; Occupancy: 8
; WaveLimiterHint : 0
; COMPUTE_PGM_RSRC2:SCRATCH_EN: 0
; COMPUTE_PGM_RSRC2:USER_SGPR: 6
; COMPUTE_PGM_RSRC2:TRAP_HANDLER: 0
; COMPUTE_PGM_RSRC2:TGID_X_EN: 1
; COMPUTE_PGM_RSRC2:TGID_Y_EN: 0
; COMPUTE_PGM_RSRC2:TGID_Z_EN: 0
; COMPUTE_PGM_RSRC2:TIDIG_COMP_CNT: 0
; COMPUTE_PGM_RSRC3_GFX90A:ACCUM_OFFSET: 0
; COMPUTE_PGM_RSRC3_GFX90A:TG_SPLIT: 0
	.section	.text._ZN7rocprim17ROCPRIM_400000_NS6detail17trampoline_kernelINS0_14default_configENS1_27upper_bound_config_selectorIjlEEZNS1_14transform_implILb0ES3_S5_N6thrust23THRUST_200600_302600_NS17counting_iteratorIjNS8_11use_defaultESA_SA_EEPlZNS1_13binary_searchIS3_S5_PjSB_SC_NS1_21upper_bound_search_opENS8_6detail16wrapped_functionINS0_4lessIvEEbEEEE10hipError_tPvRmT1_T2_T3_mmT4_T5_P12ihipStream_tbEUlRKjE_EESL_SP_SQ_mSR_SU_bEUlT_E_NS1_11comp_targetILNS1_3genE5ELNS1_11target_archE942ELNS1_3gpuE9ELNS1_3repE0EEENS1_30default_config_static_selectorELNS0_4arch9wavefront6targetE1EEEvSO_,"axG",@progbits,_ZN7rocprim17ROCPRIM_400000_NS6detail17trampoline_kernelINS0_14default_configENS1_27upper_bound_config_selectorIjlEEZNS1_14transform_implILb0ES3_S5_N6thrust23THRUST_200600_302600_NS17counting_iteratorIjNS8_11use_defaultESA_SA_EEPlZNS1_13binary_searchIS3_S5_PjSB_SC_NS1_21upper_bound_search_opENS8_6detail16wrapped_functionINS0_4lessIvEEbEEEE10hipError_tPvRmT1_T2_T3_mmT4_T5_P12ihipStream_tbEUlRKjE_EESL_SP_SQ_mSR_SU_bEUlT_E_NS1_11comp_targetILNS1_3genE5ELNS1_11target_archE942ELNS1_3gpuE9ELNS1_3repE0EEENS1_30default_config_static_selectorELNS0_4arch9wavefront6targetE1EEEvSO_,comdat
	.protected	_ZN7rocprim17ROCPRIM_400000_NS6detail17trampoline_kernelINS0_14default_configENS1_27upper_bound_config_selectorIjlEEZNS1_14transform_implILb0ES3_S5_N6thrust23THRUST_200600_302600_NS17counting_iteratorIjNS8_11use_defaultESA_SA_EEPlZNS1_13binary_searchIS3_S5_PjSB_SC_NS1_21upper_bound_search_opENS8_6detail16wrapped_functionINS0_4lessIvEEbEEEE10hipError_tPvRmT1_T2_T3_mmT4_T5_P12ihipStream_tbEUlRKjE_EESL_SP_SQ_mSR_SU_bEUlT_E_NS1_11comp_targetILNS1_3genE5ELNS1_11target_archE942ELNS1_3gpuE9ELNS1_3repE0EEENS1_30default_config_static_selectorELNS0_4arch9wavefront6targetE1EEEvSO_ ; -- Begin function _ZN7rocprim17ROCPRIM_400000_NS6detail17trampoline_kernelINS0_14default_configENS1_27upper_bound_config_selectorIjlEEZNS1_14transform_implILb0ES3_S5_N6thrust23THRUST_200600_302600_NS17counting_iteratorIjNS8_11use_defaultESA_SA_EEPlZNS1_13binary_searchIS3_S5_PjSB_SC_NS1_21upper_bound_search_opENS8_6detail16wrapped_functionINS0_4lessIvEEbEEEE10hipError_tPvRmT1_T2_T3_mmT4_T5_P12ihipStream_tbEUlRKjE_EESL_SP_SQ_mSR_SU_bEUlT_E_NS1_11comp_targetILNS1_3genE5ELNS1_11target_archE942ELNS1_3gpuE9ELNS1_3repE0EEENS1_30default_config_static_selectorELNS0_4arch9wavefront6targetE1EEEvSO_
	.globl	_ZN7rocprim17ROCPRIM_400000_NS6detail17trampoline_kernelINS0_14default_configENS1_27upper_bound_config_selectorIjlEEZNS1_14transform_implILb0ES3_S5_N6thrust23THRUST_200600_302600_NS17counting_iteratorIjNS8_11use_defaultESA_SA_EEPlZNS1_13binary_searchIS3_S5_PjSB_SC_NS1_21upper_bound_search_opENS8_6detail16wrapped_functionINS0_4lessIvEEbEEEE10hipError_tPvRmT1_T2_T3_mmT4_T5_P12ihipStream_tbEUlRKjE_EESL_SP_SQ_mSR_SU_bEUlT_E_NS1_11comp_targetILNS1_3genE5ELNS1_11target_archE942ELNS1_3gpuE9ELNS1_3repE0EEENS1_30default_config_static_selectorELNS0_4arch9wavefront6targetE1EEEvSO_
	.p2align	8
	.type	_ZN7rocprim17ROCPRIM_400000_NS6detail17trampoline_kernelINS0_14default_configENS1_27upper_bound_config_selectorIjlEEZNS1_14transform_implILb0ES3_S5_N6thrust23THRUST_200600_302600_NS17counting_iteratorIjNS8_11use_defaultESA_SA_EEPlZNS1_13binary_searchIS3_S5_PjSB_SC_NS1_21upper_bound_search_opENS8_6detail16wrapped_functionINS0_4lessIvEEbEEEE10hipError_tPvRmT1_T2_T3_mmT4_T5_P12ihipStream_tbEUlRKjE_EESL_SP_SQ_mSR_SU_bEUlT_E_NS1_11comp_targetILNS1_3genE5ELNS1_11target_archE942ELNS1_3gpuE9ELNS1_3repE0EEENS1_30default_config_static_selectorELNS0_4arch9wavefront6targetE1EEEvSO_,@function
_ZN7rocprim17ROCPRIM_400000_NS6detail17trampoline_kernelINS0_14default_configENS1_27upper_bound_config_selectorIjlEEZNS1_14transform_implILb0ES3_S5_N6thrust23THRUST_200600_302600_NS17counting_iteratorIjNS8_11use_defaultESA_SA_EEPlZNS1_13binary_searchIS3_S5_PjSB_SC_NS1_21upper_bound_search_opENS8_6detail16wrapped_functionINS0_4lessIvEEbEEEE10hipError_tPvRmT1_T2_T3_mmT4_T5_P12ihipStream_tbEUlRKjE_EESL_SP_SQ_mSR_SU_bEUlT_E_NS1_11comp_targetILNS1_3genE5ELNS1_11target_archE942ELNS1_3gpuE9ELNS1_3repE0EEENS1_30default_config_static_selectorELNS0_4arch9wavefront6targetE1EEEvSO_: ; @_ZN7rocprim17ROCPRIM_400000_NS6detail17trampoline_kernelINS0_14default_configENS1_27upper_bound_config_selectorIjlEEZNS1_14transform_implILb0ES3_S5_N6thrust23THRUST_200600_302600_NS17counting_iteratorIjNS8_11use_defaultESA_SA_EEPlZNS1_13binary_searchIS3_S5_PjSB_SC_NS1_21upper_bound_search_opENS8_6detail16wrapped_functionINS0_4lessIvEEbEEEE10hipError_tPvRmT1_T2_T3_mmT4_T5_P12ihipStream_tbEUlRKjE_EESL_SP_SQ_mSR_SU_bEUlT_E_NS1_11comp_targetILNS1_3genE5ELNS1_11target_archE942ELNS1_3gpuE9ELNS1_3repE0EEENS1_30default_config_static_selectorELNS0_4arch9wavefront6targetE1EEEvSO_
; %bb.0:
	.section	.rodata,"a",@progbits
	.p2align	6, 0x0
	.amdhsa_kernel _ZN7rocprim17ROCPRIM_400000_NS6detail17trampoline_kernelINS0_14default_configENS1_27upper_bound_config_selectorIjlEEZNS1_14transform_implILb0ES3_S5_N6thrust23THRUST_200600_302600_NS17counting_iteratorIjNS8_11use_defaultESA_SA_EEPlZNS1_13binary_searchIS3_S5_PjSB_SC_NS1_21upper_bound_search_opENS8_6detail16wrapped_functionINS0_4lessIvEEbEEEE10hipError_tPvRmT1_T2_T3_mmT4_T5_P12ihipStream_tbEUlRKjE_EESL_SP_SQ_mSR_SU_bEUlT_E_NS1_11comp_targetILNS1_3genE5ELNS1_11target_archE942ELNS1_3gpuE9ELNS1_3repE0EEENS1_30default_config_static_selectorELNS0_4arch9wavefront6targetE1EEEvSO_
		.amdhsa_group_segment_fixed_size 0
		.amdhsa_private_segment_fixed_size 0
		.amdhsa_kernarg_size 56
		.amdhsa_user_sgpr_count 6
		.amdhsa_user_sgpr_private_segment_buffer 1
		.amdhsa_user_sgpr_dispatch_ptr 0
		.amdhsa_user_sgpr_queue_ptr 0
		.amdhsa_user_sgpr_kernarg_segment_ptr 1
		.amdhsa_user_sgpr_dispatch_id 0
		.amdhsa_user_sgpr_flat_scratch_init 0
		.amdhsa_user_sgpr_kernarg_preload_length 0
		.amdhsa_user_sgpr_kernarg_preload_offset 0
		.amdhsa_user_sgpr_private_segment_size 0
		.amdhsa_uses_dynamic_stack 0
		.amdhsa_system_sgpr_private_segment_wavefront_offset 0
		.amdhsa_system_sgpr_workgroup_id_x 1
		.amdhsa_system_sgpr_workgroup_id_y 0
		.amdhsa_system_sgpr_workgroup_id_z 0
		.amdhsa_system_sgpr_workgroup_info 0
		.amdhsa_system_vgpr_workitem_id 0
		.amdhsa_next_free_vgpr 1
		.amdhsa_next_free_sgpr 0
		.amdhsa_accum_offset 4
		.amdhsa_reserve_vcc 0
		.amdhsa_reserve_flat_scratch 0
		.amdhsa_float_round_mode_32 0
		.amdhsa_float_round_mode_16_64 0
		.amdhsa_float_denorm_mode_32 3
		.amdhsa_float_denorm_mode_16_64 3
		.amdhsa_dx10_clamp 1
		.amdhsa_ieee_mode 1
		.amdhsa_fp16_overflow 0
		.amdhsa_tg_split 0
		.amdhsa_exception_fp_ieee_invalid_op 0
		.amdhsa_exception_fp_denorm_src 0
		.amdhsa_exception_fp_ieee_div_zero 0
		.amdhsa_exception_fp_ieee_overflow 0
		.amdhsa_exception_fp_ieee_underflow 0
		.amdhsa_exception_fp_ieee_inexact 0
		.amdhsa_exception_int_div_zero 0
	.end_amdhsa_kernel
	.section	.text._ZN7rocprim17ROCPRIM_400000_NS6detail17trampoline_kernelINS0_14default_configENS1_27upper_bound_config_selectorIjlEEZNS1_14transform_implILb0ES3_S5_N6thrust23THRUST_200600_302600_NS17counting_iteratorIjNS8_11use_defaultESA_SA_EEPlZNS1_13binary_searchIS3_S5_PjSB_SC_NS1_21upper_bound_search_opENS8_6detail16wrapped_functionINS0_4lessIvEEbEEEE10hipError_tPvRmT1_T2_T3_mmT4_T5_P12ihipStream_tbEUlRKjE_EESL_SP_SQ_mSR_SU_bEUlT_E_NS1_11comp_targetILNS1_3genE5ELNS1_11target_archE942ELNS1_3gpuE9ELNS1_3repE0EEENS1_30default_config_static_selectorELNS0_4arch9wavefront6targetE1EEEvSO_,"axG",@progbits,_ZN7rocprim17ROCPRIM_400000_NS6detail17trampoline_kernelINS0_14default_configENS1_27upper_bound_config_selectorIjlEEZNS1_14transform_implILb0ES3_S5_N6thrust23THRUST_200600_302600_NS17counting_iteratorIjNS8_11use_defaultESA_SA_EEPlZNS1_13binary_searchIS3_S5_PjSB_SC_NS1_21upper_bound_search_opENS8_6detail16wrapped_functionINS0_4lessIvEEbEEEE10hipError_tPvRmT1_T2_T3_mmT4_T5_P12ihipStream_tbEUlRKjE_EESL_SP_SQ_mSR_SU_bEUlT_E_NS1_11comp_targetILNS1_3genE5ELNS1_11target_archE942ELNS1_3gpuE9ELNS1_3repE0EEENS1_30default_config_static_selectorELNS0_4arch9wavefront6targetE1EEEvSO_,comdat
.Lfunc_end120:
	.size	_ZN7rocprim17ROCPRIM_400000_NS6detail17trampoline_kernelINS0_14default_configENS1_27upper_bound_config_selectorIjlEEZNS1_14transform_implILb0ES3_S5_N6thrust23THRUST_200600_302600_NS17counting_iteratorIjNS8_11use_defaultESA_SA_EEPlZNS1_13binary_searchIS3_S5_PjSB_SC_NS1_21upper_bound_search_opENS8_6detail16wrapped_functionINS0_4lessIvEEbEEEE10hipError_tPvRmT1_T2_T3_mmT4_T5_P12ihipStream_tbEUlRKjE_EESL_SP_SQ_mSR_SU_bEUlT_E_NS1_11comp_targetILNS1_3genE5ELNS1_11target_archE942ELNS1_3gpuE9ELNS1_3repE0EEENS1_30default_config_static_selectorELNS0_4arch9wavefront6targetE1EEEvSO_, .Lfunc_end120-_ZN7rocprim17ROCPRIM_400000_NS6detail17trampoline_kernelINS0_14default_configENS1_27upper_bound_config_selectorIjlEEZNS1_14transform_implILb0ES3_S5_N6thrust23THRUST_200600_302600_NS17counting_iteratorIjNS8_11use_defaultESA_SA_EEPlZNS1_13binary_searchIS3_S5_PjSB_SC_NS1_21upper_bound_search_opENS8_6detail16wrapped_functionINS0_4lessIvEEbEEEE10hipError_tPvRmT1_T2_T3_mmT4_T5_P12ihipStream_tbEUlRKjE_EESL_SP_SQ_mSR_SU_bEUlT_E_NS1_11comp_targetILNS1_3genE5ELNS1_11target_archE942ELNS1_3gpuE9ELNS1_3repE0EEENS1_30default_config_static_selectorELNS0_4arch9wavefront6targetE1EEEvSO_
                                        ; -- End function
	.section	.AMDGPU.csdata,"",@progbits
; Kernel info:
; codeLenInByte = 0
; NumSgprs: 4
; NumVgprs: 0
; NumAgprs: 0
; TotalNumVgprs: 0
; ScratchSize: 0
; MemoryBound: 0
; FloatMode: 240
; IeeeMode: 1
; LDSByteSize: 0 bytes/workgroup (compile time only)
; SGPRBlocks: 0
; VGPRBlocks: 0
; NumSGPRsForWavesPerEU: 4
; NumVGPRsForWavesPerEU: 1
; AccumOffset: 4
; Occupancy: 8
; WaveLimiterHint : 0
; COMPUTE_PGM_RSRC2:SCRATCH_EN: 0
; COMPUTE_PGM_RSRC2:USER_SGPR: 6
; COMPUTE_PGM_RSRC2:TRAP_HANDLER: 0
; COMPUTE_PGM_RSRC2:TGID_X_EN: 1
; COMPUTE_PGM_RSRC2:TGID_Y_EN: 0
; COMPUTE_PGM_RSRC2:TGID_Z_EN: 0
; COMPUTE_PGM_RSRC2:TIDIG_COMP_CNT: 0
; COMPUTE_PGM_RSRC3_GFX90A:ACCUM_OFFSET: 0
; COMPUTE_PGM_RSRC3_GFX90A:TG_SPLIT: 0
	.section	.text._ZN7rocprim17ROCPRIM_400000_NS6detail17trampoline_kernelINS0_14default_configENS1_27upper_bound_config_selectorIjlEEZNS1_14transform_implILb0ES3_S5_N6thrust23THRUST_200600_302600_NS17counting_iteratorIjNS8_11use_defaultESA_SA_EEPlZNS1_13binary_searchIS3_S5_PjSB_SC_NS1_21upper_bound_search_opENS8_6detail16wrapped_functionINS0_4lessIvEEbEEEE10hipError_tPvRmT1_T2_T3_mmT4_T5_P12ihipStream_tbEUlRKjE_EESL_SP_SQ_mSR_SU_bEUlT_E_NS1_11comp_targetILNS1_3genE4ELNS1_11target_archE910ELNS1_3gpuE8ELNS1_3repE0EEENS1_30default_config_static_selectorELNS0_4arch9wavefront6targetE1EEEvSO_,"axG",@progbits,_ZN7rocprim17ROCPRIM_400000_NS6detail17trampoline_kernelINS0_14default_configENS1_27upper_bound_config_selectorIjlEEZNS1_14transform_implILb0ES3_S5_N6thrust23THRUST_200600_302600_NS17counting_iteratorIjNS8_11use_defaultESA_SA_EEPlZNS1_13binary_searchIS3_S5_PjSB_SC_NS1_21upper_bound_search_opENS8_6detail16wrapped_functionINS0_4lessIvEEbEEEE10hipError_tPvRmT1_T2_T3_mmT4_T5_P12ihipStream_tbEUlRKjE_EESL_SP_SQ_mSR_SU_bEUlT_E_NS1_11comp_targetILNS1_3genE4ELNS1_11target_archE910ELNS1_3gpuE8ELNS1_3repE0EEENS1_30default_config_static_selectorELNS0_4arch9wavefront6targetE1EEEvSO_,comdat
	.protected	_ZN7rocprim17ROCPRIM_400000_NS6detail17trampoline_kernelINS0_14default_configENS1_27upper_bound_config_selectorIjlEEZNS1_14transform_implILb0ES3_S5_N6thrust23THRUST_200600_302600_NS17counting_iteratorIjNS8_11use_defaultESA_SA_EEPlZNS1_13binary_searchIS3_S5_PjSB_SC_NS1_21upper_bound_search_opENS8_6detail16wrapped_functionINS0_4lessIvEEbEEEE10hipError_tPvRmT1_T2_T3_mmT4_T5_P12ihipStream_tbEUlRKjE_EESL_SP_SQ_mSR_SU_bEUlT_E_NS1_11comp_targetILNS1_3genE4ELNS1_11target_archE910ELNS1_3gpuE8ELNS1_3repE0EEENS1_30default_config_static_selectorELNS0_4arch9wavefront6targetE1EEEvSO_ ; -- Begin function _ZN7rocprim17ROCPRIM_400000_NS6detail17trampoline_kernelINS0_14default_configENS1_27upper_bound_config_selectorIjlEEZNS1_14transform_implILb0ES3_S5_N6thrust23THRUST_200600_302600_NS17counting_iteratorIjNS8_11use_defaultESA_SA_EEPlZNS1_13binary_searchIS3_S5_PjSB_SC_NS1_21upper_bound_search_opENS8_6detail16wrapped_functionINS0_4lessIvEEbEEEE10hipError_tPvRmT1_T2_T3_mmT4_T5_P12ihipStream_tbEUlRKjE_EESL_SP_SQ_mSR_SU_bEUlT_E_NS1_11comp_targetILNS1_3genE4ELNS1_11target_archE910ELNS1_3gpuE8ELNS1_3repE0EEENS1_30default_config_static_selectorELNS0_4arch9wavefront6targetE1EEEvSO_
	.globl	_ZN7rocprim17ROCPRIM_400000_NS6detail17trampoline_kernelINS0_14default_configENS1_27upper_bound_config_selectorIjlEEZNS1_14transform_implILb0ES3_S5_N6thrust23THRUST_200600_302600_NS17counting_iteratorIjNS8_11use_defaultESA_SA_EEPlZNS1_13binary_searchIS3_S5_PjSB_SC_NS1_21upper_bound_search_opENS8_6detail16wrapped_functionINS0_4lessIvEEbEEEE10hipError_tPvRmT1_T2_T3_mmT4_T5_P12ihipStream_tbEUlRKjE_EESL_SP_SQ_mSR_SU_bEUlT_E_NS1_11comp_targetILNS1_3genE4ELNS1_11target_archE910ELNS1_3gpuE8ELNS1_3repE0EEENS1_30default_config_static_selectorELNS0_4arch9wavefront6targetE1EEEvSO_
	.p2align	8
	.type	_ZN7rocprim17ROCPRIM_400000_NS6detail17trampoline_kernelINS0_14default_configENS1_27upper_bound_config_selectorIjlEEZNS1_14transform_implILb0ES3_S5_N6thrust23THRUST_200600_302600_NS17counting_iteratorIjNS8_11use_defaultESA_SA_EEPlZNS1_13binary_searchIS3_S5_PjSB_SC_NS1_21upper_bound_search_opENS8_6detail16wrapped_functionINS0_4lessIvEEbEEEE10hipError_tPvRmT1_T2_T3_mmT4_T5_P12ihipStream_tbEUlRKjE_EESL_SP_SQ_mSR_SU_bEUlT_E_NS1_11comp_targetILNS1_3genE4ELNS1_11target_archE910ELNS1_3gpuE8ELNS1_3repE0EEENS1_30default_config_static_selectorELNS0_4arch9wavefront6targetE1EEEvSO_,@function
_ZN7rocprim17ROCPRIM_400000_NS6detail17trampoline_kernelINS0_14default_configENS1_27upper_bound_config_selectorIjlEEZNS1_14transform_implILb0ES3_S5_N6thrust23THRUST_200600_302600_NS17counting_iteratorIjNS8_11use_defaultESA_SA_EEPlZNS1_13binary_searchIS3_S5_PjSB_SC_NS1_21upper_bound_search_opENS8_6detail16wrapped_functionINS0_4lessIvEEbEEEE10hipError_tPvRmT1_T2_T3_mmT4_T5_P12ihipStream_tbEUlRKjE_EESL_SP_SQ_mSR_SU_bEUlT_E_NS1_11comp_targetILNS1_3genE4ELNS1_11target_archE910ELNS1_3gpuE8ELNS1_3repE0EEENS1_30default_config_static_selectorELNS0_4arch9wavefront6targetE1EEEvSO_: ; @_ZN7rocprim17ROCPRIM_400000_NS6detail17trampoline_kernelINS0_14default_configENS1_27upper_bound_config_selectorIjlEEZNS1_14transform_implILb0ES3_S5_N6thrust23THRUST_200600_302600_NS17counting_iteratorIjNS8_11use_defaultESA_SA_EEPlZNS1_13binary_searchIS3_S5_PjSB_SC_NS1_21upper_bound_search_opENS8_6detail16wrapped_functionINS0_4lessIvEEbEEEE10hipError_tPvRmT1_T2_T3_mmT4_T5_P12ihipStream_tbEUlRKjE_EESL_SP_SQ_mSR_SU_bEUlT_E_NS1_11comp_targetILNS1_3genE4ELNS1_11target_archE910ELNS1_3gpuE8ELNS1_3repE0EEENS1_30default_config_static_selectorELNS0_4arch9wavefront6targetE1EEEvSO_
; %bb.0:
	s_load_dword s16, s[4:5], 0x0
	s_load_dwordx2 s[8:9], s[4:5], 0x8
	s_load_dword s7, s[4:5], 0x38
	s_load_dwordx4 s[0:3], s[4:5], 0x18
	s_load_dwordx2 s[12:13], s[4:5], 0x28
	s_lshl_b32 s10, s6, 8
	s_waitcnt lgkmcnt(0)
	s_add_i32 s16, s16, s8
	s_add_i32 s7, s7, -1
	s_cmp_lg_u32 s6, s7
	s_mov_b32 s11, 0
	s_cbranch_scc0 .LBB121_6
; %bb.1:
	s_mov_b64 s[14:15], 0
	s_cmp_eq_u64 s[12:13], 0
	v_pk_mov_b32 v[2:3], 0, 0
	s_cbranch_scc1 .LBB121_5
; %bb.2:
	s_add_i32 s6, s16, s10
	v_add_u32_e32 v1, s6, v0
	s_mov_b64 s[6:7], 0
	v_pk_mov_b32 v[2:3], 0, 0
	v_pk_mov_b32 v[4:5], s[12:13], s[12:13] op_sel:[0,1]
	v_mov_b32_e32 v6, s3
.LBB121_3:                              ; =>This Inner Loop Header: Depth=1
	v_sub_co_u32_e32 v8, vcc, v4, v2
	v_subb_co_u32_e32 v9, vcc, v5, v3, vcc
	v_lshrrev_b64 v[10:11], 1, v[8:9]
	v_add_co_u32_e32 v7, vcc, v10, v2
	v_lshrrev_b64 v[8:9], 6, v[8:9]
	v_addc_co_u32_e32 v10, vcc, v11, v3, vcc
	v_add_co_u32_e32 v8, vcc, v7, v8
	v_addc_co_u32_e32 v9, vcc, v10, v9, vcc
	v_lshlrev_b64 v[10:11], 2, v[8:9]
	v_add_co_u32_e32 v10, vcc, s2, v10
	v_addc_co_u32_e32 v11, vcc, v6, v11, vcc
	global_load_dword v7, v[10:11], off
	v_add_co_u32_e32 v10, vcc, 1, v8
	v_addc_co_u32_e32 v11, vcc, 0, v9, vcc
	s_waitcnt vmcnt(0)
	v_cmp_gt_u32_e32 vcc, v7, v1
	v_cndmask_b32_e32 v5, v5, v9, vcc
	v_cndmask_b32_e32 v4, v4, v8, vcc
	v_cndmask_b32_e32 v3, v11, v3, vcc
	v_cndmask_b32_e32 v2, v10, v2, vcc
	v_cmp_ge_u64_e32 vcc, v[2:3], v[4:5]
	s_or_b64 s[6:7], vcc, s[6:7]
	s_andn2_b64 exec, exec, s[6:7]
	s_cbranch_execnz .LBB121_3
; %bb.4:
	s_or_b64 exec, exec, s[6:7]
.LBB121_5:
	s_mov_b64 s[6:7], -1
	s_andn2_b64 vcc, exec, s[14:15]
	s_cbranch_vccz .LBB121_7
	s_branch .LBB121_13
.LBB121_6:
	s_mov_b64 s[6:7], 0
                                        ; implicit-def: $vgpr2_vgpr3
.LBB121_7:
	s_load_dword s4, s[4:5], 0x10
                                        ; implicit-def: $vgpr2_vgpr3
	s_waitcnt lgkmcnt(0)
	s_sub_i32 s4, s4, s10
	v_cmp_gt_u32_e64 s[6:7], s4, v0
	s_and_saveexec_b64 s[4:5], s[6:7]
	s_cbranch_execz .LBB121_12
; %bb.8:
	s_mov_b64 s[14:15], 0
	s_cmp_eq_u64 s[12:13], 0
	v_pk_mov_b32 v[2:3], 0, 0
	s_cbranch_scc1 .LBB121_12
; %bb.9:
	s_add_i32 s16, s16, s10
	v_add_u32_e32 v1, s16, v0
	v_pk_mov_b32 v[2:3], 0, 0
	v_pk_mov_b32 v[4:5], s[12:13], s[12:13] op_sel:[0,1]
	v_mov_b32_e32 v6, s3
.LBB121_10:                             ; =>This Inner Loop Header: Depth=1
	v_sub_co_u32_e32 v8, vcc, v4, v2
	v_subb_co_u32_e32 v9, vcc, v5, v3, vcc
	v_lshrrev_b64 v[10:11], 1, v[8:9]
	v_add_co_u32_e32 v7, vcc, v10, v2
	v_lshrrev_b64 v[8:9], 6, v[8:9]
	v_addc_co_u32_e32 v10, vcc, v11, v3, vcc
	v_add_co_u32_e32 v8, vcc, v7, v8
	v_addc_co_u32_e32 v9, vcc, v10, v9, vcc
	v_lshlrev_b64 v[10:11], 2, v[8:9]
	v_add_co_u32_e32 v10, vcc, s2, v10
	v_addc_co_u32_e32 v11, vcc, v6, v11, vcc
	global_load_dword v7, v[10:11], off
	v_add_co_u32_e32 v10, vcc, 1, v8
	v_addc_co_u32_e32 v11, vcc, 0, v9, vcc
	s_waitcnt vmcnt(0)
	v_cmp_gt_u32_e32 vcc, v7, v1
	v_cndmask_b32_e32 v5, v5, v9, vcc
	v_cndmask_b32_e32 v4, v4, v8, vcc
	;; [unrolled: 1-line block ×4, first 2 shown]
	v_cmp_ge_u64_e32 vcc, v[2:3], v[4:5]
	s_or_b64 s[14:15], vcc, s[14:15]
	s_andn2_b64 exec, exec, s[14:15]
	s_cbranch_execnz .LBB121_10
; %bb.11:
	s_or_b64 exec, exec, s[14:15]
.LBB121_12:
	s_or_b64 exec, exec, s[4:5]
.LBB121_13:
	s_and_saveexec_b64 s[2:3], s[6:7]
	s_cbranch_execnz .LBB121_15
; %bb.14:
	s_endpgm
.LBB121_15:
	s_lshl_b64 s[2:3], s[8:9], 3
	s_add_u32 s2, s0, s2
	s_addc_u32 s3, s1, s3
	s_lshl_b64 s[0:1], s[10:11], 3
	s_add_u32 s0, s2, s0
	s_addc_u32 s1, s3, s1
	v_lshlrev_b32_e32 v0, 3, v0
	global_store_dwordx2 v0, v[2:3], s[0:1]
	s_endpgm
	.section	.rodata,"a",@progbits
	.p2align	6, 0x0
	.amdhsa_kernel _ZN7rocprim17ROCPRIM_400000_NS6detail17trampoline_kernelINS0_14default_configENS1_27upper_bound_config_selectorIjlEEZNS1_14transform_implILb0ES3_S5_N6thrust23THRUST_200600_302600_NS17counting_iteratorIjNS8_11use_defaultESA_SA_EEPlZNS1_13binary_searchIS3_S5_PjSB_SC_NS1_21upper_bound_search_opENS8_6detail16wrapped_functionINS0_4lessIvEEbEEEE10hipError_tPvRmT1_T2_T3_mmT4_T5_P12ihipStream_tbEUlRKjE_EESL_SP_SQ_mSR_SU_bEUlT_E_NS1_11comp_targetILNS1_3genE4ELNS1_11target_archE910ELNS1_3gpuE8ELNS1_3repE0EEENS1_30default_config_static_selectorELNS0_4arch9wavefront6targetE1EEEvSO_
		.amdhsa_group_segment_fixed_size 0
		.amdhsa_private_segment_fixed_size 0
		.amdhsa_kernarg_size 312
		.amdhsa_user_sgpr_count 6
		.amdhsa_user_sgpr_private_segment_buffer 1
		.amdhsa_user_sgpr_dispatch_ptr 0
		.amdhsa_user_sgpr_queue_ptr 0
		.amdhsa_user_sgpr_kernarg_segment_ptr 1
		.amdhsa_user_sgpr_dispatch_id 0
		.amdhsa_user_sgpr_flat_scratch_init 0
		.amdhsa_user_sgpr_kernarg_preload_length 0
		.amdhsa_user_sgpr_kernarg_preload_offset 0
		.amdhsa_user_sgpr_private_segment_size 0
		.amdhsa_uses_dynamic_stack 0
		.amdhsa_system_sgpr_private_segment_wavefront_offset 0
		.amdhsa_system_sgpr_workgroup_id_x 1
		.amdhsa_system_sgpr_workgroup_id_y 0
		.amdhsa_system_sgpr_workgroup_id_z 0
		.amdhsa_system_sgpr_workgroup_info 0
		.amdhsa_system_vgpr_workitem_id 0
		.amdhsa_next_free_vgpr 12
		.amdhsa_next_free_sgpr 17
		.amdhsa_accum_offset 12
		.amdhsa_reserve_vcc 1
		.amdhsa_reserve_flat_scratch 0
		.amdhsa_float_round_mode_32 0
		.amdhsa_float_round_mode_16_64 0
		.amdhsa_float_denorm_mode_32 3
		.amdhsa_float_denorm_mode_16_64 3
		.amdhsa_dx10_clamp 1
		.amdhsa_ieee_mode 1
		.amdhsa_fp16_overflow 0
		.amdhsa_tg_split 0
		.amdhsa_exception_fp_ieee_invalid_op 0
		.amdhsa_exception_fp_denorm_src 0
		.amdhsa_exception_fp_ieee_div_zero 0
		.amdhsa_exception_fp_ieee_overflow 0
		.amdhsa_exception_fp_ieee_underflow 0
		.amdhsa_exception_fp_ieee_inexact 0
		.amdhsa_exception_int_div_zero 0
	.end_amdhsa_kernel
	.section	.text._ZN7rocprim17ROCPRIM_400000_NS6detail17trampoline_kernelINS0_14default_configENS1_27upper_bound_config_selectorIjlEEZNS1_14transform_implILb0ES3_S5_N6thrust23THRUST_200600_302600_NS17counting_iteratorIjNS8_11use_defaultESA_SA_EEPlZNS1_13binary_searchIS3_S5_PjSB_SC_NS1_21upper_bound_search_opENS8_6detail16wrapped_functionINS0_4lessIvEEbEEEE10hipError_tPvRmT1_T2_T3_mmT4_T5_P12ihipStream_tbEUlRKjE_EESL_SP_SQ_mSR_SU_bEUlT_E_NS1_11comp_targetILNS1_3genE4ELNS1_11target_archE910ELNS1_3gpuE8ELNS1_3repE0EEENS1_30default_config_static_selectorELNS0_4arch9wavefront6targetE1EEEvSO_,"axG",@progbits,_ZN7rocprim17ROCPRIM_400000_NS6detail17trampoline_kernelINS0_14default_configENS1_27upper_bound_config_selectorIjlEEZNS1_14transform_implILb0ES3_S5_N6thrust23THRUST_200600_302600_NS17counting_iteratorIjNS8_11use_defaultESA_SA_EEPlZNS1_13binary_searchIS3_S5_PjSB_SC_NS1_21upper_bound_search_opENS8_6detail16wrapped_functionINS0_4lessIvEEbEEEE10hipError_tPvRmT1_T2_T3_mmT4_T5_P12ihipStream_tbEUlRKjE_EESL_SP_SQ_mSR_SU_bEUlT_E_NS1_11comp_targetILNS1_3genE4ELNS1_11target_archE910ELNS1_3gpuE8ELNS1_3repE0EEENS1_30default_config_static_selectorELNS0_4arch9wavefront6targetE1EEEvSO_,comdat
.Lfunc_end121:
	.size	_ZN7rocprim17ROCPRIM_400000_NS6detail17trampoline_kernelINS0_14default_configENS1_27upper_bound_config_selectorIjlEEZNS1_14transform_implILb0ES3_S5_N6thrust23THRUST_200600_302600_NS17counting_iteratorIjNS8_11use_defaultESA_SA_EEPlZNS1_13binary_searchIS3_S5_PjSB_SC_NS1_21upper_bound_search_opENS8_6detail16wrapped_functionINS0_4lessIvEEbEEEE10hipError_tPvRmT1_T2_T3_mmT4_T5_P12ihipStream_tbEUlRKjE_EESL_SP_SQ_mSR_SU_bEUlT_E_NS1_11comp_targetILNS1_3genE4ELNS1_11target_archE910ELNS1_3gpuE8ELNS1_3repE0EEENS1_30default_config_static_selectorELNS0_4arch9wavefront6targetE1EEEvSO_, .Lfunc_end121-_ZN7rocprim17ROCPRIM_400000_NS6detail17trampoline_kernelINS0_14default_configENS1_27upper_bound_config_selectorIjlEEZNS1_14transform_implILb0ES3_S5_N6thrust23THRUST_200600_302600_NS17counting_iteratorIjNS8_11use_defaultESA_SA_EEPlZNS1_13binary_searchIS3_S5_PjSB_SC_NS1_21upper_bound_search_opENS8_6detail16wrapped_functionINS0_4lessIvEEbEEEE10hipError_tPvRmT1_T2_T3_mmT4_T5_P12ihipStream_tbEUlRKjE_EESL_SP_SQ_mSR_SU_bEUlT_E_NS1_11comp_targetILNS1_3genE4ELNS1_11target_archE910ELNS1_3gpuE8ELNS1_3repE0EEENS1_30default_config_static_selectorELNS0_4arch9wavefront6targetE1EEEvSO_
                                        ; -- End function
	.section	.AMDGPU.csdata,"",@progbits
; Kernel info:
; codeLenInByte = 508
; NumSgprs: 21
; NumVgprs: 12
; NumAgprs: 0
; TotalNumVgprs: 12
; ScratchSize: 0
; MemoryBound: 0
; FloatMode: 240
; IeeeMode: 1
; LDSByteSize: 0 bytes/workgroup (compile time only)
; SGPRBlocks: 2
; VGPRBlocks: 1
; NumSGPRsForWavesPerEU: 21
; NumVGPRsForWavesPerEU: 12
; AccumOffset: 12
; Occupancy: 8
; WaveLimiterHint : 0
; COMPUTE_PGM_RSRC2:SCRATCH_EN: 0
; COMPUTE_PGM_RSRC2:USER_SGPR: 6
; COMPUTE_PGM_RSRC2:TRAP_HANDLER: 0
; COMPUTE_PGM_RSRC2:TGID_X_EN: 1
; COMPUTE_PGM_RSRC2:TGID_Y_EN: 0
; COMPUTE_PGM_RSRC2:TGID_Z_EN: 0
; COMPUTE_PGM_RSRC2:TIDIG_COMP_CNT: 0
; COMPUTE_PGM_RSRC3_GFX90A:ACCUM_OFFSET: 2
; COMPUTE_PGM_RSRC3_GFX90A:TG_SPLIT: 0
	.section	.text._ZN7rocprim17ROCPRIM_400000_NS6detail17trampoline_kernelINS0_14default_configENS1_27upper_bound_config_selectorIjlEEZNS1_14transform_implILb0ES3_S5_N6thrust23THRUST_200600_302600_NS17counting_iteratorIjNS8_11use_defaultESA_SA_EEPlZNS1_13binary_searchIS3_S5_PjSB_SC_NS1_21upper_bound_search_opENS8_6detail16wrapped_functionINS0_4lessIvEEbEEEE10hipError_tPvRmT1_T2_T3_mmT4_T5_P12ihipStream_tbEUlRKjE_EESL_SP_SQ_mSR_SU_bEUlT_E_NS1_11comp_targetILNS1_3genE3ELNS1_11target_archE908ELNS1_3gpuE7ELNS1_3repE0EEENS1_30default_config_static_selectorELNS0_4arch9wavefront6targetE1EEEvSO_,"axG",@progbits,_ZN7rocprim17ROCPRIM_400000_NS6detail17trampoline_kernelINS0_14default_configENS1_27upper_bound_config_selectorIjlEEZNS1_14transform_implILb0ES3_S5_N6thrust23THRUST_200600_302600_NS17counting_iteratorIjNS8_11use_defaultESA_SA_EEPlZNS1_13binary_searchIS3_S5_PjSB_SC_NS1_21upper_bound_search_opENS8_6detail16wrapped_functionINS0_4lessIvEEbEEEE10hipError_tPvRmT1_T2_T3_mmT4_T5_P12ihipStream_tbEUlRKjE_EESL_SP_SQ_mSR_SU_bEUlT_E_NS1_11comp_targetILNS1_3genE3ELNS1_11target_archE908ELNS1_3gpuE7ELNS1_3repE0EEENS1_30default_config_static_selectorELNS0_4arch9wavefront6targetE1EEEvSO_,comdat
	.protected	_ZN7rocprim17ROCPRIM_400000_NS6detail17trampoline_kernelINS0_14default_configENS1_27upper_bound_config_selectorIjlEEZNS1_14transform_implILb0ES3_S5_N6thrust23THRUST_200600_302600_NS17counting_iteratorIjNS8_11use_defaultESA_SA_EEPlZNS1_13binary_searchIS3_S5_PjSB_SC_NS1_21upper_bound_search_opENS8_6detail16wrapped_functionINS0_4lessIvEEbEEEE10hipError_tPvRmT1_T2_T3_mmT4_T5_P12ihipStream_tbEUlRKjE_EESL_SP_SQ_mSR_SU_bEUlT_E_NS1_11comp_targetILNS1_3genE3ELNS1_11target_archE908ELNS1_3gpuE7ELNS1_3repE0EEENS1_30default_config_static_selectorELNS0_4arch9wavefront6targetE1EEEvSO_ ; -- Begin function _ZN7rocprim17ROCPRIM_400000_NS6detail17trampoline_kernelINS0_14default_configENS1_27upper_bound_config_selectorIjlEEZNS1_14transform_implILb0ES3_S5_N6thrust23THRUST_200600_302600_NS17counting_iteratorIjNS8_11use_defaultESA_SA_EEPlZNS1_13binary_searchIS3_S5_PjSB_SC_NS1_21upper_bound_search_opENS8_6detail16wrapped_functionINS0_4lessIvEEbEEEE10hipError_tPvRmT1_T2_T3_mmT4_T5_P12ihipStream_tbEUlRKjE_EESL_SP_SQ_mSR_SU_bEUlT_E_NS1_11comp_targetILNS1_3genE3ELNS1_11target_archE908ELNS1_3gpuE7ELNS1_3repE0EEENS1_30default_config_static_selectorELNS0_4arch9wavefront6targetE1EEEvSO_
	.globl	_ZN7rocprim17ROCPRIM_400000_NS6detail17trampoline_kernelINS0_14default_configENS1_27upper_bound_config_selectorIjlEEZNS1_14transform_implILb0ES3_S5_N6thrust23THRUST_200600_302600_NS17counting_iteratorIjNS8_11use_defaultESA_SA_EEPlZNS1_13binary_searchIS3_S5_PjSB_SC_NS1_21upper_bound_search_opENS8_6detail16wrapped_functionINS0_4lessIvEEbEEEE10hipError_tPvRmT1_T2_T3_mmT4_T5_P12ihipStream_tbEUlRKjE_EESL_SP_SQ_mSR_SU_bEUlT_E_NS1_11comp_targetILNS1_3genE3ELNS1_11target_archE908ELNS1_3gpuE7ELNS1_3repE0EEENS1_30default_config_static_selectorELNS0_4arch9wavefront6targetE1EEEvSO_
	.p2align	8
	.type	_ZN7rocprim17ROCPRIM_400000_NS6detail17trampoline_kernelINS0_14default_configENS1_27upper_bound_config_selectorIjlEEZNS1_14transform_implILb0ES3_S5_N6thrust23THRUST_200600_302600_NS17counting_iteratorIjNS8_11use_defaultESA_SA_EEPlZNS1_13binary_searchIS3_S5_PjSB_SC_NS1_21upper_bound_search_opENS8_6detail16wrapped_functionINS0_4lessIvEEbEEEE10hipError_tPvRmT1_T2_T3_mmT4_T5_P12ihipStream_tbEUlRKjE_EESL_SP_SQ_mSR_SU_bEUlT_E_NS1_11comp_targetILNS1_3genE3ELNS1_11target_archE908ELNS1_3gpuE7ELNS1_3repE0EEENS1_30default_config_static_selectorELNS0_4arch9wavefront6targetE1EEEvSO_,@function
_ZN7rocprim17ROCPRIM_400000_NS6detail17trampoline_kernelINS0_14default_configENS1_27upper_bound_config_selectorIjlEEZNS1_14transform_implILb0ES3_S5_N6thrust23THRUST_200600_302600_NS17counting_iteratorIjNS8_11use_defaultESA_SA_EEPlZNS1_13binary_searchIS3_S5_PjSB_SC_NS1_21upper_bound_search_opENS8_6detail16wrapped_functionINS0_4lessIvEEbEEEE10hipError_tPvRmT1_T2_T3_mmT4_T5_P12ihipStream_tbEUlRKjE_EESL_SP_SQ_mSR_SU_bEUlT_E_NS1_11comp_targetILNS1_3genE3ELNS1_11target_archE908ELNS1_3gpuE7ELNS1_3repE0EEENS1_30default_config_static_selectorELNS0_4arch9wavefront6targetE1EEEvSO_: ; @_ZN7rocprim17ROCPRIM_400000_NS6detail17trampoline_kernelINS0_14default_configENS1_27upper_bound_config_selectorIjlEEZNS1_14transform_implILb0ES3_S5_N6thrust23THRUST_200600_302600_NS17counting_iteratorIjNS8_11use_defaultESA_SA_EEPlZNS1_13binary_searchIS3_S5_PjSB_SC_NS1_21upper_bound_search_opENS8_6detail16wrapped_functionINS0_4lessIvEEbEEEE10hipError_tPvRmT1_T2_T3_mmT4_T5_P12ihipStream_tbEUlRKjE_EESL_SP_SQ_mSR_SU_bEUlT_E_NS1_11comp_targetILNS1_3genE3ELNS1_11target_archE908ELNS1_3gpuE7ELNS1_3repE0EEENS1_30default_config_static_selectorELNS0_4arch9wavefront6targetE1EEEvSO_
; %bb.0:
	.section	.rodata,"a",@progbits
	.p2align	6, 0x0
	.amdhsa_kernel _ZN7rocprim17ROCPRIM_400000_NS6detail17trampoline_kernelINS0_14default_configENS1_27upper_bound_config_selectorIjlEEZNS1_14transform_implILb0ES3_S5_N6thrust23THRUST_200600_302600_NS17counting_iteratorIjNS8_11use_defaultESA_SA_EEPlZNS1_13binary_searchIS3_S5_PjSB_SC_NS1_21upper_bound_search_opENS8_6detail16wrapped_functionINS0_4lessIvEEbEEEE10hipError_tPvRmT1_T2_T3_mmT4_T5_P12ihipStream_tbEUlRKjE_EESL_SP_SQ_mSR_SU_bEUlT_E_NS1_11comp_targetILNS1_3genE3ELNS1_11target_archE908ELNS1_3gpuE7ELNS1_3repE0EEENS1_30default_config_static_selectorELNS0_4arch9wavefront6targetE1EEEvSO_
		.amdhsa_group_segment_fixed_size 0
		.amdhsa_private_segment_fixed_size 0
		.amdhsa_kernarg_size 56
		.amdhsa_user_sgpr_count 6
		.amdhsa_user_sgpr_private_segment_buffer 1
		.amdhsa_user_sgpr_dispatch_ptr 0
		.amdhsa_user_sgpr_queue_ptr 0
		.amdhsa_user_sgpr_kernarg_segment_ptr 1
		.amdhsa_user_sgpr_dispatch_id 0
		.amdhsa_user_sgpr_flat_scratch_init 0
		.amdhsa_user_sgpr_kernarg_preload_length 0
		.amdhsa_user_sgpr_kernarg_preload_offset 0
		.amdhsa_user_sgpr_private_segment_size 0
		.amdhsa_uses_dynamic_stack 0
		.amdhsa_system_sgpr_private_segment_wavefront_offset 0
		.amdhsa_system_sgpr_workgroup_id_x 1
		.amdhsa_system_sgpr_workgroup_id_y 0
		.amdhsa_system_sgpr_workgroup_id_z 0
		.amdhsa_system_sgpr_workgroup_info 0
		.amdhsa_system_vgpr_workitem_id 0
		.amdhsa_next_free_vgpr 1
		.amdhsa_next_free_sgpr 0
		.amdhsa_accum_offset 4
		.amdhsa_reserve_vcc 0
		.amdhsa_reserve_flat_scratch 0
		.amdhsa_float_round_mode_32 0
		.amdhsa_float_round_mode_16_64 0
		.amdhsa_float_denorm_mode_32 3
		.amdhsa_float_denorm_mode_16_64 3
		.amdhsa_dx10_clamp 1
		.amdhsa_ieee_mode 1
		.amdhsa_fp16_overflow 0
		.amdhsa_tg_split 0
		.amdhsa_exception_fp_ieee_invalid_op 0
		.amdhsa_exception_fp_denorm_src 0
		.amdhsa_exception_fp_ieee_div_zero 0
		.amdhsa_exception_fp_ieee_overflow 0
		.amdhsa_exception_fp_ieee_underflow 0
		.amdhsa_exception_fp_ieee_inexact 0
		.amdhsa_exception_int_div_zero 0
	.end_amdhsa_kernel
	.section	.text._ZN7rocprim17ROCPRIM_400000_NS6detail17trampoline_kernelINS0_14default_configENS1_27upper_bound_config_selectorIjlEEZNS1_14transform_implILb0ES3_S5_N6thrust23THRUST_200600_302600_NS17counting_iteratorIjNS8_11use_defaultESA_SA_EEPlZNS1_13binary_searchIS3_S5_PjSB_SC_NS1_21upper_bound_search_opENS8_6detail16wrapped_functionINS0_4lessIvEEbEEEE10hipError_tPvRmT1_T2_T3_mmT4_T5_P12ihipStream_tbEUlRKjE_EESL_SP_SQ_mSR_SU_bEUlT_E_NS1_11comp_targetILNS1_3genE3ELNS1_11target_archE908ELNS1_3gpuE7ELNS1_3repE0EEENS1_30default_config_static_selectorELNS0_4arch9wavefront6targetE1EEEvSO_,"axG",@progbits,_ZN7rocprim17ROCPRIM_400000_NS6detail17trampoline_kernelINS0_14default_configENS1_27upper_bound_config_selectorIjlEEZNS1_14transform_implILb0ES3_S5_N6thrust23THRUST_200600_302600_NS17counting_iteratorIjNS8_11use_defaultESA_SA_EEPlZNS1_13binary_searchIS3_S5_PjSB_SC_NS1_21upper_bound_search_opENS8_6detail16wrapped_functionINS0_4lessIvEEbEEEE10hipError_tPvRmT1_T2_T3_mmT4_T5_P12ihipStream_tbEUlRKjE_EESL_SP_SQ_mSR_SU_bEUlT_E_NS1_11comp_targetILNS1_3genE3ELNS1_11target_archE908ELNS1_3gpuE7ELNS1_3repE0EEENS1_30default_config_static_selectorELNS0_4arch9wavefront6targetE1EEEvSO_,comdat
.Lfunc_end122:
	.size	_ZN7rocprim17ROCPRIM_400000_NS6detail17trampoline_kernelINS0_14default_configENS1_27upper_bound_config_selectorIjlEEZNS1_14transform_implILb0ES3_S5_N6thrust23THRUST_200600_302600_NS17counting_iteratorIjNS8_11use_defaultESA_SA_EEPlZNS1_13binary_searchIS3_S5_PjSB_SC_NS1_21upper_bound_search_opENS8_6detail16wrapped_functionINS0_4lessIvEEbEEEE10hipError_tPvRmT1_T2_T3_mmT4_T5_P12ihipStream_tbEUlRKjE_EESL_SP_SQ_mSR_SU_bEUlT_E_NS1_11comp_targetILNS1_3genE3ELNS1_11target_archE908ELNS1_3gpuE7ELNS1_3repE0EEENS1_30default_config_static_selectorELNS0_4arch9wavefront6targetE1EEEvSO_, .Lfunc_end122-_ZN7rocprim17ROCPRIM_400000_NS6detail17trampoline_kernelINS0_14default_configENS1_27upper_bound_config_selectorIjlEEZNS1_14transform_implILb0ES3_S5_N6thrust23THRUST_200600_302600_NS17counting_iteratorIjNS8_11use_defaultESA_SA_EEPlZNS1_13binary_searchIS3_S5_PjSB_SC_NS1_21upper_bound_search_opENS8_6detail16wrapped_functionINS0_4lessIvEEbEEEE10hipError_tPvRmT1_T2_T3_mmT4_T5_P12ihipStream_tbEUlRKjE_EESL_SP_SQ_mSR_SU_bEUlT_E_NS1_11comp_targetILNS1_3genE3ELNS1_11target_archE908ELNS1_3gpuE7ELNS1_3repE0EEENS1_30default_config_static_selectorELNS0_4arch9wavefront6targetE1EEEvSO_
                                        ; -- End function
	.section	.AMDGPU.csdata,"",@progbits
; Kernel info:
; codeLenInByte = 0
; NumSgprs: 4
; NumVgprs: 0
; NumAgprs: 0
; TotalNumVgprs: 0
; ScratchSize: 0
; MemoryBound: 0
; FloatMode: 240
; IeeeMode: 1
; LDSByteSize: 0 bytes/workgroup (compile time only)
; SGPRBlocks: 0
; VGPRBlocks: 0
; NumSGPRsForWavesPerEU: 4
; NumVGPRsForWavesPerEU: 1
; AccumOffset: 4
; Occupancy: 8
; WaveLimiterHint : 0
; COMPUTE_PGM_RSRC2:SCRATCH_EN: 0
; COMPUTE_PGM_RSRC2:USER_SGPR: 6
; COMPUTE_PGM_RSRC2:TRAP_HANDLER: 0
; COMPUTE_PGM_RSRC2:TGID_X_EN: 1
; COMPUTE_PGM_RSRC2:TGID_Y_EN: 0
; COMPUTE_PGM_RSRC2:TGID_Z_EN: 0
; COMPUTE_PGM_RSRC2:TIDIG_COMP_CNT: 0
; COMPUTE_PGM_RSRC3_GFX90A:ACCUM_OFFSET: 0
; COMPUTE_PGM_RSRC3_GFX90A:TG_SPLIT: 0
	.section	.text._ZN7rocprim17ROCPRIM_400000_NS6detail17trampoline_kernelINS0_14default_configENS1_27upper_bound_config_selectorIjlEEZNS1_14transform_implILb0ES3_S5_N6thrust23THRUST_200600_302600_NS17counting_iteratorIjNS8_11use_defaultESA_SA_EEPlZNS1_13binary_searchIS3_S5_PjSB_SC_NS1_21upper_bound_search_opENS8_6detail16wrapped_functionINS0_4lessIvEEbEEEE10hipError_tPvRmT1_T2_T3_mmT4_T5_P12ihipStream_tbEUlRKjE_EESL_SP_SQ_mSR_SU_bEUlT_E_NS1_11comp_targetILNS1_3genE2ELNS1_11target_archE906ELNS1_3gpuE6ELNS1_3repE0EEENS1_30default_config_static_selectorELNS0_4arch9wavefront6targetE1EEEvSO_,"axG",@progbits,_ZN7rocprim17ROCPRIM_400000_NS6detail17trampoline_kernelINS0_14default_configENS1_27upper_bound_config_selectorIjlEEZNS1_14transform_implILb0ES3_S5_N6thrust23THRUST_200600_302600_NS17counting_iteratorIjNS8_11use_defaultESA_SA_EEPlZNS1_13binary_searchIS3_S5_PjSB_SC_NS1_21upper_bound_search_opENS8_6detail16wrapped_functionINS0_4lessIvEEbEEEE10hipError_tPvRmT1_T2_T3_mmT4_T5_P12ihipStream_tbEUlRKjE_EESL_SP_SQ_mSR_SU_bEUlT_E_NS1_11comp_targetILNS1_3genE2ELNS1_11target_archE906ELNS1_3gpuE6ELNS1_3repE0EEENS1_30default_config_static_selectorELNS0_4arch9wavefront6targetE1EEEvSO_,comdat
	.protected	_ZN7rocprim17ROCPRIM_400000_NS6detail17trampoline_kernelINS0_14default_configENS1_27upper_bound_config_selectorIjlEEZNS1_14transform_implILb0ES3_S5_N6thrust23THRUST_200600_302600_NS17counting_iteratorIjNS8_11use_defaultESA_SA_EEPlZNS1_13binary_searchIS3_S5_PjSB_SC_NS1_21upper_bound_search_opENS8_6detail16wrapped_functionINS0_4lessIvEEbEEEE10hipError_tPvRmT1_T2_T3_mmT4_T5_P12ihipStream_tbEUlRKjE_EESL_SP_SQ_mSR_SU_bEUlT_E_NS1_11comp_targetILNS1_3genE2ELNS1_11target_archE906ELNS1_3gpuE6ELNS1_3repE0EEENS1_30default_config_static_selectorELNS0_4arch9wavefront6targetE1EEEvSO_ ; -- Begin function _ZN7rocprim17ROCPRIM_400000_NS6detail17trampoline_kernelINS0_14default_configENS1_27upper_bound_config_selectorIjlEEZNS1_14transform_implILb0ES3_S5_N6thrust23THRUST_200600_302600_NS17counting_iteratorIjNS8_11use_defaultESA_SA_EEPlZNS1_13binary_searchIS3_S5_PjSB_SC_NS1_21upper_bound_search_opENS8_6detail16wrapped_functionINS0_4lessIvEEbEEEE10hipError_tPvRmT1_T2_T3_mmT4_T5_P12ihipStream_tbEUlRKjE_EESL_SP_SQ_mSR_SU_bEUlT_E_NS1_11comp_targetILNS1_3genE2ELNS1_11target_archE906ELNS1_3gpuE6ELNS1_3repE0EEENS1_30default_config_static_selectorELNS0_4arch9wavefront6targetE1EEEvSO_
	.globl	_ZN7rocprim17ROCPRIM_400000_NS6detail17trampoline_kernelINS0_14default_configENS1_27upper_bound_config_selectorIjlEEZNS1_14transform_implILb0ES3_S5_N6thrust23THRUST_200600_302600_NS17counting_iteratorIjNS8_11use_defaultESA_SA_EEPlZNS1_13binary_searchIS3_S5_PjSB_SC_NS1_21upper_bound_search_opENS8_6detail16wrapped_functionINS0_4lessIvEEbEEEE10hipError_tPvRmT1_T2_T3_mmT4_T5_P12ihipStream_tbEUlRKjE_EESL_SP_SQ_mSR_SU_bEUlT_E_NS1_11comp_targetILNS1_3genE2ELNS1_11target_archE906ELNS1_3gpuE6ELNS1_3repE0EEENS1_30default_config_static_selectorELNS0_4arch9wavefront6targetE1EEEvSO_
	.p2align	8
	.type	_ZN7rocprim17ROCPRIM_400000_NS6detail17trampoline_kernelINS0_14default_configENS1_27upper_bound_config_selectorIjlEEZNS1_14transform_implILb0ES3_S5_N6thrust23THRUST_200600_302600_NS17counting_iteratorIjNS8_11use_defaultESA_SA_EEPlZNS1_13binary_searchIS3_S5_PjSB_SC_NS1_21upper_bound_search_opENS8_6detail16wrapped_functionINS0_4lessIvEEbEEEE10hipError_tPvRmT1_T2_T3_mmT4_T5_P12ihipStream_tbEUlRKjE_EESL_SP_SQ_mSR_SU_bEUlT_E_NS1_11comp_targetILNS1_3genE2ELNS1_11target_archE906ELNS1_3gpuE6ELNS1_3repE0EEENS1_30default_config_static_selectorELNS0_4arch9wavefront6targetE1EEEvSO_,@function
_ZN7rocprim17ROCPRIM_400000_NS6detail17trampoline_kernelINS0_14default_configENS1_27upper_bound_config_selectorIjlEEZNS1_14transform_implILb0ES3_S5_N6thrust23THRUST_200600_302600_NS17counting_iteratorIjNS8_11use_defaultESA_SA_EEPlZNS1_13binary_searchIS3_S5_PjSB_SC_NS1_21upper_bound_search_opENS8_6detail16wrapped_functionINS0_4lessIvEEbEEEE10hipError_tPvRmT1_T2_T3_mmT4_T5_P12ihipStream_tbEUlRKjE_EESL_SP_SQ_mSR_SU_bEUlT_E_NS1_11comp_targetILNS1_3genE2ELNS1_11target_archE906ELNS1_3gpuE6ELNS1_3repE0EEENS1_30default_config_static_selectorELNS0_4arch9wavefront6targetE1EEEvSO_: ; @_ZN7rocprim17ROCPRIM_400000_NS6detail17trampoline_kernelINS0_14default_configENS1_27upper_bound_config_selectorIjlEEZNS1_14transform_implILb0ES3_S5_N6thrust23THRUST_200600_302600_NS17counting_iteratorIjNS8_11use_defaultESA_SA_EEPlZNS1_13binary_searchIS3_S5_PjSB_SC_NS1_21upper_bound_search_opENS8_6detail16wrapped_functionINS0_4lessIvEEbEEEE10hipError_tPvRmT1_T2_T3_mmT4_T5_P12ihipStream_tbEUlRKjE_EESL_SP_SQ_mSR_SU_bEUlT_E_NS1_11comp_targetILNS1_3genE2ELNS1_11target_archE906ELNS1_3gpuE6ELNS1_3repE0EEENS1_30default_config_static_selectorELNS0_4arch9wavefront6targetE1EEEvSO_
; %bb.0:
	.section	.rodata,"a",@progbits
	.p2align	6, 0x0
	.amdhsa_kernel _ZN7rocprim17ROCPRIM_400000_NS6detail17trampoline_kernelINS0_14default_configENS1_27upper_bound_config_selectorIjlEEZNS1_14transform_implILb0ES3_S5_N6thrust23THRUST_200600_302600_NS17counting_iteratorIjNS8_11use_defaultESA_SA_EEPlZNS1_13binary_searchIS3_S5_PjSB_SC_NS1_21upper_bound_search_opENS8_6detail16wrapped_functionINS0_4lessIvEEbEEEE10hipError_tPvRmT1_T2_T3_mmT4_T5_P12ihipStream_tbEUlRKjE_EESL_SP_SQ_mSR_SU_bEUlT_E_NS1_11comp_targetILNS1_3genE2ELNS1_11target_archE906ELNS1_3gpuE6ELNS1_3repE0EEENS1_30default_config_static_selectorELNS0_4arch9wavefront6targetE1EEEvSO_
		.amdhsa_group_segment_fixed_size 0
		.amdhsa_private_segment_fixed_size 0
		.amdhsa_kernarg_size 56
		.amdhsa_user_sgpr_count 6
		.amdhsa_user_sgpr_private_segment_buffer 1
		.amdhsa_user_sgpr_dispatch_ptr 0
		.amdhsa_user_sgpr_queue_ptr 0
		.amdhsa_user_sgpr_kernarg_segment_ptr 1
		.amdhsa_user_sgpr_dispatch_id 0
		.amdhsa_user_sgpr_flat_scratch_init 0
		.amdhsa_user_sgpr_kernarg_preload_length 0
		.amdhsa_user_sgpr_kernarg_preload_offset 0
		.amdhsa_user_sgpr_private_segment_size 0
		.amdhsa_uses_dynamic_stack 0
		.amdhsa_system_sgpr_private_segment_wavefront_offset 0
		.amdhsa_system_sgpr_workgroup_id_x 1
		.amdhsa_system_sgpr_workgroup_id_y 0
		.amdhsa_system_sgpr_workgroup_id_z 0
		.amdhsa_system_sgpr_workgroup_info 0
		.amdhsa_system_vgpr_workitem_id 0
		.amdhsa_next_free_vgpr 1
		.amdhsa_next_free_sgpr 0
		.amdhsa_accum_offset 4
		.amdhsa_reserve_vcc 0
		.amdhsa_reserve_flat_scratch 0
		.amdhsa_float_round_mode_32 0
		.amdhsa_float_round_mode_16_64 0
		.amdhsa_float_denorm_mode_32 3
		.amdhsa_float_denorm_mode_16_64 3
		.amdhsa_dx10_clamp 1
		.amdhsa_ieee_mode 1
		.amdhsa_fp16_overflow 0
		.amdhsa_tg_split 0
		.amdhsa_exception_fp_ieee_invalid_op 0
		.amdhsa_exception_fp_denorm_src 0
		.amdhsa_exception_fp_ieee_div_zero 0
		.amdhsa_exception_fp_ieee_overflow 0
		.amdhsa_exception_fp_ieee_underflow 0
		.amdhsa_exception_fp_ieee_inexact 0
		.amdhsa_exception_int_div_zero 0
	.end_amdhsa_kernel
	.section	.text._ZN7rocprim17ROCPRIM_400000_NS6detail17trampoline_kernelINS0_14default_configENS1_27upper_bound_config_selectorIjlEEZNS1_14transform_implILb0ES3_S5_N6thrust23THRUST_200600_302600_NS17counting_iteratorIjNS8_11use_defaultESA_SA_EEPlZNS1_13binary_searchIS3_S5_PjSB_SC_NS1_21upper_bound_search_opENS8_6detail16wrapped_functionINS0_4lessIvEEbEEEE10hipError_tPvRmT1_T2_T3_mmT4_T5_P12ihipStream_tbEUlRKjE_EESL_SP_SQ_mSR_SU_bEUlT_E_NS1_11comp_targetILNS1_3genE2ELNS1_11target_archE906ELNS1_3gpuE6ELNS1_3repE0EEENS1_30default_config_static_selectorELNS0_4arch9wavefront6targetE1EEEvSO_,"axG",@progbits,_ZN7rocprim17ROCPRIM_400000_NS6detail17trampoline_kernelINS0_14default_configENS1_27upper_bound_config_selectorIjlEEZNS1_14transform_implILb0ES3_S5_N6thrust23THRUST_200600_302600_NS17counting_iteratorIjNS8_11use_defaultESA_SA_EEPlZNS1_13binary_searchIS3_S5_PjSB_SC_NS1_21upper_bound_search_opENS8_6detail16wrapped_functionINS0_4lessIvEEbEEEE10hipError_tPvRmT1_T2_T3_mmT4_T5_P12ihipStream_tbEUlRKjE_EESL_SP_SQ_mSR_SU_bEUlT_E_NS1_11comp_targetILNS1_3genE2ELNS1_11target_archE906ELNS1_3gpuE6ELNS1_3repE0EEENS1_30default_config_static_selectorELNS0_4arch9wavefront6targetE1EEEvSO_,comdat
.Lfunc_end123:
	.size	_ZN7rocprim17ROCPRIM_400000_NS6detail17trampoline_kernelINS0_14default_configENS1_27upper_bound_config_selectorIjlEEZNS1_14transform_implILb0ES3_S5_N6thrust23THRUST_200600_302600_NS17counting_iteratorIjNS8_11use_defaultESA_SA_EEPlZNS1_13binary_searchIS3_S5_PjSB_SC_NS1_21upper_bound_search_opENS8_6detail16wrapped_functionINS0_4lessIvEEbEEEE10hipError_tPvRmT1_T2_T3_mmT4_T5_P12ihipStream_tbEUlRKjE_EESL_SP_SQ_mSR_SU_bEUlT_E_NS1_11comp_targetILNS1_3genE2ELNS1_11target_archE906ELNS1_3gpuE6ELNS1_3repE0EEENS1_30default_config_static_selectorELNS0_4arch9wavefront6targetE1EEEvSO_, .Lfunc_end123-_ZN7rocprim17ROCPRIM_400000_NS6detail17trampoline_kernelINS0_14default_configENS1_27upper_bound_config_selectorIjlEEZNS1_14transform_implILb0ES3_S5_N6thrust23THRUST_200600_302600_NS17counting_iteratorIjNS8_11use_defaultESA_SA_EEPlZNS1_13binary_searchIS3_S5_PjSB_SC_NS1_21upper_bound_search_opENS8_6detail16wrapped_functionINS0_4lessIvEEbEEEE10hipError_tPvRmT1_T2_T3_mmT4_T5_P12ihipStream_tbEUlRKjE_EESL_SP_SQ_mSR_SU_bEUlT_E_NS1_11comp_targetILNS1_3genE2ELNS1_11target_archE906ELNS1_3gpuE6ELNS1_3repE0EEENS1_30default_config_static_selectorELNS0_4arch9wavefront6targetE1EEEvSO_
                                        ; -- End function
	.section	.AMDGPU.csdata,"",@progbits
; Kernel info:
; codeLenInByte = 0
; NumSgprs: 4
; NumVgprs: 0
; NumAgprs: 0
; TotalNumVgprs: 0
; ScratchSize: 0
; MemoryBound: 0
; FloatMode: 240
; IeeeMode: 1
; LDSByteSize: 0 bytes/workgroup (compile time only)
; SGPRBlocks: 0
; VGPRBlocks: 0
; NumSGPRsForWavesPerEU: 4
; NumVGPRsForWavesPerEU: 1
; AccumOffset: 4
; Occupancy: 8
; WaveLimiterHint : 0
; COMPUTE_PGM_RSRC2:SCRATCH_EN: 0
; COMPUTE_PGM_RSRC2:USER_SGPR: 6
; COMPUTE_PGM_RSRC2:TRAP_HANDLER: 0
; COMPUTE_PGM_RSRC2:TGID_X_EN: 1
; COMPUTE_PGM_RSRC2:TGID_Y_EN: 0
; COMPUTE_PGM_RSRC2:TGID_Z_EN: 0
; COMPUTE_PGM_RSRC2:TIDIG_COMP_CNT: 0
; COMPUTE_PGM_RSRC3_GFX90A:ACCUM_OFFSET: 0
; COMPUTE_PGM_RSRC3_GFX90A:TG_SPLIT: 0
	.section	.text._ZN7rocprim17ROCPRIM_400000_NS6detail17trampoline_kernelINS0_14default_configENS1_27upper_bound_config_selectorIjlEEZNS1_14transform_implILb0ES3_S5_N6thrust23THRUST_200600_302600_NS17counting_iteratorIjNS8_11use_defaultESA_SA_EEPlZNS1_13binary_searchIS3_S5_PjSB_SC_NS1_21upper_bound_search_opENS8_6detail16wrapped_functionINS0_4lessIvEEbEEEE10hipError_tPvRmT1_T2_T3_mmT4_T5_P12ihipStream_tbEUlRKjE_EESL_SP_SQ_mSR_SU_bEUlT_E_NS1_11comp_targetILNS1_3genE10ELNS1_11target_archE1201ELNS1_3gpuE5ELNS1_3repE0EEENS1_30default_config_static_selectorELNS0_4arch9wavefront6targetE1EEEvSO_,"axG",@progbits,_ZN7rocprim17ROCPRIM_400000_NS6detail17trampoline_kernelINS0_14default_configENS1_27upper_bound_config_selectorIjlEEZNS1_14transform_implILb0ES3_S5_N6thrust23THRUST_200600_302600_NS17counting_iteratorIjNS8_11use_defaultESA_SA_EEPlZNS1_13binary_searchIS3_S5_PjSB_SC_NS1_21upper_bound_search_opENS8_6detail16wrapped_functionINS0_4lessIvEEbEEEE10hipError_tPvRmT1_T2_T3_mmT4_T5_P12ihipStream_tbEUlRKjE_EESL_SP_SQ_mSR_SU_bEUlT_E_NS1_11comp_targetILNS1_3genE10ELNS1_11target_archE1201ELNS1_3gpuE5ELNS1_3repE0EEENS1_30default_config_static_selectorELNS0_4arch9wavefront6targetE1EEEvSO_,comdat
	.protected	_ZN7rocprim17ROCPRIM_400000_NS6detail17trampoline_kernelINS0_14default_configENS1_27upper_bound_config_selectorIjlEEZNS1_14transform_implILb0ES3_S5_N6thrust23THRUST_200600_302600_NS17counting_iteratorIjNS8_11use_defaultESA_SA_EEPlZNS1_13binary_searchIS3_S5_PjSB_SC_NS1_21upper_bound_search_opENS8_6detail16wrapped_functionINS0_4lessIvEEbEEEE10hipError_tPvRmT1_T2_T3_mmT4_T5_P12ihipStream_tbEUlRKjE_EESL_SP_SQ_mSR_SU_bEUlT_E_NS1_11comp_targetILNS1_3genE10ELNS1_11target_archE1201ELNS1_3gpuE5ELNS1_3repE0EEENS1_30default_config_static_selectorELNS0_4arch9wavefront6targetE1EEEvSO_ ; -- Begin function _ZN7rocprim17ROCPRIM_400000_NS6detail17trampoline_kernelINS0_14default_configENS1_27upper_bound_config_selectorIjlEEZNS1_14transform_implILb0ES3_S5_N6thrust23THRUST_200600_302600_NS17counting_iteratorIjNS8_11use_defaultESA_SA_EEPlZNS1_13binary_searchIS3_S5_PjSB_SC_NS1_21upper_bound_search_opENS8_6detail16wrapped_functionINS0_4lessIvEEbEEEE10hipError_tPvRmT1_T2_T3_mmT4_T5_P12ihipStream_tbEUlRKjE_EESL_SP_SQ_mSR_SU_bEUlT_E_NS1_11comp_targetILNS1_3genE10ELNS1_11target_archE1201ELNS1_3gpuE5ELNS1_3repE0EEENS1_30default_config_static_selectorELNS0_4arch9wavefront6targetE1EEEvSO_
	.globl	_ZN7rocprim17ROCPRIM_400000_NS6detail17trampoline_kernelINS0_14default_configENS1_27upper_bound_config_selectorIjlEEZNS1_14transform_implILb0ES3_S5_N6thrust23THRUST_200600_302600_NS17counting_iteratorIjNS8_11use_defaultESA_SA_EEPlZNS1_13binary_searchIS3_S5_PjSB_SC_NS1_21upper_bound_search_opENS8_6detail16wrapped_functionINS0_4lessIvEEbEEEE10hipError_tPvRmT1_T2_T3_mmT4_T5_P12ihipStream_tbEUlRKjE_EESL_SP_SQ_mSR_SU_bEUlT_E_NS1_11comp_targetILNS1_3genE10ELNS1_11target_archE1201ELNS1_3gpuE5ELNS1_3repE0EEENS1_30default_config_static_selectorELNS0_4arch9wavefront6targetE1EEEvSO_
	.p2align	8
	.type	_ZN7rocprim17ROCPRIM_400000_NS6detail17trampoline_kernelINS0_14default_configENS1_27upper_bound_config_selectorIjlEEZNS1_14transform_implILb0ES3_S5_N6thrust23THRUST_200600_302600_NS17counting_iteratorIjNS8_11use_defaultESA_SA_EEPlZNS1_13binary_searchIS3_S5_PjSB_SC_NS1_21upper_bound_search_opENS8_6detail16wrapped_functionINS0_4lessIvEEbEEEE10hipError_tPvRmT1_T2_T3_mmT4_T5_P12ihipStream_tbEUlRKjE_EESL_SP_SQ_mSR_SU_bEUlT_E_NS1_11comp_targetILNS1_3genE10ELNS1_11target_archE1201ELNS1_3gpuE5ELNS1_3repE0EEENS1_30default_config_static_selectorELNS0_4arch9wavefront6targetE1EEEvSO_,@function
_ZN7rocprim17ROCPRIM_400000_NS6detail17trampoline_kernelINS0_14default_configENS1_27upper_bound_config_selectorIjlEEZNS1_14transform_implILb0ES3_S5_N6thrust23THRUST_200600_302600_NS17counting_iteratorIjNS8_11use_defaultESA_SA_EEPlZNS1_13binary_searchIS3_S5_PjSB_SC_NS1_21upper_bound_search_opENS8_6detail16wrapped_functionINS0_4lessIvEEbEEEE10hipError_tPvRmT1_T2_T3_mmT4_T5_P12ihipStream_tbEUlRKjE_EESL_SP_SQ_mSR_SU_bEUlT_E_NS1_11comp_targetILNS1_3genE10ELNS1_11target_archE1201ELNS1_3gpuE5ELNS1_3repE0EEENS1_30default_config_static_selectorELNS0_4arch9wavefront6targetE1EEEvSO_: ; @_ZN7rocprim17ROCPRIM_400000_NS6detail17trampoline_kernelINS0_14default_configENS1_27upper_bound_config_selectorIjlEEZNS1_14transform_implILb0ES3_S5_N6thrust23THRUST_200600_302600_NS17counting_iteratorIjNS8_11use_defaultESA_SA_EEPlZNS1_13binary_searchIS3_S5_PjSB_SC_NS1_21upper_bound_search_opENS8_6detail16wrapped_functionINS0_4lessIvEEbEEEE10hipError_tPvRmT1_T2_T3_mmT4_T5_P12ihipStream_tbEUlRKjE_EESL_SP_SQ_mSR_SU_bEUlT_E_NS1_11comp_targetILNS1_3genE10ELNS1_11target_archE1201ELNS1_3gpuE5ELNS1_3repE0EEENS1_30default_config_static_selectorELNS0_4arch9wavefront6targetE1EEEvSO_
; %bb.0:
	.section	.rodata,"a",@progbits
	.p2align	6, 0x0
	.amdhsa_kernel _ZN7rocprim17ROCPRIM_400000_NS6detail17trampoline_kernelINS0_14default_configENS1_27upper_bound_config_selectorIjlEEZNS1_14transform_implILb0ES3_S5_N6thrust23THRUST_200600_302600_NS17counting_iteratorIjNS8_11use_defaultESA_SA_EEPlZNS1_13binary_searchIS3_S5_PjSB_SC_NS1_21upper_bound_search_opENS8_6detail16wrapped_functionINS0_4lessIvEEbEEEE10hipError_tPvRmT1_T2_T3_mmT4_T5_P12ihipStream_tbEUlRKjE_EESL_SP_SQ_mSR_SU_bEUlT_E_NS1_11comp_targetILNS1_3genE10ELNS1_11target_archE1201ELNS1_3gpuE5ELNS1_3repE0EEENS1_30default_config_static_selectorELNS0_4arch9wavefront6targetE1EEEvSO_
		.amdhsa_group_segment_fixed_size 0
		.amdhsa_private_segment_fixed_size 0
		.amdhsa_kernarg_size 56
		.amdhsa_user_sgpr_count 6
		.amdhsa_user_sgpr_private_segment_buffer 1
		.amdhsa_user_sgpr_dispatch_ptr 0
		.amdhsa_user_sgpr_queue_ptr 0
		.amdhsa_user_sgpr_kernarg_segment_ptr 1
		.amdhsa_user_sgpr_dispatch_id 0
		.amdhsa_user_sgpr_flat_scratch_init 0
		.amdhsa_user_sgpr_kernarg_preload_length 0
		.amdhsa_user_sgpr_kernarg_preload_offset 0
		.amdhsa_user_sgpr_private_segment_size 0
		.amdhsa_uses_dynamic_stack 0
		.amdhsa_system_sgpr_private_segment_wavefront_offset 0
		.amdhsa_system_sgpr_workgroup_id_x 1
		.amdhsa_system_sgpr_workgroup_id_y 0
		.amdhsa_system_sgpr_workgroup_id_z 0
		.amdhsa_system_sgpr_workgroup_info 0
		.amdhsa_system_vgpr_workitem_id 0
		.amdhsa_next_free_vgpr 1
		.amdhsa_next_free_sgpr 0
		.amdhsa_accum_offset 4
		.amdhsa_reserve_vcc 0
		.amdhsa_reserve_flat_scratch 0
		.amdhsa_float_round_mode_32 0
		.amdhsa_float_round_mode_16_64 0
		.amdhsa_float_denorm_mode_32 3
		.amdhsa_float_denorm_mode_16_64 3
		.amdhsa_dx10_clamp 1
		.amdhsa_ieee_mode 1
		.amdhsa_fp16_overflow 0
		.amdhsa_tg_split 0
		.amdhsa_exception_fp_ieee_invalid_op 0
		.amdhsa_exception_fp_denorm_src 0
		.amdhsa_exception_fp_ieee_div_zero 0
		.amdhsa_exception_fp_ieee_overflow 0
		.amdhsa_exception_fp_ieee_underflow 0
		.amdhsa_exception_fp_ieee_inexact 0
		.amdhsa_exception_int_div_zero 0
	.end_amdhsa_kernel
	.section	.text._ZN7rocprim17ROCPRIM_400000_NS6detail17trampoline_kernelINS0_14default_configENS1_27upper_bound_config_selectorIjlEEZNS1_14transform_implILb0ES3_S5_N6thrust23THRUST_200600_302600_NS17counting_iteratorIjNS8_11use_defaultESA_SA_EEPlZNS1_13binary_searchIS3_S5_PjSB_SC_NS1_21upper_bound_search_opENS8_6detail16wrapped_functionINS0_4lessIvEEbEEEE10hipError_tPvRmT1_T2_T3_mmT4_T5_P12ihipStream_tbEUlRKjE_EESL_SP_SQ_mSR_SU_bEUlT_E_NS1_11comp_targetILNS1_3genE10ELNS1_11target_archE1201ELNS1_3gpuE5ELNS1_3repE0EEENS1_30default_config_static_selectorELNS0_4arch9wavefront6targetE1EEEvSO_,"axG",@progbits,_ZN7rocprim17ROCPRIM_400000_NS6detail17trampoline_kernelINS0_14default_configENS1_27upper_bound_config_selectorIjlEEZNS1_14transform_implILb0ES3_S5_N6thrust23THRUST_200600_302600_NS17counting_iteratorIjNS8_11use_defaultESA_SA_EEPlZNS1_13binary_searchIS3_S5_PjSB_SC_NS1_21upper_bound_search_opENS8_6detail16wrapped_functionINS0_4lessIvEEbEEEE10hipError_tPvRmT1_T2_T3_mmT4_T5_P12ihipStream_tbEUlRKjE_EESL_SP_SQ_mSR_SU_bEUlT_E_NS1_11comp_targetILNS1_3genE10ELNS1_11target_archE1201ELNS1_3gpuE5ELNS1_3repE0EEENS1_30default_config_static_selectorELNS0_4arch9wavefront6targetE1EEEvSO_,comdat
.Lfunc_end124:
	.size	_ZN7rocprim17ROCPRIM_400000_NS6detail17trampoline_kernelINS0_14default_configENS1_27upper_bound_config_selectorIjlEEZNS1_14transform_implILb0ES3_S5_N6thrust23THRUST_200600_302600_NS17counting_iteratorIjNS8_11use_defaultESA_SA_EEPlZNS1_13binary_searchIS3_S5_PjSB_SC_NS1_21upper_bound_search_opENS8_6detail16wrapped_functionINS0_4lessIvEEbEEEE10hipError_tPvRmT1_T2_T3_mmT4_T5_P12ihipStream_tbEUlRKjE_EESL_SP_SQ_mSR_SU_bEUlT_E_NS1_11comp_targetILNS1_3genE10ELNS1_11target_archE1201ELNS1_3gpuE5ELNS1_3repE0EEENS1_30default_config_static_selectorELNS0_4arch9wavefront6targetE1EEEvSO_, .Lfunc_end124-_ZN7rocprim17ROCPRIM_400000_NS6detail17trampoline_kernelINS0_14default_configENS1_27upper_bound_config_selectorIjlEEZNS1_14transform_implILb0ES3_S5_N6thrust23THRUST_200600_302600_NS17counting_iteratorIjNS8_11use_defaultESA_SA_EEPlZNS1_13binary_searchIS3_S5_PjSB_SC_NS1_21upper_bound_search_opENS8_6detail16wrapped_functionINS0_4lessIvEEbEEEE10hipError_tPvRmT1_T2_T3_mmT4_T5_P12ihipStream_tbEUlRKjE_EESL_SP_SQ_mSR_SU_bEUlT_E_NS1_11comp_targetILNS1_3genE10ELNS1_11target_archE1201ELNS1_3gpuE5ELNS1_3repE0EEENS1_30default_config_static_selectorELNS0_4arch9wavefront6targetE1EEEvSO_
                                        ; -- End function
	.section	.AMDGPU.csdata,"",@progbits
; Kernel info:
; codeLenInByte = 0
; NumSgprs: 4
; NumVgprs: 0
; NumAgprs: 0
; TotalNumVgprs: 0
; ScratchSize: 0
; MemoryBound: 0
; FloatMode: 240
; IeeeMode: 1
; LDSByteSize: 0 bytes/workgroup (compile time only)
; SGPRBlocks: 0
; VGPRBlocks: 0
; NumSGPRsForWavesPerEU: 4
; NumVGPRsForWavesPerEU: 1
; AccumOffset: 4
; Occupancy: 8
; WaveLimiterHint : 0
; COMPUTE_PGM_RSRC2:SCRATCH_EN: 0
; COMPUTE_PGM_RSRC2:USER_SGPR: 6
; COMPUTE_PGM_RSRC2:TRAP_HANDLER: 0
; COMPUTE_PGM_RSRC2:TGID_X_EN: 1
; COMPUTE_PGM_RSRC2:TGID_Y_EN: 0
; COMPUTE_PGM_RSRC2:TGID_Z_EN: 0
; COMPUTE_PGM_RSRC2:TIDIG_COMP_CNT: 0
; COMPUTE_PGM_RSRC3_GFX90A:ACCUM_OFFSET: 0
; COMPUTE_PGM_RSRC3_GFX90A:TG_SPLIT: 0
	.section	.text._ZN7rocprim17ROCPRIM_400000_NS6detail17trampoline_kernelINS0_14default_configENS1_27upper_bound_config_selectorIjlEEZNS1_14transform_implILb0ES3_S5_N6thrust23THRUST_200600_302600_NS17counting_iteratorIjNS8_11use_defaultESA_SA_EEPlZNS1_13binary_searchIS3_S5_PjSB_SC_NS1_21upper_bound_search_opENS8_6detail16wrapped_functionINS0_4lessIvEEbEEEE10hipError_tPvRmT1_T2_T3_mmT4_T5_P12ihipStream_tbEUlRKjE_EESL_SP_SQ_mSR_SU_bEUlT_E_NS1_11comp_targetILNS1_3genE10ELNS1_11target_archE1200ELNS1_3gpuE4ELNS1_3repE0EEENS1_30default_config_static_selectorELNS0_4arch9wavefront6targetE1EEEvSO_,"axG",@progbits,_ZN7rocprim17ROCPRIM_400000_NS6detail17trampoline_kernelINS0_14default_configENS1_27upper_bound_config_selectorIjlEEZNS1_14transform_implILb0ES3_S5_N6thrust23THRUST_200600_302600_NS17counting_iteratorIjNS8_11use_defaultESA_SA_EEPlZNS1_13binary_searchIS3_S5_PjSB_SC_NS1_21upper_bound_search_opENS8_6detail16wrapped_functionINS0_4lessIvEEbEEEE10hipError_tPvRmT1_T2_T3_mmT4_T5_P12ihipStream_tbEUlRKjE_EESL_SP_SQ_mSR_SU_bEUlT_E_NS1_11comp_targetILNS1_3genE10ELNS1_11target_archE1200ELNS1_3gpuE4ELNS1_3repE0EEENS1_30default_config_static_selectorELNS0_4arch9wavefront6targetE1EEEvSO_,comdat
	.protected	_ZN7rocprim17ROCPRIM_400000_NS6detail17trampoline_kernelINS0_14default_configENS1_27upper_bound_config_selectorIjlEEZNS1_14transform_implILb0ES3_S5_N6thrust23THRUST_200600_302600_NS17counting_iteratorIjNS8_11use_defaultESA_SA_EEPlZNS1_13binary_searchIS3_S5_PjSB_SC_NS1_21upper_bound_search_opENS8_6detail16wrapped_functionINS0_4lessIvEEbEEEE10hipError_tPvRmT1_T2_T3_mmT4_T5_P12ihipStream_tbEUlRKjE_EESL_SP_SQ_mSR_SU_bEUlT_E_NS1_11comp_targetILNS1_3genE10ELNS1_11target_archE1200ELNS1_3gpuE4ELNS1_3repE0EEENS1_30default_config_static_selectorELNS0_4arch9wavefront6targetE1EEEvSO_ ; -- Begin function _ZN7rocprim17ROCPRIM_400000_NS6detail17trampoline_kernelINS0_14default_configENS1_27upper_bound_config_selectorIjlEEZNS1_14transform_implILb0ES3_S5_N6thrust23THRUST_200600_302600_NS17counting_iteratorIjNS8_11use_defaultESA_SA_EEPlZNS1_13binary_searchIS3_S5_PjSB_SC_NS1_21upper_bound_search_opENS8_6detail16wrapped_functionINS0_4lessIvEEbEEEE10hipError_tPvRmT1_T2_T3_mmT4_T5_P12ihipStream_tbEUlRKjE_EESL_SP_SQ_mSR_SU_bEUlT_E_NS1_11comp_targetILNS1_3genE10ELNS1_11target_archE1200ELNS1_3gpuE4ELNS1_3repE0EEENS1_30default_config_static_selectorELNS0_4arch9wavefront6targetE1EEEvSO_
	.globl	_ZN7rocprim17ROCPRIM_400000_NS6detail17trampoline_kernelINS0_14default_configENS1_27upper_bound_config_selectorIjlEEZNS1_14transform_implILb0ES3_S5_N6thrust23THRUST_200600_302600_NS17counting_iteratorIjNS8_11use_defaultESA_SA_EEPlZNS1_13binary_searchIS3_S5_PjSB_SC_NS1_21upper_bound_search_opENS8_6detail16wrapped_functionINS0_4lessIvEEbEEEE10hipError_tPvRmT1_T2_T3_mmT4_T5_P12ihipStream_tbEUlRKjE_EESL_SP_SQ_mSR_SU_bEUlT_E_NS1_11comp_targetILNS1_3genE10ELNS1_11target_archE1200ELNS1_3gpuE4ELNS1_3repE0EEENS1_30default_config_static_selectorELNS0_4arch9wavefront6targetE1EEEvSO_
	.p2align	8
	.type	_ZN7rocprim17ROCPRIM_400000_NS6detail17trampoline_kernelINS0_14default_configENS1_27upper_bound_config_selectorIjlEEZNS1_14transform_implILb0ES3_S5_N6thrust23THRUST_200600_302600_NS17counting_iteratorIjNS8_11use_defaultESA_SA_EEPlZNS1_13binary_searchIS3_S5_PjSB_SC_NS1_21upper_bound_search_opENS8_6detail16wrapped_functionINS0_4lessIvEEbEEEE10hipError_tPvRmT1_T2_T3_mmT4_T5_P12ihipStream_tbEUlRKjE_EESL_SP_SQ_mSR_SU_bEUlT_E_NS1_11comp_targetILNS1_3genE10ELNS1_11target_archE1200ELNS1_3gpuE4ELNS1_3repE0EEENS1_30default_config_static_selectorELNS0_4arch9wavefront6targetE1EEEvSO_,@function
_ZN7rocprim17ROCPRIM_400000_NS6detail17trampoline_kernelINS0_14default_configENS1_27upper_bound_config_selectorIjlEEZNS1_14transform_implILb0ES3_S5_N6thrust23THRUST_200600_302600_NS17counting_iteratorIjNS8_11use_defaultESA_SA_EEPlZNS1_13binary_searchIS3_S5_PjSB_SC_NS1_21upper_bound_search_opENS8_6detail16wrapped_functionINS0_4lessIvEEbEEEE10hipError_tPvRmT1_T2_T3_mmT4_T5_P12ihipStream_tbEUlRKjE_EESL_SP_SQ_mSR_SU_bEUlT_E_NS1_11comp_targetILNS1_3genE10ELNS1_11target_archE1200ELNS1_3gpuE4ELNS1_3repE0EEENS1_30default_config_static_selectorELNS0_4arch9wavefront6targetE1EEEvSO_: ; @_ZN7rocprim17ROCPRIM_400000_NS6detail17trampoline_kernelINS0_14default_configENS1_27upper_bound_config_selectorIjlEEZNS1_14transform_implILb0ES3_S5_N6thrust23THRUST_200600_302600_NS17counting_iteratorIjNS8_11use_defaultESA_SA_EEPlZNS1_13binary_searchIS3_S5_PjSB_SC_NS1_21upper_bound_search_opENS8_6detail16wrapped_functionINS0_4lessIvEEbEEEE10hipError_tPvRmT1_T2_T3_mmT4_T5_P12ihipStream_tbEUlRKjE_EESL_SP_SQ_mSR_SU_bEUlT_E_NS1_11comp_targetILNS1_3genE10ELNS1_11target_archE1200ELNS1_3gpuE4ELNS1_3repE0EEENS1_30default_config_static_selectorELNS0_4arch9wavefront6targetE1EEEvSO_
; %bb.0:
	.section	.rodata,"a",@progbits
	.p2align	6, 0x0
	.amdhsa_kernel _ZN7rocprim17ROCPRIM_400000_NS6detail17trampoline_kernelINS0_14default_configENS1_27upper_bound_config_selectorIjlEEZNS1_14transform_implILb0ES3_S5_N6thrust23THRUST_200600_302600_NS17counting_iteratorIjNS8_11use_defaultESA_SA_EEPlZNS1_13binary_searchIS3_S5_PjSB_SC_NS1_21upper_bound_search_opENS8_6detail16wrapped_functionINS0_4lessIvEEbEEEE10hipError_tPvRmT1_T2_T3_mmT4_T5_P12ihipStream_tbEUlRKjE_EESL_SP_SQ_mSR_SU_bEUlT_E_NS1_11comp_targetILNS1_3genE10ELNS1_11target_archE1200ELNS1_3gpuE4ELNS1_3repE0EEENS1_30default_config_static_selectorELNS0_4arch9wavefront6targetE1EEEvSO_
		.amdhsa_group_segment_fixed_size 0
		.amdhsa_private_segment_fixed_size 0
		.amdhsa_kernarg_size 56
		.amdhsa_user_sgpr_count 6
		.amdhsa_user_sgpr_private_segment_buffer 1
		.amdhsa_user_sgpr_dispatch_ptr 0
		.amdhsa_user_sgpr_queue_ptr 0
		.amdhsa_user_sgpr_kernarg_segment_ptr 1
		.amdhsa_user_sgpr_dispatch_id 0
		.amdhsa_user_sgpr_flat_scratch_init 0
		.amdhsa_user_sgpr_kernarg_preload_length 0
		.amdhsa_user_sgpr_kernarg_preload_offset 0
		.amdhsa_user_sgpr_private_segment_size 0
		.amdhsa_uses_dynamic_stack 0
		.amdhsa_system_sgpr_private_segment_wavefront_offset 0
		.amdhsa_system_sgpr_workgroup_id_x 1
		.amdhsa_system_sgpr_workgroup_id_y 0
		.amdhsa_system_sgpr_workgroup_id_z 0
		.amdhsa_system_sgpr_workgroup_info 0
		.amdhsa_system_vgpr_workitem_id 0
		.amdhsa_next_free_vgpr 1
		.amdhsa_next_free_sgpr 0
		.amdhsa_accum_offset 4
		.amdhsa_reserve_vcc 0
		.amdhsa_reserve_flat_scratch 0
		.amdhsa_float_round_mode_32 0
		.amdhsa_float_round_mode_16_64 0
		.amdhsa_float_denorm_mode_32 3
		.amdhsa_float_denorm_mode_16_64 3
		.amdhsa_dx10_clamp 1
		.amdhsa_ieee_mode 1
		.amdhsa_fp16_overflow 0
		.amdhsa_tg_split 0
		.amdhsa_exception_fp_ieee_invalid_op 0
		.amdhsa_exception_fp_denorm_src 0
		.amdhsa_exception_fp_ieee_div_zero 0
		.amdhsa_exception_fp_ieee_overflow 0
		.amdhsa_exception_fp_ieee_underflow 0
		.amdhsa_exception_fp_ieee_inexact 0
		.amdhsa_exception_int_div_zero 0
	.end_amdhsa_kernel
	.section	.text._ZN7rocprim17ROCPRIM_400000_NS6detail17trampoline_kernelINS0_14default_configENS1_27upper_bound_config_selectorIjlEEZNS1_14transform_implILb0ES3_S5_N6thrust23THRUST_200600_302600_NS17counting_iteratorIjNS8_11use_defaultESA_SA_EEPlZNS1_13binary_searchIS3_S5_PjSB_SC_NS1_21upper_bound_search_opENS8_6detail16wrapped_functionINS0_4lessIvEEbEEEE10hipError_tPvRmT1_T2_T3_mmT4_T5_P12ihipStream_tbEUlRKjE_EESL_SP_SQ_mSR_SU_bEUlT_E_NS1_11comp_targetILNS1_3genE10ELNS1_11target_archE1200ELNS1_3gpuE4ELNS1_3repE0EEENS1_30default_config_static_selectorELNS0_4arch9wavefront6targetE1EEEvSO_,"axG",@progbits,_ZN7rocprim17ROCPRIM_400000_NS6detail17trampoline_kernelINS0_14default_configENS1_27upper_bound_config_selectorIjlEEZNS1_14transform_implILb0ES3_S5_N6thrust23THRUST_200600_302600_NS17counting_iteratorIjNS8_11use_defaultESA_SA_EEPlZNS1_13binary_searchIS3_S5_PjSB_SC_NS1_21upper_bound_search_opENS8_6detail16wrapped_functionINS0_4lessIvEEbEEEE10hipError_tPvRmT1_T2_T3_mmT4_T5_P12ihipStream_tbEUlRKjE_EESL_SP_SQ_mSR_SU_bEUlT_E_NS1_11comp_targetILNS1_3genE10ELNS1_11target_archE1200ELNS1_3gpuE4ELNS1_3repE0EEENS1_30default_config_static_selectorELNS0_4arch9wavefront6targetE1EEEvSO_,comdat
.Lfunc_end125:
	.size	_ZN7rocprim17ROCPRIM_400000_NS6detail17trampoline_kernelINS0_14default_configENS1_27upper_bound_config_selectorIjlEEZNS1_14transform_implILb0ES3_S5_N6thrust23THRUST_200600_302600_NS17counting_iteratorIjNS8_11use_defaultESA_SA_EEPlZNS1_13binary_searchIS3_S5_PjSB_SC_NS1_21upper_bound_search_opENS8_6detail16wrapped_functionINS0_4lessIvEEbEEEE10hipError_tPvRmT1_T2_T3_mmT4_T5_P12ihipStream_tbEUlRKjE_EESL_SP_SQ_mSR_SU_bEUlT_E_NS1_11comp_targetILNS1_3genE10ELNS1_11target_archE1200ELNS1_3gpuE4ELNS1_3repE0EEENS1_30default_config_static_selectorELNS0_4arch9wavefront6targetE1EEEvSO_, .Lfunc_end125-_ZN7rocprim17ROCPRIM_400000_NS6detail17trampoline_kernelINS0_14default_configENS1_27upper_bound_config_selectorIjlEEZNS1_14transform_implILb0ES3_S5_N6thrust23THRUST_200600_302600_NS17counting_iteratorIjNS8_11use_defaultESA_SA_EEPlZNS1_13binary_searchIS3_S5_PjSB_SC_NS1_21upper_bound_search_opENS8_6detail16wrapped_functionINS0_4lessIvEEbEEEE10hipError_tPvRmT1_T2_T3_mmT4_T5_P12ihipStream_tbEUlRKjE_EESL_SP_SQ_mSR_SU_bEUlT_E_NS1_11comp_targetILNS1_3genE10ELNS1_11target_archE1200ELNS1_3gpuE4ELNS1_3repE0EEENS1_30default_config_static_selectorELNS0_4arch9wavefront6targetE1EEEvSO_
                                        ; -- End function
	.section	.AMDGPU.csdata,"",@progbits
; Kernel info:
; codeLenInByte = 0
; NumSgprs: 4
; NumVgprs: 0
; NumAgprs: 0
; TotalNumVgprs: 0
; ScratchSize: 0
; MemoryBound: 0
; FloatMode: 240
; IeeeMode: 1
; LDSByteSize: 0 bytes/workgroup (compile time only)
; SGPRBlocks: 0
; VGPRBlocks: 0
; NumSGPRsForWavesPerEU: 4
; NumVGPRsForWavesPerEU: 1
; AccumOffset: 4
; Occupancy: 8
; WaveLimiterHint : 0
; COMPUTE_PGM_RSRC2:SCRATCH_EN: 0
; COMPUTE_PGM_RSRC2:USER_SGPR: 6
; COMPUTE_PGM_RSRC2:TRAP_HANDLER: 0
; COMPUTE_PGM_RSRC2:TGID_X_EN: 1
; COMPUTE_PGM_RSRC2:TGID_Y_EN: 0
; COMPUTE_PGM_RSRC2:TGID_Z_EN: 0
; COMPUTE_PGM_RSRC2:TIDIG_COMP_CNT: 0
; COMPUTE_PGM_RSRC3_GFX90A:ACCUM_OFFSET: 0
; COMPUTE_PGM_RSRC3_GFX90A:TG_SPLIT: 0
	.section	.text._ZN7rocprim17ROCPRIM_400000_NS6detail17trampoline_kernelINS0_14default_configENS1_27upper_bound_config_selectorIjlEEZNS1_14transform_implILb0ES3_S5_N6thrust23THRUST_200600_302600_NS17counting_iteratorIjNS8_11use_defaultESA_SA_EEPlZNS1_13binary_searchIS3_S5_PjSB_SC_NS1_21upper_bound_search_opENS8_6detail16wrapped_functionINS0_4lessIvEEbEEEE10hipError_tPvRmT1_T2_T3_mmT4_T5_P12ihipStream_tbEUlRKjE_EESL_SP_SQ_mSR_SU_bEUlT_E_NS1_11comp_targetILNS1_3genE9ELNS1_11target_archE1100ELNS1_3gpuE3ELNS1_3repE0EEENS1_30default_config_static_selectorELNS0_4arch9wavefront6targetE1EEEvSO_,"axG",@progbits,_ZN7rocprim17ROCPRIM_400000_NS6detail17trampoline_kernelINS0_14default_configENS1_27upper_bound_config_selectorIjlEEZNS1_14transform_implILb0ES3_S5_N6thrust23THRUST_200600_302600_NS17counting_iteratorIjNS8_11use_defaultESA_SA_EEPlZNS1_13binary_searchIS3_S5_PjSB_SC_NS1_21upper_bound_search_opENS8_6detail16wrapped_functionINS0_4lessIvEEbEEEE10hipError_tPvRmT1_T2_T3_mmT4_T5_P12ihipStream_tbEUlRKjE_EESL_SP_SQ_mSR_SU_bEUlT_E_NS1_11comp_targetILNS1_3genE9ELNS1_11target_archE1100ELNS1_3gpuE3ELNS1_3repE0EEENS1_30default_config_static_selectorELNS0_4arch9wavefront6targetE1EEEvSO_,comdat
	.protected	_ZN7rocprim17ROCPRIM_400000_NS6detail17trampoline_kernelINS0_14default_configENS1_27upper_bound_config_selectorIjlEEZNS1_14transform_implILb0ES3_S5_N6thrust23THRUST_200600_302600_NS17counting_iteratorIjNS8_11use_defaultESA_SA_EEPlZNS1_13binary_searchIS3_S5_PjSB_SC_NS1_21upper_bound_search_opENS8_6detail16wrapped_functionINS0_4lessIvEEbEEEE10hipError_tPvRmT1_T2_T3_mmT4_T5_P12ihipStream_tbEUlRKjE_EESL_SP_SQ_mSR_SU_bEUlT_E_NS1_11comp_targetILNS1_3genE9ELNS1_11target_archE1100ELNS1_3gpuE3ELNS1_3repE0EEENS1_30default_config_static_selectorELNS0_4arch9wavefront6targetE1EEEvSO_ ; -- Begin function _ZN7rocprim17ROCPRIM_400000_NS6detail17trampoline_kernelINS0_14default_configENS1_27upper_bound_config_selectorIjlEEZNS1_14transform_implILb0ES3_S5_N6thrust23THRUST_200600_302600_NS17counting_iteratorIjNS8_11use_defaultESA_SA_EEPlZNS1_13binary_searchIS3_S5_PjSB_SC_NS1_21upper_bound_search_opENS8_6detail16wrapped_functionINS0_4lessIvEEbEEEE10hipError_tPvRmT1_T2_T3_mmT4_T5_P12ihipStream_tbEUlRKjE_EESL_SP_SQ_mSR_SU_bEUlT_E_NS1_11comp_targetILNS1_3genE9ELNS1_11target_archE1100ELNS1_3gpuE3ELNS1_3repE0EEENS1_30default_config_static_selectorELNS0_4arch9wavefront6targetE1EEEvSO_
	.globl	_ZN7rocprim17ROCPRIM_400000_NS6detail17trampoline_kernelINS0_14default_configENS1_27upper_bound_config_selectorIjlEEZNS1_14transform_implILb0ES3_S5_N6thrust23THRUST_200600_302600_NS17counting_iteratorIjNS8_11use_defaultESA_SA_EEPlZNS1_13binary_searchIS3_S5_PjSB_SC_NS1_21upper_bound_search_opENS8_6detail16wrapped_functionINS0_4lessIvEEbEEEE10hipError_tPvRmT1_T2_T3_mmT4_T5_P12ihipStream_tbEUlRKjE_EESL_SP_SQ_mSR_SU_bEUlT_E_NS1_11comp_targetILNS1_3genE9ELNS1_11target_archE1100ELNS1_3gpuE3ELNS1_3repE0EEENS1_30default_config_static_selectorELNS0_4arch9wavefront6targetE1EEEvSO_
	.p2align	8
	.type	_ZN7rocprim17ROCPRIM_400000_NS6detail17trampoline_kernelINS0_14default_configENS1_27upper_bound_config_selectorIjlEEZNS1_14transform_implILb0ES3_S5_N6thrust23THRUST_200600_302600_NS17counting_iteratorIjNS8_11use_defaultESA_SA_EEPlZNS1_13binary_searchIS3_S5_PjSB_SC_NS1_21upper_bound_search_opENS8_6detail16wrapped_functionINS0_4lessIvEEbEEEE10hipError_tPvRmT1_T2_T3_mmT4_T5_P12ihipStream_tbEUlRKjE_EESL_SP_SQ_mSR_SU_bEUlT_E_NS1_11comp_targetILNS1_3genE9ELNS1_11target_archE1100ELNS1_3gpuE3ELNS1_3repE0EEENS1_30default_config_static_selectorELNS0_4arch9wavefront6targetE1EEEvSO_,@function
_ZN7rocprim17ROCPRIM_400000_NS6detail17trampoline_kernelINS0_14default_configENS1_27upper_bound_config_selectorIjlEEZNS1_14transform_implILb0ES3_S5_N6thrust23THRUST_200600_302600_NS17counting_iteratorIjNS8_11use_defaultESA_SA_EEPlZNS1_13binary_searchIS3_S5_PjSB_SC_NS1_21upper_bound_search_opENS8_6detail16wrapped_functionINS0_4lessIvEEbEEEE10hipError_tPvRmT1_T2_T3_mmT4_T5_P12ihipStream_tbEUlRKjE_EESL_SP_SQ_mSR_SU_bEUlT_E_NS1_11comp_targetILNS1_3genE9ELNS1_11target_archE1100ELNS1_3gpuE3ELNS1_3repE0EEENS1_30default_config_static_selectorELNS0_4arch9wavefront6targetE1EEEvSO_: ; @_ZN7rocprim17ROCPRIM_400000_NS6detail17trampoline_kernelINS0_14default_configENS1_27upper_bound_config_selectorIjlEEZNS1_14transform_implILb0ES3_S5_N6thrust23THRUST_200600_302600_NS17counting_iteratorIjNS8_11use_defaultESA_SA_EEPlZNS1_13binary_searchIS3_S5_PjSB_SC_NS1_21upper_bound_search_opENS8_6detail16wrapped_functionINS0_4lessIvEEbEEEE10hipError_tPvRmT1_T2_T3_mmT4_T5_P12ihipStream_tbEUlRKjE_EESL_SP_SQ_mSR_SU_bEUlT_E_NS1_11comp_targetILNS1_3genE9ELNS1_11target_archE1100ELNS1_3gpuE3ELNS1_3repE0EEENS1_30default_config_static_selectorELNS0_4arch9wavefront6targetE1EEEvSO_
; %bb.0:
	.section	.rodata,"a",@progbits
	.p2align	6, 0x0
	.amdhsa_kernel _ZN7rocprim17ROCPRIM_400000_NS6detail17trampoline_kernelINS0_14default_configENS1_27upper_bound_config_selectorIjlEEZNS1_14transform_implILb0ES3_S5_N6thrust23THRUST_200600_302600_NS17counting_iteratorIjNS8_11use_defaultESA_SA_EEPlZNS1_13binary_searchIS3_S5_PjSB_SC_NS1_21upper_bound_search_opENS8_6detail16wrapped_functionINS0_4lessIvEEbEEEE10hipError_tPvRmT1_T2_T3_mmT4_T5_P12ihipStream_tbEUlRKjE_EESL_SP_SQ_mSR_SU_bEUlT_E_NS1_11comp_targetILNS1_3genE9ELNS1_11target_archE1100ELNS1_3gpuE3ELNS1_3repE0EEENS1_30default_config_static_selectorELNS0_4arch9wavefront6targetE1EEEvSO_
		.amdhsa_group_segment_fixed_size 0
		.amdhsa_private_segment_fixed_size 0
		.amdhsa_kernarg_size 56
		.amdhsa_user_sgpr_count 6
		.amdhsa_user_sgpr_private_segment_buffer 1
		.amdhsa_user_sgpr_dispatch_ptr 0
		.amdhsa_user_sgpr_queue_ptr 0
		.amdhsa_user_sgpr_kernarg_segment_ptr 1
		.amdhsa_user_sgpr_dispatch_id 0
		.amdhsa_user_sgpr_flat_scratch_init 0
		.amdhsa_user_sgpr_kernarg_preload_length 0
		.amdhsa_user_sgpr_kernarg_preload_offset 0
		.amdhsa_user_sgpr_private_segment_size 0
		.amdhsa_uses_dynamic_stack 0
		.amdhsa_system_sgpr_private_segment_wavefront_offset 0
		.amdhsa_system_sgpr_workgroup_id_x 1
		.amdhsa_system_sgpr_workgroup_id_y 0
		.amdhsa_system_sgpr_workgroup_id_z 0
		.amdhsa_system_sgpr_workgroup_info 0
		.amdhsa_system_vgpr_workitem_id 0
		.amdhsa_next_free_vgpr 1
		.amdhsa_next_free_sgpr 0
		.amdhsa_accum_offset 4
		.amdhsa_reserve_vcc 0
		.amdhsa_reserve_flat_scratch 0
		.amdhsa_float_round_mode_32 0
		.amdhsa_float_round_mode_16_64 0
		.amdhsa_float_denorm_mode_32 3
		.amdhsa_float_denorm_mode_16_64 3
		.amdhsa_dx10_clamp 1
		.amdhsa_ieee_mode 1
		.amdhsa_fp16_overflow 0
		.amdhsa_tg_split 0
		.amdhsa_exception_fp_ieee_invalid_op 0
		.amdhsa_exception_fp_denorm_src 0
		.amdhsa_exception_fp_ieee_div_zero 0
		.amdhsa_exception_fp_ieee_overflow 0
		.amdhsa_exception_fp_ieee_underflow 0
		.amdhsa_exception_fp_ieee_inexact 0
		.amdhsa_exception_int_div_zero 0
	.end_amdhsa_kernel
	.section	.text._ZN7rocprim17ROCPRIM_400000_NS6detail17trampoline_kernelINS0_14default_configENS1_27upper_bound_config_selectorIjlEEZNS1_14transform_implILb0ES3_S5_N6thrust23THRUST_200600_302600_NS17counting_iteratorIjNS8_11use_defaultESA_SA_EEPlZNS1_13binary_searchIS3_S5_PjSB_SC_NS1_21upper_bound_search_opENS8_6detail16wrapped_functionINS0_4lessIvEEbEEEE10hipError_tPvRmT1_T2_T3_mmT4_T5_P12ihipStream_tbEUlRKjE_EESL_SP_SQ_mSR_SU_bEUlT_E_NS1_11comp_targetILNS1_3genE9ELNS1_11target_archE1100ELNS1_3gpuE3ELNS1_3repE0EEENS1_30default_config_static_selectorELNS0_4arch9wavefront6targetE1EEEvSO_,"axG",@progbits,_ZN7rocprim17ROCPRIM_400000_NS6detail17trampoline_kernelINS0_14default_configENS1_27upper_bound_config_selectorIjlEEZNS1_14transform_implILb0ES3_S5_N6thrust23THRUST_200600_302600_NS17counting_iteratorIjNS8_11use_defaultESA_SA_EEPlZNS1_13binary_searchIS3_S5_PjSB_SC_NS1_21upper_bound_search_opENS8_6detail16wrapped_functionINS0_4lessIvEEbEEEE10hipError_tPvRmT1_T2_T3_mmT4_T5_P12ihipStream_tbEUlRKjE_EESL_SP_SQ_mSR_SU_bEUlT_E_NS1_11comp_targetILNS1_3genE9ELNS1_11target_archE1100ELNS1_3gpuE3ELNS1_3repE0EEENS1_30default_config_static_selectorELNS0_4arch9wavefront6targetE1EEEvSO_,comdat
.Lfunc_end126:
	.size	_ZN7rocprim17ROCPRIM_400000_NS6detail17trampoline_kernelINS0_14default_configENS1_27upper_bound_config_selectorIjlEEZNS1_14transform_implILb0ES3_S5_N6thrust23THRUST_200600_302600_NS17counting_iteratorIjNS8_11use_defaultESA_SA_EEPlZNS1_13binary_searchIS3_S5_PjSB_SC_NS1_21upper_bound_search_opENS8_6detail16wrapped_functionINS0_4lessIvEEbEEEE10hipError_tPvRmT1_T2_T3_mmT4_T5_P12ihipStream_tbEUlRKjE_EESL_SP_SQ_mSR_SU_bEUlT_E_NS1_11comp_targetILNS1_3genE9ELNS1_11target_archE1100ELNS1_3gpuE3ELNS1_3repE0EEENS1_30default_config_static_selectorELNS0_4arch9wavefront6targetE1EEEvSO_, .Lfunc_end126-_ZN7rocprim17ROCPRIM_400000_NS6detail17trampoline_kernelINS0_14default_configENS1_27upper_bound_config_selectorIjlEEZNS1_14transform_implILb0ES3_S5_N6thrust23THRUST_200600_302600_NS17counting_iteratorIjNS8_11use_defaultESA_SA_EEPlZNS1_13binary_searchIS3_S5_PjSB_SC_NS1_21upper_bound_search_opENS8_6detail16wrapped_functionINS0_4lessIvEEbEEEE10hipError_tPvRmT1_T2_T3_mmT4_T5_P12ihipStream_tbEUlRKjE_EESL_SP_SQ_mSR_SU_bEUlT_E_NS1_11comp_targetILNS1_3genE9ELNS1_11target_archE1100ELNS1_3gpuE3ELNS1_3repE0EEENS1_30default_config_static_selectorELNS0_4arch9wavefront6targetE1EEEvSO_
                                        ; -- End function
	.section	.AMDGPU.csdata,"",@progbits
; Kernel info:
; codeLenInByte = 0
; NumSgprs: 4
; NumVgprs: 0
; NumAgprs: 0
; TotalNumVgprs: 0
; ScratchSize: 0
; MemoryBound: 0
; FloatMode: 240
; IeeeMode: 1
; LDSByteSize: 0 bytes/workgroup (compile time only)
; SGPRBlocks: 0
; VGPRBlocks: 0
; NumSGPRsForWavesPerEU: 4
; NumVGPRsForWavesPerEU: 1
; AccumOffset: 4
; Occupancy: 8
; WaveLimiterHint : 0
; COMPUTE_PGM_RSRC2:SCRATCH_EN: 0
; COMPUTE_PGM_RSRC2:USER_SGPR: 6
; COMPUTE_PGM_RSRC2:TRAP_HANDLER: 0
; COMPUTE_PGM_RSRC2:TGID_X_EN: 1
; COMPUTE_PGM_RSRC2:TGID_Y_EN: 0
; COMPUTE_PGM_RSRC2:TGID_Z_EN: 0
; COMPUTE_PGM_RSRC2:TIDIG_COMP_CNT: 0
; COMPUTE_PGM_RSRC3_GFX90A:ACCUM_OFFSET: 0
; COMPUTE_PGM_RSRC3_GFX90A:TG_SPLIT: 0
	.section	.text._ZN7rocprim17ROCPRIM_400000_NS6detail17trampoline_kernelINS0_14default_configENS1_27upper_bound_config_selectorIjlEEZNS1_14transform_implILb0ES3_S5_N6thrust23THRUST_200600_302600_NS17counting_iteratorIjNS8_11use_defaultESA_SA_EEPlZNS1_13binary_searchIS3_S5_PjSB_SC_NS1_21upper_bound_search_opENS8_6detail16wrapped_functionINS0_4lessIvEEbEEEE10hipError_tPvRmT1_T2_T3_mmT4_T5_P12ihipStream_tbEUlRKjE_EESL_SP_SQ_mSR_SU_bEUlT_E_NS1_11comp_targetILNS1_3genE8ELNS1_11target_archE1030ELNS1_3gpuE2ELNS1_3repE0EEENS1_30default_config_static_selectorELNS0_4arch9wavefront6targetE1EEEvSO_,"axG",@progbits,_ZN7rocprim17ROCPRIM_400000_NS6detail17trampoline_kernelINS0_14default_configENS1_27upper_bound_config_selectorIjlEEZNS1_14transform_implILb0ES3_S5_N6thrust23THRUST_200600_302600_NS17counting_iteratorIjNS8_11use_defaultESA_SA_EEPlZNS1_13binary_searchIS3_S5_PjSB_SC_NS1_21upper_bound_search_opENS8_6detail16wrapped_functionINS0_4lessIvEEbEEEE10hipError_tPvRmT1_T2_T3_mmT4_T5_P12ihipStream_tbEUlRKjE_EESL_SP_SQ_mSR_SU_bEUlT_E_NS1_11comp_targetILNS1_3genE8ELNS1_11target_archE1030ELNS1_3gpuE2ELNS1_3repE0EEENS1_30default_config_static_selectorELNS0_4arch9wavefront6targetE1EEEvSO_,comdat
	.protected	_ZN7rocprim17ROCPRIM_400000_NS6detail17trampoline_kernelINS0_14default_configENS1_27upper_bound_config_selectorIjlEEZNS1_14transform_implILb0ES3_S5_N6thrust23THRUST_200600_302600_NS17counting_iteratorIjNS8_11use_defaultESA_SA_EEPlZNS1_13binary_searchIS3_S5_PjSB_SC_NS1_21upper_bound_search_opENS8_6detail16wrapped_functionINS0_4lessIvEEbEEEE10hipError_tPvRmT1_T2_T3_mmT4_T5_P12ihipStream_tbEUlRKjE_EESL_SP_SQ_mSR_SU_bEUlT_E_NS1_11comp_targetILNS1_3genE8ELNS1_11target_archE1030ELNS1_3gpuE2ELNS1_3repE0EEENS1_30default_config_static_selectorELNS0_4arch9wavefront6targetE1EEEvSO_ ; -- Begin function _ZN7rocprim17ROCPRIM_400000_NS6detail17trampoline_kernelINS0_14default_configENS1_27upper_bound_config_selectorIjlEEZNS1_14transform_implILb0ES3_S5_N6thrust23THRUST_200600_302600_NS17counting_iteratorIjNS8_11use_defaultESA_SA_EEPlZNS1_13binary_searchIS3_S5_PjSB_SC_NS1_21upper_bound_search_opENS8_6detail16wrapped_functionINS0_4lessIvEEbEEEE10hipError_tPvRmT1_T2_T3_mmT4_T5_P12ihipStream_tbEUlRKjE_EESL_SP_SQ_mSR_SU_bEUlT_E_NS1_11comp_targetILNS1_3genE8ELNS1_11target_archE1030ELNS1_3gpuE2ELNS1_3repE0EEENS1_30default_config_static_selectorELNS0_4arch9wavefront6targetE1EEEvSO_
	.globl	_ZN7rocprim17ROCPRIM_400000_NS6detail17trampoline_kernelINS0_14default_configENS1_27upper_bound_config_selectorIjlEEZNS1_14transform_implILb0ES3_S5_N6thrust23THRUST_200600_302600_NS17counting_iteratorIjNS8_11use_defaultESA_SA_EEPlZNS1_13binary_searchIS3_S5_PjSB_SC_NS1_21upper_bound_search_opENS8_6detail16wrapped_functionINS0_4lessIvEEbEEEE10hipError_tPvRmT1_T2_T3_mmT4_T5_P12ihipStream_tbEUlRKjE_EESL_SP_SQ_mSR_SU_bEUlT_E_NS1_11comp_targetILNS1_3genE8ELNS1_11target_archE1030ELNS1_3gpuE2ELNS1_3repE0EEENS1_30default_config_static_selectorELNS0_4arch9wavefront6targetE1EEEvSO_
	.p2align	8
	.type	_ZN7rocprim17ROCPRIM_400000_NS6detail17trampoline_kernelINS0_14default_configENS1_27upper_bound_config_selectorIjlEEZNS1_14transform_implILb0ES3_S5_N6thrust23THRUST_200600_302600_NS17counting_iteratorIjNS8_11use_defaultESA_SA_EEPlZNS1_13binary_searchIS3_S5_PjSB_SC_NS1_21upper_bound_search_opENS8_6detail16wrapped_functionINS0_4lessIvEEbEEEE10hipError_tPvRmT1_T2_T3_mmT4_T5_P12ihipStream_tbEUlRKjE_EESL_SP_SQ_mSR_SU_bEUlT_E_NS1_11comp_targetILNS1_3genE8ELNS1_11target_archE1030ELNS1_3gpuE2ELNS1_3repE0EEENS1_30default_config_static_selectorELNS0_4arch9wavefront6targetE1EEEvSO_,@function
_ZN7rocprim17ROCPRIM_400000_NS6detail17trampoline_kernelINS0_14default_configENS1_27upper_bound_config_selectorIjlEEZNS1_14transform_implILb0ES3_S5_N6thrust23THRUST_200600_302600_NS17counting_iteratorIjNS8_11use_defaultESA_SA_EEPlZNS1_13binary_searchIS3_S5_PjSB_SC_NS1_21upper_bound_search_opENS8_6detail16wrapped_functionINS0_4lessIvEEbEEEE10hipError_tPvRmT1_T2_T3_mmT4_T5_P12ihipStream_tbEUlRKjE_EESL_SP_SQ_mSR_SU_bEUlT_E_NS1_11comp_targetILNS1_3genE8ELNS1_11target_archE1030ELNS1_3gpuE2ELNS1_3repE0EEENS1_30default_config_static_selectorELNS0_4arch9wavefront6targetE1EEEvSO_: ; @_ZN7rocprim17ROCPRIM_400000_NS6detail17trampoline_kernelINS0_14default_configENS1_27upper_bound_config_selectorIjlEEZNS1_14transform_implILb0ES3_S5_N6thrust23THRUST_200600_302600_NS17counting_iteratorIjNS8_11use_defaultESA_SA_EEPlZNS1_13binary_searchIS3_S5_PjSB_SC_NS1_21upper_bound_search_opENS8_6detail16wrapped_functionINS0_4lessIvEEbEEEE10hipError_tPvRmT1_T2_T3_mmT4_T5_P12ihipStream_tbEUlRKjE_EESL_SP_SQ_mSR_SU_bEUlT_E_NS1_11comp_targetILNS1_3genE8ELNS1_11target_archE1030ELNS1_3gpuE2ELNS1_3repE0EEENS1_30default_config_static_selectorELNS0_4arch9wavefront6targetE1EEEvSO_
; %bb.0:
	.section	.rodata,"a",@progbits
	.p2align	6, 0x0
	.amdhsa_kernel _ZN7rocprim17ROCPRIM_400000_NS6detail17trampoline_kernelINS0_14default_configENS1_27upper_bound_config_selectorIjlEEZNS1_14transform_implILb0ES3_S5_N6thrust23THRUST_200600_302600_NS17counting_iteratorIjNS8_11use_defaultESA_SA_EEPlZNS1_13binary_searchIS3_S5_PjSB_SC_NS1_21upper_bound_search_opENS8_6detail16wrapped_functionINS0_4lessIvEEbEEEE10hipError_tPvRmT1_T2_T3_mmT4_T5_P12ihipStream_tbEUlRKjE_EESL_SP_SQ_mSR_SU_bEUlT_E_NS1_11comp_targetILNS1_3genE8ELNS1_11target_archE1030ELNS1_3gpuE2ELNS1_3repE0EEENS1_30default_config_static_selectorELNS0_4arch9wavefront6targetE1EEEvSO_
		.amdhsa_group_segment_fixed_size 0
		.amdhsa_private_segment_fixed_size 0
		.amdhsa_kernarg_size 56
		.amdhsa_user_sgpr_count 6
		.amdhsa_user_sgpr_private_segment_buffer 1
		.amdhsa_user_sgpr_dispatch_ptr 0
		.amdhsa_user_sgpr_queue_ptr 0
		.amdhsa_user_sgpr_kernarg_segment_ptr 1
		.amdhsa_user_sgpr_dispatch_id 0
		.amdhsa_user_sgpr_flat_scratch_init 0
		.amdhsa_user_sgpr_kernarg_preload_length 0
		.amdhsa_user_sgpr_kernarg_preload_offset 0
		.amdhsa_user_sgpr_private_segment_size 0
		.amdhsa_uses_dynamic_stack 0
		.amdhsa_system_sgpr_private_segment_wavefront_offset 0
		.amdhsa_system_sgpr_workgroup_id_x 1
		.amdhsa_system_sgpr_workgroup_id_y 0
		.amdhsa_system_sgpr_workgroup_id_z 0
		.amdhsa_system_sgpr_workgroup_info 0
		.amdhsa_system_vgpr_workitem_id 0
		.amdhsa_next_free_vgpr 1
		.amdhsa_next_free_sgpr 0
		.amdhsa_accum_offset 4
		.amdhsa_reserve_vcc 0
		.amdhsa_reserve_flat_scratch 0
		.amdhsa_float_round_mode_32 0
		.amdhsa_float_round_mode_16_64 0
		.amdhsa_float_denorm_mode_32 3
		.amdhsa_float_denorm_mode_16_64 3
		.amdhsa_dx10_clamp 1
		.amdhsa_ieee_mode 1
		.amdhsa_fp16_overflow 0
		.amdhsa_tg_split 0
		.amdhsa_exception_fp_ieee_invalid_op 0
		.amdhsa_exception_fp_denorm_src 0
		.amdhsa_exception_fp_ieee_div_zero 0
		.amdhsa_exception_fp_ieee_overflow 0
		.amdhsa_exception_fp_ieee_underflow 0
		.amdhsa_exception_fp_ieee_inexact 0
		.amdhsa_exception_int_div_zero 0
	.end_amdhsa_kernel
	.section	.text._ZN7rocprim17ROCPRIM_400000_NS6detail17trampoline_kernelINS0_14default_configENS1_27upper_bound_config_selectorIjlEEZNS1_14transform_implILb0ES3_S5_N6thrust23THRUST_200600_302600_NS17counting_iteratorIjNS8_11use_defaultESA_SA_EEPlZNS1_13binary_searchIS3_S5_PjSB_SC_NS1_21upper_bound_search_opENS8_6detail16wrapped_functionINS0_4lessIvEEbEEEE10hipError_tPvRmT1_T2_T3_mmT4_T5_P12ihipStream_tbEUlRKjE_EESL_SP_SQ_mSR_SU_bEUlT_E_NS1_11comp_targetILNS1_3genE8ELNS1_11target_archE1030ELNS1_3gpuE2ELNS1_3repE0EEENS1_30default_config_static_selectorELNS0_4arch9wavefront6targetE1EEEvSO_,"axG",@progbits,_ZN7rocprim17ROCPRIM_400000_NS6detail17trampoline_kernelINS0_14default_configENS1_27upper_bound_config_selectorIjlEEZNS1_14transform_implILb0ES3_S5_N6thrust23THRUST_200600_302600_NS17counting_iteratorIjNS8_11use_defaultESA_SA_EEPlZNS1_13binary_searchIS3_S5_PjSB_SC_NS1_21upper_bound_search_opENS8_6detail16wrapped_functionINS0_4lessIvEEbEEEE10hipError_tPvRmT1_T2_T3_mmT4_T5_P12ihipStream_tbEUlRKjE_EESL_SP_SQ_mSR_SU_bEUlT_E_NS1_11comp_targetILNS1_3genE8ELNS1_11target_archE1030ELNS1_3gpuE2ELNS1_3repE0EEENS1_30default_config_static_selectorELNS0_4arch9wavefront6targetE1EEEvSO_,comdat
.Lfunc_end127:
	.size	_ZN7rocprim17ROCPRIM_400000_NS6detail17trampoline_kernelINS0_14default_configENS1_27upper_bound_config_selectorIjlEEZNS1_14transform_implILb0ES3_S5_N6thrust23THRUST_200600_302600_NS17counting_iteratorIjNS8_11use_defaultESA_SA_EEPlZNS1_13binary_searchIS3_S5_PjSB_SC_NS1_21upper_bound_search_opENS8_6detail16wrapped_functionINS0_4lessIvEEbEEEE10hipError_tPvRmT1_T2_T3_mmT4_T5_P12ihipStream_tbEUlRKjE_EESL_SP_SQ_mSR_SU_bEUlT_E_NS1_11comp_targetILNS1_3genE8ELNS1_11target_archE1030ELNS1_3gpuE2ELNS1_3repE0EEENS1_30default_config_static_selectorELNS0_4arch9wavefront6targetE1EEEvSO_, .Lfunc_end127-_ZN7rocprim17ROCPRIM_400000_NS6detail17trampoline_kernelINS0_14default_configENS1_27upper_bound_config_selectorIjlEEZNS1_14transform_implILb0ES3_S5_N6thrust23THRUST_200600_302600_NS17counting_iteratorIjNS8_11use_defaultESA_SA_EEPlZNS1_13binary_searchIS3_S5_PjSB_SC_NS1_21upper_bound_search_opENS8_6detail16wrapped_functionINS0_4lessIvEEbEEEE10hipError_tPvRmT1_T2_T3_mmT4_T5_P12ihipStream_tbEUlRKjE_EESL_SP_SQ_mSR_SU_bEUlT_E_NS1_11comp_targetILNS1_3genE8ELNS1_11target_archE1030ELNS1_3gpuE2ELNS1_3repE0EEENS1_30default_config_static_selectorELNS0_4arch9wavefront6targetE1EEEvSO_
                                        ; -- End function
	.section	.AMDGPU.csdata,"",@progbits
; Kernel info:
; codeLenInByte = 0
; NumSgprs: 4
; NumVgprs: 0
; NumAgprs: 0
; TotalNumVgprs: 0
; ScratchSize: 0
; MemoryBound: 0
; FloatMode: 240
; IeeeMode: 1
; LDSByteSize: 0 bytes/workgroup (compile time only)
; SGPRBlocks: 0
; VGPRBlocks: 0
; NumSGPRsForWavesPerEU: 4
; NumVGPRsForWavesPerEU: 1
; AccumOffset: 4
; Occupancy: 8
; WaveLimiterHint : 0
; COMPUTE_PGM_RSRC2:SCRATCH_EN: 0
; COMPUTE_PGM_RSRC2:USER_SGPR: 6
; COMPUTE_PGM_RSRC2:TRAP_HANDLER: 0
; COMPUTE_PGM_RSRC2:TGID_X_EN: 1
; COMPUTE_PGM_RSRC2:TGID_Y_EN: 0
; COMPUTE_PGM_RSRC2:TGID_Z_EN: 0
; COMPUTE_PGM_RSRC2:TIDIG_COMP_CNT: 0
; COMPUTE_PGM_RSRC3_GFX90A:ACCUM_OFFSET: 0
; COMPUTE_PGM_RSRC3_GFX90A:TG_SPLIT: 0
	.section	.text._Z18upper_bound_kernelItEvmPT_Pl,"axG",@progbits,_Z18upper_bound_kernelItEvmPT_Pl,comdat
	.protected	_Z18upper_bound_kernelItEvmPT_Pl ; -- Begin function _Z18upper_bound_kernelItEvmPT_Pl
	.globl	_Z18upper_bound_kernelItEvmPT_Pl
	.p2align	8
	.type	_Z18upper_bound_kernelItEvmPT_Pl,@function
_Z18upper_bound_kernelItEvmPT_Pl:       ; @_Z18upper_bound_kernelItEvmPT_Pl
; %bb.0:
	s_load_dwordx4 s[8:11], s[4:5], 0x0
	s_load_dwordx2 s[6:7], s[4:5], 0x10
	s_mov_b64 s[2:3], 0
	s_waitcnt lgkmcnt(0)
	v_cmp_lt_i64_e64 s[0:1], s[8:9], 1
	s_and_b64 s[0:1], exec, s[0:1]
	s_mov_b64 vcc, s[0:1]
	s_cbranch_vccnz .LBB128_3
; %bb.1:
	v_mov_b32_e32 v0, 0
	s_mov_b64 s[4:5], s[8:9]
.LBB128_2:                              ; =>This Inner Loop Header: Depth=1
	s_sub_u32 s12, s4, s2
	s_subb_u32 s13, s5, s3
	s_lshr_b32 s14, s13, 31
	s_add_u32 s12, s12, s14
	s_addc_u32 s13, s13, 0
	s_ashr_i64 s[12:13], s[12:13], 1
	s_add_u32 s12, s12, s2
	s_addc_u32 s13, s13, s3
	s_lshl_b64 s[14:15], s[12:13], 1
	s_add_u32 s14, s10, s14
	s_addc_u32 s15, s11, s15
	global_load_ushort v1, v0, s[14:15]
	s_add_u32 s16, s12, 1
	s_addc_u32 s17, s13, 0
	s_waitcnt vmcnt(0)
	v_cmp_eq_u16_e32 vcc, 0, v1
	s_and_b64 s[14:15], vcc, exec
	s_cselect_b32 s5, s5, s13
	s_cselect_b32 s4, s4, s12
	;; [unrolled: 1-line block ×4, first 2 shown]
	v_pk_mov_b32 v[2:3], s[4:5], s[4:5] op_sel:[0,1]
	v_cmp_lt_i64_e32 vcc, s[2:3], v[2:3]
	s_cbranch_vccnz .LBB128_2
.LBB128_3:
	v_cmp_gt_i64_e64 s[4:5], s[8:9], 0
	v_cndmask_b32_e64 v1, 0, 1, s[4:5]
	v_mov_b32_e32 v0, 0
	v_pk_mov_b32 v[2:3], s[2:3], s[2:3] op_sel:[0,1]
	v_cmp_ne_u32_e64 s[2:3], 1, v1
	s_andn2_b64 vcc, exec, s[4:5]
	s_mov_b64 s[4:5], 0
	global_store_dwordx2 v0, v[2:3], s[6:7]
	s_cbranch_vccnz .LBB128_6
; %bb.4:
	s_mov_b64 s[12:13], s[8:9]
.LBB128_5:                              ; =>This Inner Loop Header: Depth=1
	s_sub_u32 s14, s12, s4
	s_subb_u32 s15, s13, s5
	s_lshr_b32 s16, s15, 31
	s_add_u32 s14, s14, s16
	s_addc_u32 s15, s15, 0
	s_ashr_i64 s[14:15], s[14:15], 1
	s_add_u32 s14, s14, s4
	s_addc_u32 s15, s15, s5
	s_lshl_b64 s[16:17], s[14:15], 1
	s_add_u32 s16, s10, s16
	s_addc_u32 s17, s11, s17
	global_load_ushort v1, v0, s[16:17]
	s_add_u32 s18, s14, 1
	s_addc_u32 s19, s15, 0
	s_waitcnt vmcnt(0)
	v_cmp_lt_u16_e32 vcc, 1, v1
	s_and_b64 s[16:17], vcc, exec
	s_cselect_b32 s13, s15, s13
	s_cselect_b32 s12, s14, s12
	;; [unrolled: 1-line block ×4, first 2 shown]
	v_pk_mov_b32 v[2:3], s[12:13], s[12:13] op_sel:[0,1]
	v_cmp_lt_i64_e32 vcc, s[4:5], v[2:3]
	s_cbranch_vccnz .LBB128_5
.LBB128_6:
	v_mov_b32_e32 v0, 0
	v_pk_mov_b32 v[2:3], s[4:5], s[4:5] op_sel:[0,1]
	s_and_b64 vcc, exec, s[2:3]
	s_mov_b64 s[4:5], 0
	global_store_dwordx2 v0, v[2:3], s[6:7] offset:8
	s_cbranch_vccnz .LBB128_9
; %bb.7:
	s_mov_b64 s[12:13], s[8:9]
.LBB128_8:                              ; =>This Inner Loop Header: Depth=1
	s_sub_u32 s14, s12, s4
	s_subb_u32 s15, s13, s5
	s_lshr_b32 s16, s15, 31
	s_add_u32 s14, s14, s16
	s_addc_u32 s15, s15, 0
	s_ashr_i64 s[14:15], s[14:15], 1
	s_add_u32 s14, s14, s4
	s_addc_u32 s15, s15, s5
	s_lshl_b64 s[16:17], s[14:15], 1
	s_add_u32 s16, s10, s16
	s_addc_u32 s17, s11, s17
	global_load_ushort v1, v0, s[16:17]
	s_add_u32 s18, s14, 1
	s_addc_u32 s19, s15, 0
	s_waitcnt vmcnt(0)
	v_cmp_lt_u16_e32 vcc, 2, v1
	s_and_b64 s[16:17], vcc, exec
	s_cselect_b32 s13, s15, s13
	s_cselect_b32 s12, s14, s12
	;; [unrolled: 1-line block ×4, first 2 shown]
	v_pk_mov_b32 v[2:3], s[12:13], s[12:13] op_sel:[0,1]
	v_cmp_lt_i64_e32 vcc, s[4:5], v[2:3]
	s_cbranch_vccnz .LBB128_8
.LBB128_9:
	v_mov_b32_e32 v0, 0
	v_pk_mov_b32 v[2:3], s[4:5], s[4:5] op_sel:[0,1]
	s_and_b64 vcc, exec, s[2:3]
	s_mov_b64 s[4:5], 0
	global_store_dwordx2 v0, v[2:3], s[6:7] offset:16
	s_cbranch_vccnz .LBB128_12
; %bb.10:
	s_mov_b64 s[12:13], s[8:9]
.LBB128_11:                             ; =>This Inner Loop Header: Depth=1
	s_sub_u32 s14, s12, s4
	s_subb_u32 s15, s13, s5
	s_lshr_b32 s16, s15, 31
	s_add_u32 s14, s14, s16
	s_addc_u32 s15, s15, 0
	s_ashr_i64 s[14:15], s[14:15], 1
	s_add_u32 s14, s14, s4
	s_addc_u32 s15, s15, s5
	s_lshl_b64 s[16:17], s[14:15], 1
	s_add_u32 s16, s10, s16
	s_addc_u32 s17, s11, s17
	global_load_ushort v1, v0, s[16:17]
	s_add_u32 s18, s14, 1
	s_addc_u32 s19, s15, 0
	s_waitcnt vmcnt(0)
	v_cmp_lt_u16_e32 vcc, 3, v1
	s_and_b64 s[16:17], vcc, exec
	s_cselect_b32 s13, s15, s13
	s_cselect_b32 s12, s14, s12
	s_cselect_b32 s5, s5, s19
	s_cselect_b32 s4, s4, s18
	v_pk_mov_b32 v[2:3], s[12:13], s[12:13] op_sel:[0,1]
	v_cmp_lt_i64_e32 vcc, s[4:5], v[2:3]
	s_cbranch_vccnz .LBB128_11
.LBB128_12:
	v_mov_b32_e32 v0, 0
	v_pk_mov_b32 v[2:3], s[4:5], s[4:5] op_sel:[0,1]
	s_and_b64 vcc, exec, s[2:3]
	s_mov_b64 s[4:5], 0
	global_store_dwordx2 v0, v[2:3], s[6:7] offset:24
	s_cbranch_vccnz .LBB128_15
; %bb.13:
	s_mov_b64 s[12:13], s[8:9]
.LBB128_14:                             ; =>This Inner Loop Header: Depth=1
	s_sub_u32 s14, s12, s4
	s_subb_u32 s15, s13, s5
	s_lshr_b32 s16, s15, 31
	s_add_u32 s14, s14, s16
	s_addc_u32 s15, s15, 0
	s_ashr_i64 s[14:15], s[14:15], 1
	s_add_u32 s14, s14, s4
	s_addc_u32 s15, s15, s5
	s_lshl_b64 s[16:17], s[14:15], 1
	s_add_u32 s16, s10, s16
	s_addc_u32 s17, s11, s17
	global_load_ushort v1, v0, s[16:17]
	s_add_u32 s18, s14, 1
	s_addc_u32 s19, s15, 0
	s_waitcnt vmcnt(0)
	v_cmp_lt_u16_e32 vcc, 4, v1
	s_and_b64 s[16:17], vcc, exec
	s_cselect_b32 s13, s15, s13
	s_cselect_b32 s12, s14, s12
	s_cselect_b32 s5, s5, s19
	s_cselect_b32 s4, s4, s18
	v_pk_mov_b32 v[2:3], s[12:13], s[12:13] op_sel:[0,1]
	v_cmp_lt_i64_e32 vcc, s[4:5], v[2:3]
	s_cbranch_vccnz .LBB128_14
.LBB128_15:
	;; [unrolled: 34-line block ×5, first 2 shown]
	v_mov_b32_e32 v0, 0
	v_pk_mov_b32 v[2:3], s[2:3], s[2:3] op_sel:[0,1]
	s_mov_b64 vcc, s[0:1]
	global_store_dwordx2 v0, v[2:3], s[6:7] offset:56
	s_cbranch_vccz .LBB128_26
; %bb.25:
	v_mov_b32_e32 v1, v0
	global_store_dwordx2 v0, v[0:1], s[6:7] offset:64
	s_mov_b64 s[0:1], 0
	s_cbranch_execz .LBB128_27
	s_branch .LBB128_31
.LBB128_26:
                                        ; implicit-def: $sgpr0_sgpr1
.LBB128_27:
	s_mov_b64 s[0:1], 0
	v_mov_b32_e32 v0, 0
	s_mov_b64 s[2:3], s[8:9]
.LBB128_28:                             ; =>This Inner Loop Header: Depth=1
	s_sub_u32 s4, s2, s0
	s_subb_u32 s5, s3, s1
	s_lshr_b32 s12, s5, 31
	s_add_u32 s4, s4, s12
	s_addc_u32 s5, s5, 0
	s_ashr_i64 s[4:5], s[4:5], 1
	s_add_u32 s4, s4, s0
	s_addc_u32 s5, s5, s1
	s_lshl_b64 s[12:13], s[4:5], 1
	s_add_u32 s12, s10, s12
	s_addc_u32 s13, s11, s13
	global_load_ushort v1, v0, s[12:13]
	s_add_u32 s14, s4, 1
	s_addc_u32 s15, s5, 0
	s_waitcnt vmcnt(0)
	v_cmp_lt_u16_e32 vcc, 8, v1
	s_and_b64 s[12:13], vcc, exec
	s_cselect_b32 s3, s5, s3
	s_cselect_b32 s2, s4, s2
	s_cselect_b32 s1, s1, s15
	s_cselect_b32 s0, s0, s14
	v_pk_mov_b32 v[2:3], s[2:3], s[2:3] op_sel:[0,1]
	v_cmp_lt_i64_e32 vcc, s[0:1], v[2:3]
	s_cbranch_vccnz .LBB128_28
; %bb.29:
	v_mov_b32_e32 v0, 0
	v_pk_mov_b32 v[2:3], s[0:1], s[0:1] op_sel:[0,1]
	s_mov_b64 s[0:1], 0
	global_store_dwordx2 v0, v[2:3], s[6:7] offset:64
.LBB128_30:                             ; =>This Inner Loop Header: Depth=1
	s_sub_u32 s2, s8, s0
	s_subb_u32 s3, s9, s1
	s_lshr_b32 s4, s3, 31
	s_add_u32 s2, s2, s4
	s_addc_u32 s3, s3, 0
	s_ashr_i64 s[2:3], s[2:3], 1
	s_add_u32 s2, s2, s0
	s_addc_u32 s3, s3, s1
	s_lshl_b64 s[4:5], s[2:3], 1
	s_add_u32 s4, s10, s4
	s_addc_u32 s5, s11, s5
	global_load_ushort v1, v0, s[4:5]
	s_add_u32 s12, s2, 1
	s_addc_u32 s13, s3, 0
	s_waitcnt vmcnt(0)
	v_cmp_lt_u16_e32 vcc, 9, v1
	s_and_b64 s[4:5], vcc, exec
	s_cselect_b32 s9, s3, s9
	s_cselect_b32 s8, s2, s8
	;; [unrolled: 1-line block ×4, first 2 shown]
	v_pk_mov_b32 v[2:3], s[8:9], s[8:9] op_sel:[0,1]
	v_cmp_ge_i64_e32 vcc, s[0:1], v[2:3]
	s_cbranch_vccz .LBB128_30
.LBB128_31:
	v_mov_b32_e32 v2, 0
	v_pk_mov_b32 v[0:1], s[0:1], s[0:1] op_sel:[0,1]
	global_store_dwordx2 v2, v[0:1], s[6:7] offset:72
	s_endpgm
	.section	.rodata,"a",@progbits
	.p2align	6, 0x0
	.amdhsa_kernel _Z18upper_bound_kernelItEvmPT_Pl
		.amdhsa_group_segment_fixed_size 0
		.amdhsa_private_segment_fixed_size 0
		.amdhsa_kernarg_size 24
		.amdhsa_user_sgpr_count 6
		.amdhsa_user_sgpr_private_segment_buffer 1
		.amdhsa_user_sgpr_dispatch_ptr 0
		.amdhsa_user_sgpr_queue_ptr 0
		.amdhsa_user_sgpr_kernarg_segment_ptr 1
		.amdhsa_user_sgpr_dispatch_id 0
		.amdhsa_user_sgpr_flat_scratch_init 0
		.amdhsa_user_sgpr_kernarg_preload_length 0
		.amdhsa_user_sgpr_kernarg_preload_offset 0
		.amdhsa_user_sgpr_private_segment_size 0
		.amdhsa_uses_dynamic_stack 0
		.amdhsa_system_sgpr_private_segment_wavefront_offset 0
		.amdhsa_system_sgpr_workgroup_id_x 1
		.amdhsa_system_sgpr_workgroup_id_y 0
		.amdhsa_system_sgpr_workgroup_id_z 0
		.amdhsa_system_sgpr_workgroup_info 0
		.amdhsa_system_vgpr_workitem_id 0
		.amdhsa_next_free_vgpr 4
		.amdhsa_next_free_sgpr 20
		.amdhsa_accum_offset 4
		.amdhsa_reserve_vcc 1
		.amdhsa_reserve_flat_scratch 0
		.amdhsa_float_round_mode_32 0
		.amdhsa_float_round_mode_16_64 0
		.amdhsa_float_denorm_mode_32 3
		.amdhsa_float_denorm_mode_16_64 3
		.amdhsa_dx10_clamp 1
		.amdhsa_ieee_mode 1
		.amdhsa_fp16_overflow 0
		.amdhsa_tg_split 0
		.amdhsa_exception_fp_ieee_invalid_op 0
		.amdhsa_exception_fp_denorm_src 0
		.amdhsa_exception_fp_ieee_div_zero 0
		.amdhsa_exception_fp_ieee_overflow 0
		.amdhsa_exception_fp_ieee_underflow 0
		.amdhsa_exception_fp_ieee_inexact 0
		.amdhsa_exception_int_div_zero 0
	.end_amdhsa_kernel
	.section	.text._Z18upper_bound_kernelItEvmPT_Pl,"axG",@progbits,_Z18upper_bound_kernelItEvmPT_Pl,comdat
.Lfunc_end128:
	.size	_Z18upper_bound_kernelItEvmPT_Pl, .Lfunc_end128-_Z18upper_bound_kernelItEvmPT_Pl
                                        ; -- End function
	.section	.AMDGPU.csdata,"",@progbits
; Kernel info:
; codeLenInByte = 1480
; NumSgprs: 24
; NumVgprs: 4
; NumAgprs: 0
; TotalNumVgprs: 4
; ScratchSize: 0
; MemoryBound: 0
; FloatMode: 240
; IeeeMode: 1
; LDSByteSize: 0 bytes/workgroup (compile time only)
; SGPRBlocks: 2
; VGPRBlocks: 0
; NumSGPRsForWavesPerEU: 24
; NumVGPRsForWavesPerEU: 4
; AccumOffset: 4
; Occupancy: 8
; WaveLimiterHint : 0
; COMPUTE_PGM_RSRC2:SCRATCH_EN: 0
; COMPUTE_PGM_RSRC2:USER_SGPR: 6
; COMPUTE_PGM_RSRC2:TRAP_HANDLER: 0
; COMPUTE_PGM_RSRC2:TGID_X_EN: 1
; COMPUTE_PGM_RSRC2:TGID_Y_EN: 0
; COMPUTE_PGM_RSRC2:TGID_Z_EN: 0
; COMPUTE_PGM_RSRC2:TIDIG_COMP_CNT: 0
; COMPUTE_PGM_RSRC3_GFX90A:ACCUM_OFFSET: 0
; COMPUTE_PGM_RSRC3_GFX90A:TG_SPLIT: 0
	.section	.text._ZN7rocprim17ROCPRIM_400000_NS6detail17trampoline_kernelINS0_14default_configENS1_27upper_bound_config_selectorItlEEZNS1_14transform_implILb0ES3_S5_N6thrust23THRUST_200600_302600_NS17counting_iteratorItNS8_11use_defaultESA_SA_EEPlZNS1_13binary_searchIS3_S5_PtSB_SC_NS1_21upper_bound_search_opENS8_6detail16wrapped_functionINS0_4lessIvEEbEEEE10hipError_tPvRmT1_T2_T3_mmT4_T5_P12ihipStream_tbEUlRKtE_EESL_SP_SQ_mSR_SU_bEUlT_E_NS1_11comp_targetILNS1_3genE0ELNS1_11target_archE4294967295ELNS1_3gpuE0ELNS1_3repE0EEENS1_30default_config_static_selectorELNS0_4arch9wavefront6targetE1EEEvSO_,"axG",@progbits,_ZN7rocprim17ROCPRIM_400000_NS6detail17trampoline_kernelINS0_14default_configENS1_27upper_bound_config_selectorItlEEZNS1_14transform_implILb0ES3_S5_N6thrust23THRUST_200600_302600_NS17counting_iteratorItNS8_11use_defaultESA_SA_EEPlZNS1_13binary_searchIS3_S5_PtSB_SC_NS1_21upper_bound_search_opENS8_6detail16wrapped_functionINS0_4lessIvEEbEEEE10hipError_tPvRmT1_T2_T3_mmT4_T5_P12ihipStream_tbEUlRKtE_EESL_SP_SQ_mSR_SU_bEUlT_E_NS1_11comp_targetILNS1_3genE0ELNS1_11target_archE4294967295ELNS1_3gpuE0ELNS1_3repE0EEENS1_30default_config_static_selectorELNS0_4arch9wavefront6targetE1EEEvSO_,comdat
	.protected	_ZN7rocprim17ROCPRIM_400000_NS6detail17trampoline_kernelINS0_14default_configENS1_27upper_bound_config_selectorItlEEZNS1_14transform_implILb0ES3_S5_N6thrust23THRUST_200600_302600_NS17counting_iteratorItNS8_11use_defaultESA_SA_EEPlZNS1_13binary_searchIS3_S5_PtSB_SC_NS1_21upper_bound_search_opENS8_6detail16wrapped_functionINS0_4lessIvEEbEEEE10hipError_tPvRmT1_T2_T3_mmT4_T5_P12ihipStream_tbEUlRKtE_EESL_SP_SQ_mSR_SU_bEUlT_E_NS1_11comp_targetILNS1_3genE0ELNS1_11target_archE4294967295ELNS1_3gpuE0ELNS1_3repE0EEENS1_30default_config_static_selectorELNS0_4arch9wavefront6targetE1EEEvSO_ ; -- Begin function _ZN7rocprim17ROCPRIM_400000_NS6detail17trampoline_kernelINS0_14default_configENS1_27upper_bound_config_selectorItlEEZNS1_14transform_implILb0ES3_S5_N6thrust23THRUST_200600_302600_NS17counting_iteratorItNS8_11use_defaultESA_SA_EEPlZNS1_13binary_searchIS3_S5_PtSB_SC_NS1_21upper_bound_search_opENS8_6detail16wrapped_functionINS0_4lessIvEEbEEEE10hipError_tPvRmT1_T2_T3_mmT4_T5_P12ihipStream_tbEUlRKtE_EESL_SP_SQ_mSR_SU_bEUlT_E_NS1_11comp_targetILNS1_3genE0ELNS1_11target_archE4294967295ELNS1_3gpuE0ELNS1_3repE0EEENS1_30default_config_static_selectorELNS0_4arch9wavefront6targetE1EEEvSO_
	.globl	_ZN7rocprim17ROCPRIM_400000_NS6detail17trampoline_kernelINS0_14default_configENS1_27upper_bound_config_selectorItlEEZNS1_14transform_implILb0ES3_S5_N6thrust23THRUST_200600_302600_NS17counting_iteratorItNS8_11use_defaultESA_SA_EEPlZNS1_13binary_searchIS3_S5_PtSB_SC_NS1_21upper_bound_search_opENS8_6detail16wrapped_functionINS0_4lessIvEEbEEEE10hipError_tPvRmT1_T2_T3_mmT4_T5_P12ihipStream_tbEUlRKtE_EESL_SP_SQ_mSR_SU_bEUlT_E_NS1_11comp_targetILNS1_3genE0ELNS1_11target_archE4294967295ELNS1_3gpuE0ELNS1_3repE0EEENS1_30default_config_static_selectorELNS0_4arch9wavefront6targetE1EEEvSO_
	.p2align	8
	.type	_ZN7rocprim17ROCPRIM_400000_NS6detail17trampoline_kernelINS0_14default_configENS1_27upper_bound_config_selectorItlEEZNS1_14transform_implILb0ES3_S5_N6thrust23THRUST_200600_302600_NS17counting_iteratorItNS8_11use_defaultESA_SA_EEPlZNS1_13binary_searchIS3_S5_PtSB_SC_NS1_21upper_bound_search_opENS8_6detail16wrapped_functionINS0_4lessIvEEbEEEE10hipError_tPvRmT1_T2_T3_mmT4_T5_P12ihipStream_tbEUlRKtE_EESL_SP_SQ_mSR_SU_bEUlT_E_NS1_11comp_targetILNS1_3genE0ELNS1_11target_archE4294967295ELNS1_3gpuE0ELNS1_3repE0EEENS1_30default_config_static_selectorELNS0_4arch9wavefront6targetE1EEEvSO_,@function
_ZN7rocprim17ROCPRIM_400000_NS6detail17trampoline_kernelINS0_14default_configENS1_27upper_bound_config_selectorItlEEZNS1_14transform_implILb0ES3_S5_N6thrust23THRUST_200600_302600_NS17counting_iteratorItNS8_11use_defaultESA_SA_EEPlZNS1_13binary_searchIS3_S5_PtSB_SC_NS1_21upper_bound_search_opENS8_6detail16wrapped_functionINS0_4lessIvEEbEEEE10hipError_tPvRmT1_T2_T3_mmT4_T5_P12ihipStream_tbEUlRKtE_EESL_SP_SQ_mSR_SU_bEUlT_E_NS1_11comp_targetILNS1_3genE0ELNS1_11target_archE4294967295ELNS1_3gpuE0ELNS1_3repE0EEENS1_30default_config_static_selectorELNS0_4arch9wavefront6targetE1EEEvSO_: ; @_ZN7rocprim17ROCPRIM_400000_NS6detail17trampoline_kernelINS0_14default_configENS1_27upper_bound_config_selectorItlEEZNS1_14transform_implILb0ES3_S5_N6thrust23THRUST_200600_302600_NS17counting_iteratorItNS8_11use_defaultESA_SA_EEPlZNS1_13binary_searchIS3_S5_PtSB_SC_NS1_21upper_bound_search_opENS8_6detail16wrapped_functionINS0_4lessIvEEbEEEE10hipError_tPvRmT1_T2_T3_mmT4_T5_P12ihipStream_tbEUlRKtE_EESL_SP_SQ_mSR_SU_bEUlT_E_NS1_11comp_targetILNS1_3genE0ELNS1_11target_archE4294967295ELNS1_3gpuE0ELNS1_3repE0EEENS1_30default_config_static_selectorELNS0_4arch9wavefront6targetE1EEEvSO_
; %bb.0:
	.section	.rodata,"a",@progbits
	.p2align	6, 0x0
	.amdhsa_kernel _ZN7rocprim17ROCPRIM_400000_NS6detail17trampoline_kernelINS0_14default_configENS1_27upper_bound_config_selectorItlEEZNS1_14transform_implILb0ES3_S5_N6thrust23THRUST_200600_302600_NS17counting_iteratorItNS8_11use_defaultESA_SA_EEPlZNS1_13binary_searchIS3_S5_PtSB_SC_NS1_21upper_bound_search_opENS8_6detail16wrapped_functionINS0_4lessIvEEbEEEE10hipError_tPvRmT1_T2_T3_mmT4_T5_P12ihipStream_tbEUlRKtE_EESL_SP_SQ_mSR_SU_bEUlT_E_NS1_11comp_targetILNS1_3genE0ELNS1_11target_archE4294967295ELNS1_3gpuE0ELNS1_3repE0EEENS1_30default_config_static_selectorELNS0_4arch9wavefront6targetE1EEEvSO_
		.amdhsa_group_segment_fixed_size 0
		.amdhsa_private_segment_fixed_size 0
		.amdhsa_kernarg_size 56
		.amdhsa_user_sgpr_count 6
		.amdhsa_user_sgpr_private_segment_buffer 1
		.amdhsa_user_sgpr_dispatch_ptr 0
		.amdhsa_user_sgpr_queue_ptr 0
		.amdhsa_user_sgpr_kernarg_segment_ptr 1
		.amdhsa_user_sgpr_dispatch_id 0
		.amdhsa_user_sgpr_flat_scratch_init 0
		.amdhsa_user_sgpr_kernarg_preload_length 0
		.amdhsa_user_sgpr_kernarg_preload_offset 0
		.amdhsa_user_sgpr_private_segment_size 0
		.amdhsa_uses_dynamic_stack 0
		.amdhsa_system_sgpr_private_segment_wavefront_offset 0
		.amdhsa_system_sgpr_workgroup_id_x 1
		.amdhsa_system_sgpr_workgroup_id_y 0
		.amdhsa_system_sgpr_workgroup_id_z 0
		.amdhsa_system_sgpr_workgroup_info 0
		.amdhsa_system_vgpr_workitem_id 0
		.amdhsa_next_free_vgpr 1
		.amdhsa_next_free_sgpr 0
		.amdhsa_accum_offset 4
		.amdhsa_reserve_vcc 0
		.amdhsa_reserve_flat_scratch 0
		.amdhsa_float_round_mode_32 0
		.amdhsa_float_round_mode_16_64 0
		.amdhsa_float_denorm_mode_32 3
		.amdhsa_float_denorm_mode_16_64 3
		.amdhsa_dx10_clamp 1
		.amdhsa_ieee_mode 1
		.amdhsa_fp16_overflow 0
		.amdhsa_tg_split 0
		.amdhsa_exception_fp_ieee_invalid_op 0
		.amdhsa_exception_fp_denorm_src 0
		.amdhsa_exception_fp_ieee_div_zero 0
		.amdhsa_exception_fp_ieee_overflow 0
		.amdhsa_exception_fp_ieee_underflow 0
		.amdhsa_exception_fp_ieee_inexact 0
		.amdhsa_exception_int_div_zero 0
	.end_amdhsa_kernel
	.section	.text._ZN7rocprim17ROCPRIM_400000_NS6detail17trampoline_kernelINS0_14default_configENS1_27upper_bound_config_selectorItlEEZNS1_14transform_implILb0ES3_S5_N6thrust23THRUST_200600_302600_NS17counting_iteratorItNS8_11use_defaultESA_SA_EEPlZNS1_13binary_searchIS3_S5_PtSB_SC_NS1_21upper_bound_search_opENS8_6detail16wrapped_functionINS0_4lessIvEEbEEEE10hipError_tPvRmT1_T2_T3_mmT4_T5_P12ihipStream_tbEUlRKtE_EESL_SP_SQ_mSR_SU_bEUlT_E_NS1_11comp_targetILNS1_3genE0ELNS1_11target_archE4294967295ELNS1_3gpuE0ELNS1_3repE0EEENS1_30default_config_static_selectorELNS0_4arch9wavefront6targetE1EEEvSO_,"axG",@progbits,_ZN7rocprim17ROCPRIM_400000_NS6detail17trampoline_kernelINS0_14default_configENS1_27upper_bound_config_selectorItlEEZNS1_14transform_implILb0ES3_S5_N6thrust23THRUST_200600_302600_NS17counting_iteratorItNS8_11use_defaultESA_SA_EEPlZNS1_13binary_searchIS3_S5_PtSB_SC_NS1_21upper_bound_search_opENS8_6detail16wrapped_functionINS0_4lessIvEEbEEEE10hipError_tPvRmT1_T2_T3_mmT4_T5_P12ihipStream_tbEUlRKtE_EESL_SP_SQ_mSR_SU_bEUlT_E_NS1_11comp_targetILNS1_3genE0ELNS1_11target_archE4294967295ELNS1_3gpuE0ELNS1_3repE0EEENS1_30default_config_static_selectorELNS0_4arch9wavefront6targetE1EEEvSO_,comdat
.Lfunc_end129:
	.size	_ZN7rocprim17ROCPRIM_400000_NS6detail17trampoline_kernelINS0_14default_configENS1_27upper_bound_config_selectorItlEEZNS1_14transform_implILb0ES3_S5_N6thrust23THRUST_200600_302600_NS17counting_iteratorItNS8_11use_defaultESA_SA_EEPlZNS1_13binary_searchIS3_S5_PtSB_SC_NS1_21upper_bound_search_opENS8_6detail16wrapped_functionINS0_4lessIvEEbEEEE10hipError_tPvRmT1_T2_T3_mmT4_T5_P12ihipStream_tbEUlRKtE_EESL_SP_SQ_mSR_SU_bEUlT_E_NS1_11comp_targetILNS1_3genE0ELNS1_11target_archE4294967295ELNS1_3gpuE0ELNS1_3repE0EEENS1_30default_config_static_selectorELNS0_4arch9wavefront6targetE1EEEvSO_, .Lfunc_end129-_ZN7rocprim17ROCPRIM_400000_NS6detail17trampoline_kernelINS0_14default_configENS1_27upper_bound_config_selectorItlEEZNS1_14transform_implILb0ES3_S5_N6thrust23THRUST_200600_302600_NS17counting_iteratorItNS8_11use_defaultESA_SA_EEPlZNS1_13binary_searchIS3_S5_PtSB_SC_NS1_21upper_bound_search_opENS8_6detail16wrapped_functionINS0_4lessIvEEbEEEE10hipError_tPvRmT1_T2_T3_mmT4_T5_P12ihipStream_tbEUlRKtE_EESL_SP_SQ_mSR_SU_bEUlT_E_NS1_11comp_targetILNS1_3genE0ELNS1_11target_archE4294967295ELNS1_3gpuE0ELNS1_3repE0EEENS1_30default_config_static_selectorELNS0_4arch9wavefront6targetE1EEEvSO_
                                        ; -- End function
	.section	.AMDGPU.csdata,"",@progbits
; Kernel info:
; codeLenInByte = 0
; NumSgprs: 4
; NumVgprs: 0
; NumAgprs: 0
; TotalNumVgprs: 0
; ScratchSize: 0
; MemoryBound: 0
; FloatMode: 240
; IeeeMode: 1
; LDSByteSize: 0 bytes/workgroup (compile time only)
; SGPRBlocks: 0
; VGPRBlocks: 0
; NumSGPRsForWavesPerEU: 4
; NumVGPRsForWavesPerEU: 1
; AccumOffset: 4
; Occupancy: 8
; WaveLimiterHint : 0
; COMPUTE_PGM_RSRC2:SCRATCH_EN: 0
; COMPUTE_PGM_RSRC2:USER_SGPR: 6
; COMPUTE_PGM_RSRC2:TRAP_HANDLER: 0
; COMPUTE_PGM_RSRC2:TGID_X_EN: 1
; COMPUTE_PGM_RSRC2:TGID_Y_EN: 0
; COMPUTE_PGM_RSRC2:TGID_Z_EN: 0
; COMPUTE_PGM_RSRC2:TIDIG_COMP_CNT: 0
; COMPUTE_PGM_RSRC3_GFX90A:ACCUM_OFFSET: 0
; COMPUTE_PGM_RSRC3_GFX90A:TG_SPLIT: 0
	.section	.text._ZN7rocprim17ROCPRIM_400000_NS6detail17trampoline_kernelINS0_14default_configENS1_27upper_bound_config_selectorItlEEZNS1_14transform_implILb0ES3_S5_N6thrust23THRUST_200600_302600_NS17counting_iteratorItNS8_11use_defaultESA_SA_EEPlZNS1_13binary_searchIS3_S5_PtSB_SC_NS1_21upper_bound_search_opENS8_6detail16wrapped_functionINS0_4lessIvEEbEEEE10hipError_tPvRmT1_T2_T3_mmT4_T5_P12ihipStream_tbEUlRKtE_EESL_SP_SQ_mSR_SU_bEUlT_E_NS1_11comp_targetILNS1_3genE5ELNS1_11target_archE942ELNS1_3gpuE9ELNS1_3repE0EEENS1_30default_config_static_selectorELNS0_4arch9wavefront6targetE1EEEvSO_,"axG",@progbits,_ZN7rocprim17ROCPRIM_400000_NS6detail17trampoline_kernelINS0_14default_configENS1_27upper_bound_config_selectorItlEEZNS1_14transform_implILb0ES3_S5_N6thrust23THRUST_200600_302600_NS17counting_iteratorItNS8_11use_defaultESA_SA_EEPlZNS1_13binary_searchIS3_S5_PtSB_SC_NS1_21upper_bound_search_opENS8_6detail16wrapped_functionINS0_4lessIvEEbEEEE10hipError_tPvRmT1_T2_T3_mmT4_T5_P12ihipStream_tbEUlRKtE_EESL_SP_SQ_mSR_SU_bEUlT_E_NS1_11comp_targetILNS1_3genE5ELNS1_11target_archE942ELNS1_3gpuE9ELNS1_3repE0EEENS1_30default_config_static_selectorELNS0_4arch9wavefront6targetE1EEEvSO_,comdat
	.protected	_ZN7rocprim17ROCPRIM_400000_NS6detail17trampoline_kernelINS0_14default_configENS1_27upper_bound_config_selectorItlEEZNS1_14transform_implILb0ES3_S5_N6thrust23THRUST_200600_302600_NS17counting_iteratorItNS8_11use_defaultESA_SA_EEPlZNS1_13binary_searchIS3_S5_PtSB_SC_NS1_21upper_bound_search_opENS8_6detail16wrapped_functionINS0_4lessIvEEbEEEE10hipError_tPvRmT1_T2_T3_mmT4_T5_P12ihipStream_tbEUlRKtE_EESL_SP_SQ_mSR_SU_bEUlT_E_NS1_11comp_targetILNS1_3genE5ELNS1_11target_archE942ELNS1_3gpuE9ELNS1_3repE0EEENS1_30default_config_static_selectorELNS0_4arch9wavefront6targetE1EEEvSO_ ; -- Begin function _ZN7rocprim17ROCPRIM_400000_NS6detail17trampoline_kernelINS0_14default_configENS1_27upper_bound_config_selectorItlEEZNS1_14transform_implILb0ES3_S5_N6thrust23THRUST_200600_302600_NS17counting_iteratorItNS8_11use_defaultESA_SA_EEPlZNS1_13binary_searchIS3_S5_PtSB_SC_NS1_21upper_bound_search_opENS8_6detail16wrapped_functionINS0_4lessIvEEbEEEE10hipError_tPvRmT1_T2_T3_mmT4_T5_P12ihipStream_tbEUlRKtE_EESL_SP_SQ_mSR_SU_bEUlT_E_NS1_11comp_targetILNS1_3genE5ELNS1_11target_archE942ELNS1_3gpuE9ELNS1_3repE0EEENS1_30default_config_static_selectorELNS0_4arch9wavefront6targetE1EEEvSO_
	.globl	_ZN7rocprim17ROCPRIM_400000_NS6detail17trampoline_kernelINS0_14default_configENS1_27upper_bound_config_selectorItlEEZNS1_14transform_implILb0ES3_S5_N6thrust23THRUST_200600_302600_NS17counting_iteratorItNS8_11use_defaultESA_SA_EEPlZNS1_13binary_searchIS3_S5_PtSB_SC_NS1_21upper_bound_search_opENS8_6detail16wrapped_functionINS0_4lessIvEEbEEEE10hipError_tPvRmT1_T2_T3_mmT4_T5_P12ihipStream_tbEUlRKtE_EESL_SP_SQ_mSR_SU_bEUlT_E_NS1_11comp_targetILNS1_3genE5ELNS1_11target_archE942ELNS1_3gpuE9ELNS1_3repE0EEENS1_30default_config_static_selectorELNS0_4arch9wavefront6targetE1EEEvSO_
	.p2align	8
	.type	_ZN7rocprim17ROCPRIM_400000_NS6detail17trampoline_kernelINS0_14default_configENS1_27upper_bound_config_selectorItlEEZNS1_14transform_implILb0ES3_S5_N6thrust23THRUST_200600_302600_NS17counting_iteratorItNS8_11use_defaultESA_SA_EEPlZNS1_13binary_searchIS3_S5_PtSB_SC_NS1_21upper_bound_search_opENS8_6detail16wrapped_functionINS0_4lessIvEEbEEEE10hipError_tPvRmT1_T2_T3_mmT4_T5_P12ihipStream_tbEUlRKtE_EESL_SP_SQ_mSR_SU_bEUlT_E_NS1_11comp_targetILNS1_3genE5ELNS1_11target_archE942ELNS1_3gpuE9ELNS1_3repE0EEENS1_30default_config_static_selectorELNS0_4arch9wavefront6targetE1EEEvSO_,@function
_ZN7rocprim17ROCPRIM_400000_NS6detail17trampoline_kernelINS0_14default_configENS1_27upper_bound_config_selectorItlEEZNS1_14transform_implILb0ES3_S5_N6thrust23THRUST_200600_302600_NS17counting_iteratorItNS8_11use_defaultESA_SA_EEPlZNS1_13binary_searchIS3_S5_PtSB_SC_NS1_21upper_bound_search_opENS8_6detail16wrapped_functionINS0_4lessIvEEbEEEE10hipError_tPvRmT1_T2_T3_mmT4_T5_P12ihipStream_tbEUlRKtE_EESL_SP_SQ_mSR_SU_bEUlT_E_NS1_11comp_targetILNS1_3genE5ELNS1_11target_archE942ELNS1_3gpuE9ELNS1_3repE0EEENS1_30default_config_static_selectorELNS0_4arch9wavefront6targetE1EEEvSO_: ; @_ZN7rocprim17ROCPRIM_400000_NS6detail17trampoline_kernelINS0_14default_configENS1_27upper_bound_config_selectorItlEEZNS1_14transform_implILb0ES3_S5_N6thrust23THRUST_200600_302600_NS17counting_iteratorItNS8_11use_defaultESA_SA_EEPlZNS1_13binary_searchIS3_S5_PtSB_SC_NS1_21upper_bound_search_opENS8_6detail16wrapped_functionINS0_4lessIvEEbEEEE10hipError_tPvRmT1_T2_T3_mmT4_T5_P12ihipStream_tbEUlRKtE_EESL_SP_SQ_mSR_SU_bEUlT_E_NS1_11comp_targetILNS1_3genE5ELNS1_11target_archE942ELNS1_3gpuE9ELNS1_3repE0EEENS1_30default_config_static_selectorELNS0_4arch9wavefront6targetE1EEEvSO_
; %bb.0:
	.section	.rodata,"a",@progbits
	.p2align	6, 0x0
	.amdhsa_kernel _ZN7rocprim17ROCPRIM_400000_NS6detail17trampoline_kernelINS0_14default_configENS1_27upper_bound_config_selectorItlEEZNS1_14transform_implILb0ES3_S5_N6thrust23THRUST_200600_302600_NS17counting_iteratorItNS8_11use_defaultESA_SA_EEPlZNS1_13binary_searchIS3_S5_PtSB_SC_NS1_21upper_bound_search_opENS8_6detail16wrapped_functionINS0_4lessIvEEbEEEE10hipError_tPvRmT1_T2_T3_mmT4_T5_P12ihipStream_tbEUlRKtE_EESL_SP_SQ_mSR_SU_bEUlT_E_NS1_11comp_targetILNS1_3genE5ELNS1_11target_archE942ELNS1_3gpuE9ELNS1_3repE0EEENS1_30default_config_static_selectorELNS0_4arch9wavefront6targetE1EEEvSO_
		.amdhsa_group_segment_fixed_size 0
		.amdhsa_private_segment_fixed_size 0
		.amdhsa_kernarg_size 56
		.amdhsa_user_sgpr_count 6
		.amdhsa_user_sgpr_private_segment_buffer 1
		.amdhsa_user_sgpr_dispatch_ptr 0
		.amdhsa_user_sgpr_queue_ptr 0
		.amdhsa_user_sgpr_kernarg_segment_ptr 1
		.amdhsa_user_sgpr_dispatch_id 0
		.amdhsa_user_sgpr_flat_scratch_init 0
		.amdhsa_user_sgpr_kernarg_preload_length 0
		.amdhsa_user_sgpr_kernarg_preload_offset 0
		.amdhsa_user_sgpr_private_segment_size 0
		.amdhsa_uses_dynamic_stack 0
		.amdhsa_system_sgpr_private_segment_wavefront_offset 0
		.amdhsa_system_sgpr_workgroup_id_x 1
		.amdhsa_system_sgpr_workgroup_id_y 0
		.amdhsa_system_sgpr_workgroup_id_z 0
		.amdhsa_system_sgpr_workgroup_info 0
		.amdhsa_system_vgpr_workitem_id 0
		.amdhsa_next_free_vgpr 1
		.amdhsa_next_free_sgpr 0
		.amdhsa_accum_offset 4
		.amdhsa_reserve_vcc 0
		.amdhsa_reserve_flat_scratch 0
		.amdhsa_float_round_mode_32 0
		.amdhsa_float_round_mode_16_64 0
		.amdhsa_float_denorm_mode_32 3
		.amdhsa_float_denorm_mode_16_64 3
		.amdhsa_dx10_clamp 1
		.amdhsa_ieee_mode 1
		.amdhsa_fp16_overflow 0
		.amdhsa_tg_split 0
		.amdhsa_exception_fp_ieee_invalid_op 0
		.amdhsa_exception_fp_denorm_src 0
		.amdhsa_exception_fp_ieee_div_zero 0
		.amdhsa_exception_fp_ieee_overflow 0
		.amdhsa_exception_fp_ieee_underflow 0
		.amdhsa_exception_fp_ieee_inexact 0
		.amdhsa_exception_int_div_zero 0
	.end_amdhsa_kernel
	.section	.text._ZN7rocprim17ROCPRIM_400000_NS6detail17trampoline_kernelINS0_14default_configENS1_27upper_bound_config_selectorItlEEZNS1_14transform_implILb0ES3_S5_N6thrust23THRUST_200600_302600_NS17counting_iteratorItNS8_11use_defaultESA_SA_EEPlZNS1_13binary_searchIS3_S5_PtSB_SC_NS1_21upper_bound_search_opENS8_6detail16wrapped_functionINS0_4lessIvEEbEEEE10hipError_tPvRmT1_T2_T3_mmT4_T5_P12ihipStream_tbEUlRKtE_EESL_SP_SQ_mSR_SU_bEUlT_E_NS1_11comp_targetILNS1_3genE5ELNS1_11target_archE942ELNS1_3gpuE9ELNS1_3repE0EEENS1_30default_config_static_selectorELNS0_4arch9wavefront6targetE1EEEvSO_,"axG",@progbits,_ZN7rocprim17ROCPRIM_400000_NS6detail17trampoline_kernelINS0_14default_configENS1_27upper_bound_config_selectorItlEEZNS1_14transform_implILb0ES3_S5_N6thrust23THRUST_200600_302600_NS17counting_iteratorItNS8_11use_defaultESA_SA_EEPlZNS1_13binary_searchIS3_S5_PtSB_SC_NS1_21upper_bound_search_opENS8_6detail16wrapped_functionINS0_4lessIvEEbEEEE10hipError_tPvRmT1_T2_T3_mmT4_T5_P12ihipStream_tbEUlRKtE_EESL_SP_SQ_mSR_SU_bEUlT_E_NS1_11comp_targetILNS1_3genE5ELNS1_11target_archE942ELNS1_3gpuE9ELNS1_3repE0EEENS1_30default_config_static_selectorELNS0_4arch9wavefront6targetE1EEEvSO_,comdat
.Lfunc_end130:
	.size	_ZN7rocprim17ROCPRIM_400000_NS6detail17trampoline_kernelINS0_14default_configENS1_27upper_bound_config_selectorItlEEZNS1_14transform_implILb0ES3_S5_N6thrust23THRUST_200600_302600_NS17counting_iteratorItNS8_11use_defaultESA_SA_EEPlZNS1_13binary_searchIS3_S5_PtSB_SC_NS1_21upper_bound_search_opENS8_6detail16wrapped_functionINS0_4lessIvEEbEEEE10hipError_tPvRmT1_T2_T3_mmT4_T5_P12ihipStream_tbEUlRKtE_EESL_SP_SQ_mSR_SU_bEUlT_E_NS1_11comp_targetILNS1_3genE5ELNS1_11target_archE942ELNS1_3gpuE9ELNS1_3repE0EEENS1_30default_config_static_selectorELNS0_4arch9wavefront6targetE1EEEvSO_, .Lfunc_end130-_ZN7rocprim17ROCPRIM_400000_NS6detail17trampoline_kernelINS0_14default_configENS1_27upper_bound_config_selectorItlEEZNS1_14transform_implILb0ES3_S5_N6thrust23THRUST_200600_302600_NS17counting_iteratorItNS8_11use_defaultESA_SA_EEPlZNS1_13binary_searchIS3_S5_PtSB_SC_NS1_21upper_bound_search_opENS8_6detail16wrapped_functionINS0_4lessIvEEbEEEE10hipError_tPvRmT1_T2_T3_mmT4_T5_P12ihipStream_tbEUlRKtE_EESL_SP_SQ_mSR_SU_bEUlT_E_NS1_11comp_targetILNS1_3genE5ELNS1_11target_archE942ELNS1_3gpuE9ELNS1_3repE0EEENS1_30default_config_static_selectorELNS0_4arch9wavefront6targetE1EEEvSO_
                                        ; -- End function
	.section	.AMDGPU.csdata,"",@progbits
; Kernel info:
; codeLenInByte = 0
; NumSgprs: 4
; NumVgprs: 0
; NumAgprs: 0
; TotalNumVgprs: 0
; ScratchSize: 0
; MemoryBound: 0
; FloatMode: 240
; IeeeMode: 1
; LDSByteSize: 0 bytes/workgroup (compile time only)
; SGPRBlocks: 0
; VGPRBlocks: 0
; NumSGPRsForWavesPerEU: 4
; NumVGPRsForWavesPerEU: 1
; AccumOffset: 4
; Occupancy: 8
; WaveLimiterHint : 0
; COMPUTE_PGM_RSRC2:SCRATCH_EN: 0
; COMPUTE_PGM_RSRC2:USER_SGPR: 6
; COMPUTE_PGM_RSRC2:TRAP_HANDLER: 0
; COMPUTE_PGM_RSRC2:TGID_X_EN: 1
; COMPUTE_PGM_RSRC2:TGID_Y_EN: 0
; COMPUTE_PGM_RSRC2:TGID_Z_EN: 0
; COMPUTE_PGM_RSRC2:TIDIG_COMP_CNT: 0
; COMPUTE_PGM_RSRC3_GFX90A:ACCUM_OFFSET: 0
; COMPUTE_PGM_RSRC3_GFX90A:TG_SPLIT: 0
	.section	.text._ZN7rocprim17ROCPRIM_400000_NS6detail17trampoline_kernelINS0_14default_configENS1_27upper_bound_config_selectorItlEEZNS1_14transform_implILb0ES3_S5_N6thrust23THRUST_200600_302600_NS17counting_iteratorItNS8_11use_defaultESA_SA_EEPlZNS1_13binary_searchIS3_S5_PtSB_SC_NS1_21upper_bound_search_opENS8_6detail16wrapped_functionINS0_4lessIvEEbEEEE10hipError_tPvRmT1_T2_T3_mmT4_T5_P12ihipStream_tbEUlRKtE_EESL_SP_SQ_mSR_SU_bEUlT_E_NS1_11comp_targetILNS1_3genE4ELNS1_11target_archE910ELNS1_3gpuE8ELNS1_3repE0EEENS1_30default_config_static_selectorELNS0_4arch9wavefront6targetE1EEEvSO_,"axG",@progbits,_ZN7rocprim17ROCPRIM_400000_NS6detail17trampoline_kernelINS0_14default_configENS1_27upper_bound_config_selectorItlEEZNS1_14transform_implILb0ES3_S5_N6thrust23THRUST_200600_302600_NS17counting_iteratorItNS8_11use_defaultESA_SA_EEPlZNS1_13binary_searchIS3_S5_PtSB_SC_NS1_21upper_bound_search_opENS8_6detail16wrapped_functionINS0_4lessIvEEbEEEE10hipError_tPvRmT1_T2_T3_mmT4_T5_P12ihipStream_tbEUlRKtE_EESL_SP_SQ_mSR_SU_bEUlT_E_NS1_11comp_targetILNS1_3genE4ELNS1_11target_archE910ELNS1_3gpuE8ELNS1_3repE0EEENS1_30default_config_static_selectorELNS0_4arch9wavefront6targetE1EEEvSO_,comdat
	.protected	_ZN7rocprim17ROCPRIM_400000_NS6detail17trampoline_kernelINS0_14default_configENS1_27upper_bound_config_selectorItlEEZNS1_14transform_implILb0ES3_S5_N6thrust23THRUST_200600_302600_NS17counting_iteratorItNS8_11use_defaultESA_SA_EEPlZNS1_13binary_searchIS3_S5_PtSB_SC_NS1_21upper_bound_search_opENS8_6detail16wrapped_functionINS0_4lessIvEEbEEEE10hipError_tPvRmT1_T2_T3_mmT4_T5_P12ihipStream_tbEUlRKtE_EESL_SP_SQ_mSR_SU_bEUlT_E_NS1_11comp_targetILNS1_3genE4ELNS1_11target_archE910ELNS1_3gpuE8ELNS1_3repE0EEENS1_30default_config_static_selectorELNS0_4arch9wavefront6targetE1EEEvSO_ ; -- Begin function _ZN7rocprim17ROCPRIM_400000_NS6detail17trampoline_kernelINS0_14default_configENS1_27upper_bound_config_selectorItlEEZNS1_14transform_implILb0ES3_S5_N6thrust23THRUST_200600_302600_NS17counting_iteratorItNS8_11use_defaultESA_SA_EEPlZNS1_13binary_searchIS3_S5_PtSB_SC_NS1_21upper_bound_search_opENS8_6detail16wrapped_functionINS0_4lessIvEEbEEEE10hipError_tPvRmT1_T2_T3_mmT4_T5_P12ihipStream_tbEUlRKtE_EESL_SP_SQ_mSR_SU_bEUlT_E_NS1_11comp_targetILNS1_3genE4ELNS1_11target_archE910ELNS1_3gpuE8ELNS1_3repE0EEENS1_30default_config_static_selectorELNS0_4arch9wavefront6targetE1EEEvSO_
	.globl	_ZN7rocprim17ROCPRIM_400000_NS6detail17trampoline_kernelINS0_14default_configENS1_27upper_bound_config_selectorItlEEZNS1_14transform_implILb0ES3_S5_N6thrust23THRUST_200600_302600_NS17counting_iteratorItNS8_11use_defaultESA_SA_EEPlZNS1_13binary_searchIS3_S5_PtSB_SC_NS1_21upper_bound_search_opENS8_6detail16wrapped_functionINS0_4lessIvEEbEEEE10hipError_tPvRmT1_T2_T3_mmT4_T5_P12ihipStream_tbEUlRKtE_EESL_SP_SQ_mSR_SU_bEUlT_E_NS1_11comp_targetILNS1_3genE4ELNS1_11target_archE910ELNS1_3gpuE8ELNS1_3repE0EEENS1_30default_config_static_selectorELNS0_4arch9wavefront6targetE1EEEvSO_
	.p2align	8
	.type	_ZN7rocprim17ROCPRIM_400000_NS6detail17trampoline_kernelINS0_14default_configENS1_27upper_bound_config_selectorItlEEZNS1_14transform_implILb0ES3_S5_N6thrust23THRUST_200600_302600_NS17counting_iteratorItNS8_11use_defaultESA_SA_EEPlZNS1_13binary_searchIS3_S5_PtSB_SC_NS1_21upper_bound_search_opENS8_6detail16wrapped_functionINS0_4lessIvEEbEEEE10hipError_tPvRmT1_T2_T3_mmT4_T5_P12ihipStream_tbEUlRKtE_EESL_SP_SQ_mSR_SU_bEUlT_E_NS1_11comp_targetILNS1_3genE4ELNS1_11target_archE910ELNS1_3gpuE8ELNS1_3repE0EEENS1_30default_config_static_selectorELNS0_4arch9wavefront6targetE1EEEvSO_,@function
_ZN7rocprim17ROCPRIM_400000_NS6detail17trampoline_kernelINS0_14default_configENS1_27upper_bound_config_selectorItlEEZNS1_14transform_implILb0ES3_S5_N6thrust23THRUST_200600_302600_NS17counting_iteratorItNS8_11use_defaultESA_SA_EEPlZNS1_13binary_searchIS3_S5_PtSB_SC_NS1_21upper_bound_search_opENS8_6detail16wrapped_functionINS0_4lessIvEEbEEEE10hipError_tPvRmT1_T2_T3_mmT4_T5_P12ihipStream_tbEUlRKtE_EESL_SP_SQ_mSR_SU_bEUlT_E_NS1_11comp_targetILNS1_3genE4ELNS1_11target_archE910ELNS1_3gpuE8ELNS1_3repE0EEENS1_30default_config_static_selectorELNS0_4arch9wavefront6targetE1EEEvSO_: ; @_ZN7rocprim17ROCPRIM_400000_NS6detail17trampoline_kernelINS0_14default_configENS1_27upper_bound_config_selectorItlEEZNS1_14transform_implILb0ES3_S5_N6thrust23THRUST_200600_302600_NS17counting_iteratorItNS8_11use_defaultESA_SA_EEPlZNS1_13binary_searchIS3_S5_PtSB_SC_NS1_21upper_bound_search_opENS8_6detail16wrapped_functionINS0_4lessIvEEbEEEE10hipError_tPvRmT1_T2_T3_mmT4_T5_P12ihipStream_tbEUlRKtE_EESL_SP_SQ_mSR_SU_bEUlT_E_NS1_11comp_targetILNS1_3genE4ELNS1_11target_archE910ELNS1_3gpuE8ELNS1_3repE0EEENS1_30default_config_static_selectorELNS0_4arch9wavefront6targetE1EEEvSO_
; %bb.0:
	s_load_dword s16, s[4:5], 0x0
	s_load_dwordx2 s[8:9], s[4:5], 0x8
	s_load_dword s7, s[4:5], 0x38
	s_load_dwordx4 s[0:3], s[4:5], 0x18
	s_load_dwordx2 s[12:13], s[4:5], 0x28
	s_lshl_b32 s10, s6, 8
	s_waitcnt lgkmcnt(0)
	s_add_i32 s16, s16, s8
	s_add_i32 s7, s7, -1
	s_cmp_lg_u32 s6, s7
	s_mov_b32 s11, 0
	s_cbranch_scc0 .LBB131_6
; %bb.1:
	s_mov_b64 s[14:15], 0
	s_cmp_eq_u64 s[12:13], 0
	v_pk_mov_b32 v[2:3], 0, 0
	s_cbranch_scc1 .LBB131_5
; %bb.2:
	v_add_u16_e32 v1, s10, v0
	v_add_u16_e32 v1, s16, v1
	s_mov_b64 s[6:7], 0
	v_pk_mov_b32 v[2:3], 0, 0
	v_pk_mov_b32 v[4:5], s[12:13], s[12:13] op_sel:[0,1]
	v_mov_b32_e32 v6, s3
.LBB131_3:                              ; =>This Inner Loop Header: Depth=1
	v_sub_co_u32_e32 v8, vcc, v4, v2
	v_subb_co_u32_e32 v9, vcc, v5, v3, vcc
	v_lshrrev_b64 v[10:11], 1, v[8:9]
	v_add_co_u32_e32 v7, vcc, v10, v2
	v_lshrrev_b64 v[8:9], 6, v[8:9]
	v_addc_co_u32_e32 v10, vcc, v11, v3, vcc
	v_add_co_u32_e32 v8, vcc, v7, v8
	v_addc_co_u32_e32 v9, vcc, v10, v9, vcc
	v_lshlrev_b64 v[10:11], 1, v[8:9]
	v_add_co_u32_e32 v10, vcc, s2, v10
	v_addc_co_u32_e32 v11, vcc, v6, v11, vcc
	global_load_ushort v7, v[10:11], off
	v_add_co_u32_e32 v10, vcc, 1, v8
	v_addc_co_u32_e32 v11, vcc, 0, v9, vcc
	s_waitcnt vmcnt(0)
	v_cmp_gt_u16_e32 vcc, v7, v1
	v_cndmask_b32_e32 v5, v5, v9, vcc
	v_cndmask_b32_e32 v4, v4, v8, vcc
	;; [unrolled: 1-line block ×4, first 2 shown]
	v_cmp_ge_u64_e32 vcc, v[2:3], v[4:5]
	s_or_b64 s[6:7], vcc, s[6:7]
	s_andn2_b64 exec, exec, s[6:7]
	s_cbranch_execnz .LBB131_3
; %bb.4:
	s_or_b64 exec, exec, s[6:7]
.LBB131_5:
	s_mov_b64 s[6:7], -1
	s_andn2_b64 vcc, exec, s[14:15]
	s_cbranch_vccz .LBB131_7
	s_branch .LBB131_13
.LBB131_6:
	s_mov_b64 s[6:7], 0
                                        ; implicit-def: $vgpr2_vgpr3
.LBB131_7:
	s_load_dword s4, s[4:5], 0x10
                                        ; implicit-def: $vgpr2_vgpr3
	s_waitcnt lgkmcnt(0)
	s_sub_i32 s4, s4, s10
	v_cmp_gt_u32_e64 s[6:7], s4, v0
	s_and_saveexec_b64 s[4:5], s[6:7]
	s_cbranch_execz .LBB131_12
; %bb.8:
	s_mov_b64 s[14:15], 0
	s_cmp_eq_u64 s[12:13], 0
	v_pk_mov_b32 v[2:3], 0, 0
	s_cbranch_scc1 .LBB131_12
; %bb.9:
	v_add_u16_e32 v1, s10, v0
	v_add_u16_e32 v1, s16, v1
	v_pk_mov_b32 v[2:3], 0, 0
	v_pk_mov_b32 v[4:5], s[12:13], s[12:13] op_sel:[0,1]
	v_mov_b32_e32 v6, s3
.LBB131_10:                             ; =>This Inner Loop Header: Depth=1
	v_sub_co_u32_e32 v8, vcc, v4, v2
	v_subb_co_u32_e32 v9, vcc, v5, v3, vcc
	v_lshrrev_b64 v[10:11], 1, v[8:9]
	v_add_co_u32_e32 v7, vcc, v10, v2
	v_lshrrev_b64 v[8:9], 6, v[8:9]
	v_addc_co_u32_e32 v10, vcc, v11, v3, vcc
	v_add_co_u32_e32 v8, vcc, v7, v8
	v_addc_co_u32_e32 v9, vcc, v10, v9, vcc
	v_lshlrev_b64 v[10:11], 1, v[8:9]
	v_add_co_u32_e32 v10, vcc, s2, v10
	v_addc_co_u32_e32 v11, vcc, v6, v11, vcc
	global_load_ushort v7, v[10:11], off
	v_add_co_u32_e32 v10, vcc, 1, v8
	v_addc_co_u32_e32 v11, vcc, 0, v9, vcc
	s_waitcnt vmcnt(0)
	v_cmp_gt_u16_e32 vcc, v7, v1
	v_cndmask_b32_e32 v5, v5, v9, vcc
	v_cndmask_b32_e32 v4, v4, v8, vcc
	;; [unrolled: 1-line block ×4, first 2 shown]
	v_cmp_ge_u64_e32 vcc, v[2:3], v[4:5]
	s_or_b64 s[14:15], vcc, s[14:15]
	s_andn2_b64 exec, exec, s[14:15]
	s_cbranch_execnz .LBB131_10
; %bb.11:
	s_or_b64 exec, exec, s[14:15]
.LBB131_12:
	s_or_b64 exec, exec, s[4:5]
.LBB131_13:
	s_and_saveexec_b64 s[2:3], s[6:7]
	s_cbranch_execnz .LBB131_15
; %bb.14:
	s_endpgm
.LBB131_15:
	s_lshl_b64 s[2:3], s[8:9], 3
	s_add_u32 s2, s0, s2
	s_addc_u32 s3, s1, s3
	s_lshl_b64 s[0:1], s[10:11], 3
	s_add_u32 s0, s2, s0
	s_addc_u32 s1, s3, s1
	v_lshlrev_b32_e32 v0, 3, v0
	global_store_dwordx2 v0, v[2:3], s[0:1]
	s_endpgm
	.section	.rodata,"a",@progbits
	.p2align	6, 0x0
	.amdhsa_kernel _ZN7rocprim17ROCPRIM_400000_NS6detail17trampoline_kernelINS0_14default_configENS1_27upper_bound_config_selectorItlEEZNS1_14transform_implILb0ES3_S5_N6thrust23THRUST_200600_302600_NS17counting_iteratorItNS8_11use_defaultESA_SA_EEPlZNS1_13binary_searchIS3_S5_PtSB_SC_NS1_21upper_bound_search_opENS8_6detail16wrapped_functionINS0_4lessIvEEbEEEE10hipError_tPvRmT1_T2_T3_mmT4_T5_P12ihipStream_tbEUlRKtE_EESL_SP_SQ_mSR_SU_bEUlT_E_NS1_11comp_targetILNS1_3genE4ELNS1_11target_archE910ELNS1_3gpuE8ELNS1_3repE0EEENS1_30default_config_static_selectorELNS0_4arch9wavefront6targetE1EEEvSO_
		.amdhsa_group_segment_fixed_size 0
		.amdhsa_private_segment_fixed_size 0
		.amdhsa_kernarg_size 312
		.amdhsa_user_sgpr_count 6
		.amdhsa_user_sgpr_private_segment_buffer 1
		.amdhsa_user_sgpr_dispatch_ptr 0
		.amdhsa_user_sgpr_queue_ptr 0
		.amdhsa_user_sgpr_kernarg_segment_ptr 1
		.amdhsa_user_sgpr_dispatch_id 0
		.amdhsa_user_sgpr_flat_scratch_init 0
		.amdhsa_user_sgpr_kernarg_preload_length 0
		.amdhsa_user_sgpr_kernarg_preload_offset 0
		.amdhsa_user_sgpr_private_segment_size 0
		.amdhsa_uses_dynamic_stack 0
		.amdhsa_system_sgpr_private_segment_wavefront_offset 0
		.amdhsa_system_sgpr_workgroup_id_x 1
		.amdhsa_system_sgpr_workgroup_id_y 0
		.amdhsa_system_sgpr_workgroup_id_z 0
		.amdhsa_system_sgpr_workgroup_info 0
		.amdhsa_system_vgpr_workitem_id 0
		.amdhsa_next_free_vgpr 12
		.amdhsa_next_free_sgpr 17
		.amdhsa_accum_offset 12
		.amdhsa_reserve_vcc 1
		.amdhsa_reserve_flat_scratch 0
		.amdhsa_float_round_mode_32 0
		.amdhsa_float_round_mode_16_64 0
		.amdhsa_float_denorm_mode_32 3
		.amdhsa_float_denorm_mode_16_64 3
		.amdhsa_dx10_clamp 1
		.amdhsa_ieee_mode 1
		.amdhsa_fp16_overflow 0
		.amdhsa_tg_split 0
		.amdhsa_exception_fp_ieee_invalid_op 0
		.amdhsa_exception_fp_denorm_src 0
		.amdhsa_exception_fp_ieee_div_zero 0
		.amdhsa_exception_fp_ieee_overflow 0
		.amdhsa_exception_fp_ieee_underflow 0
		.amdhsa_exception_fp_ieee_inexact 0
		.amdhsa_exception_int_div_zero 0
	.end_amdhsa_kernel
	.section	.text._ZN7rocprim17ROCPRIM_400000_NS6detail17trampoline_kernelINS0_14default_configENS1_27upper_bound_config_selectorItlEEZNS1_14transform_implILb0ES3_S5_N6thrust23THRUST_200600_302600_NS17counting_iteratorItNS8_11use_defaultESA_SA_EEPlZNS1_13binary_searchIS3_S5_PtSB_SC_NS1_21upper_bound_search_opENS8_6detail16wrapped_functionINS0_4lessIvEEbEEEE10hipError_tPvRmT1_T2_T3_mmT4_T5_P12ihipStream_tbEUlRKtE_EESL_SP_SQ_mSR_SU_bEUlT_E_NS1_11comp_targetILNS1_3genE4ELNS1_11target_archE910ELNS1_3gpuE8ELNS1_3repE0EEENS1_30default_config_static_selectorELNS0_4arch9wavefront6targetE1EEEvSO_,"axG",@progbits,_ZN7rocprim17ROCPRIM_400000_NS6detail17trampoline_kernelINS0_14default_configENS1_27upper_bound_config_selectorItlEEZNS1_14transform_implILb0ES3_S5_N6thrust23THRUST_200600_302600_NS17counting_iteratorItNS8_11use_defaultESA_SA_EEPlZNS1_13binary_searchIS3_S5_PtSB_SC_NS1_21upper_bound_search_opENS8_6detail16wrapped_functionINS0_4lessIvEEbEEEE10hipError_tPvRmT1_T2_T3_mmT4_T5_P12ihipStream_tbEUlRKtE_EESL_SP_SQ_mSR_SU_bEUlT_E_NS1_11comp_targetILNS1_3genE4ELNS1_11target_archE910ELNS1_3gpuE8ELNS1_3repE0EEENS1_30default_config_static_selectorELNS0_4arch9wavefront6targetE1EEEvSO_,comdat
.Lfunc_end131:
	.size	_ZN7rocprim17ROCPRIM_400000_NS6detail17trampoline_kernelINS0_14default_configENS1_27upper_bound_config_selectorItlEEZNS1_14transform_implILb0ES3_S5_N6thrust23THRUST_200600_302600_NS17counting_iteratorItNS8_11use_defaultESA_SA_EEPlZNS1_13binary_searchIS3_S5_PtSB_SC_NS1_21upper_bound_search_opENS8_6detail16wrapped_functionINS0_4lessIvEEbEEEE10hipError_tPvRmT1_T2_T3_mmT4_T5_P12ihipStream_tbEUlRKtE_EESL_SP_SQ_mSR_SU_bEUlT_E_NS1_11comp_targetILNS1_3genE4ELNS1_11target_archE910ELNS1_3gpuE8ELNS1_3repE0EEENS1_30default_config_static_selectorELNS0_4arch9wavefront6targetE1EEEvSO_, .Lfunc_end131-_ZN7rocprim17ROCPRIM_400000_NS6detail17trampoline_kernelINS0_14default_configENS1_27upper_bound_config_selectorItlEEZNS1_14transform_implILb0ES3_S5_N6thrust23THRUST_200600_302600_NS17counting_iteratorItNS8_11use_defaultESA_SA_EEPlZNS1_13binary_searchIS3_S5_PtSB_SC_NS1_21upper_bound_search_opENS8_6detail16wrapped_functionINS0_4lessIvEEbEEEE10hipError_tPvRmT1_T2_T3_mmT4_T5_P12ihipStream_tbEUlRKtE_EESL_SP_SQ_mSR_SU_bEUlT_E_NS1_11comp_targetILNS1_3genE4ELNS1_11target_archE910ELNS1_3gpuE8ELNS1_3repE0EEENS1_30default_config_static_selectorELNS0_4arch9wavefront6targetE1EEEvSO_
                                        ; -- End function
	.section	.AMDGPU.csdata,"",@progbits
; Kernel info:
; codeLenInByte = 508
; NumSgprs: 21
; NumVgprs: 12
; NumAgprs: 0
; TotalNumVgprs: 12
; ScratchSize: 0
; MemoryBound: 0
; FloatMode: 240
; IeeeMode: 1
; LDSByteSize: 0 bytes/workgroup (compile time only)
; SGPRBlocks: 2
; VGPRBlocks: 1
; NumSGPRsForWavesPerEU: 21
; NumVGPRsForWavesPerEU: 12
; AccumOffset: 12
; Occupancy: 8
; WaveLimiterHint : 0
; COMPUTE_PGM_RSRC2:SCRATCH_EN: 0
; COMPUTE_PGM_RSRC2:USER_SGPR: 6
; COMPUTE_PGM_RSRC2:TRAP_HANDLER: 0
; COMPUTE_PGM_RSRC2:TGID_X_EN: 1
; COMPUTE_PGM_RSRC2:TGID_Y_EN: 0
; COMPUTE_PGM_RSRC2:TGID_Z_EN: 0
; COMPUTE_PGM_RSRC2:TIDIG_COMP_CNT: 0
; COMPUTE_PGM_RSRC3_GFX90A:ACCUM_OFFSET: 2
; COMPUTE_PGM_RSRC3_GFX90A:TG_SPLIT: 0
	.section	.text._ZN7rocprim17ROCPRIM_400000_NS6detail17trampoline_kernelINS0_14default_configENS1_27upper_bound_config_selectorItlEEZNS1_14transform_implILb0ES3_S5_N6thrust23THRUST_200600_302600_NS17counting_iteratorItNS8_11use_defaultESA_SA_EEPlZNS1_13binary_searchIS3_S5_PtSB_SC_NS1_21upper_bound_search_opENS8_6detail16wrapped_functionINS0_4lessIvEEbEEEE10hipError_tPvRmT1_T2_T3_mmT4_T5_P12ihipStream_tbEUlRKtE_EESL_SP_SQ_mSR_SU_bEUlT_E_NS1_11comp_targetILNS1_3genE3ELNS1_11target_archE908ELNS1_3gpuE7ELNS1_3repE0EEENS1_30default_config_static_selectorELNS0_4arch9wavefront6targetE1EEEvSO_,"axG",@progbits,_ZN7rocprim17ROCPRIM_400000_NS6detail17trampoline_kernelINS0_14default_configENS1_27upper_bound_config_selectorItlEEZNS1_14transform_implILb0ES3_S5_N6thrust23THRUST_200600_302600_NS17counting_iteratorItNS8_11use_defaultESA_SA_EEPlZNS1_13binary_searchIS3_S5_PtSB_SC_NS1_21upper_bound_search_opENS8_6detail16wrapped_functionINS0_4lessIvEEbEEEE10hipError_tPvRmT1_T2_T3_mmT4_T5_P12ihipStream_tbEUlRKtE_EESL_SP_SQ_mSR_SU_bEUlT_E_NS1_11comp_targetILNS1_3genE3ELNS1_11target_archE908ELNS1_3gpuE7ELNS1_3repE0EEENS1_30default_config_static_selectorELNS0_4arch9wavefront6targetE1EEEvSO_,comdat
	.protected	_ZN7rocprim17ROCPRIM_400000_NS6detail17trampoline_kernelINS0_14default_configENS1_27upper_bound_config_selectorItlEEZNS1_14transform_implILb0ES3_S5_N6thrust23THRUST_200600_302600_NS17counting_iteratorItNS8_11use_defaultESA_SA_EEPlZNS1_13binary_searchIS3_S5_PtSB_SC_NS1_21upper_bound_search_opENS8_6detail16wrapped_functionINS0_4lessIvEEbEEEE10hipError_tPvRmT1_T2_T3_mmT4_T5_P12ihipStream_tbEUlRKtE_EESL_SP_SQ_mSR_SU_bEUlT_E_NS1_11comp_targetILNS1_3genE3ELNS1_11target_archE908ELNS1_3gpuE7ELNS1_3repE0EEENS1_30default_config_static_selectorELNS0_4arch9wavefront6targetE1EEEvSO_ ; -- Begin function _ZN7rocprim17ROCPRIM_400000_NS6detail17trampoline_kernelINS0_14default_configENS1_27upper_bound_config_selectorItlEEZNS1_14transform_implILb0ES3_S5_N6thrust23THRUST_200600_302600_NS17counting_iteratorItNS8_11use_defaultESA_SA_EEPlZNS1_13binary_searchIS3_S5_PtSB_SC_NS1_21upper_bound_search_opENS8_6detail16wrapped_functionINS0_4lessIvEEbEEEE10hipError_tPvRmT1_T2_T3_mmT4_T5_P12ihipStream_tbEUlRKtE_EESL_SP_SQ_mSR_SU_bEUlT_E_NS1_11comp_targetILNS1_3genE3ELNS1_11target_archE908ELNS1_3gpuE7ELNS1_3repE0EEENS1_30default_config_static_selectorELNS0_4arch9wavefront6targetE1EEEvSO_
	.globl	_ZN7rocprim17ROCPRIM_400000_NS6detail17trampoline_kernelINS0_14default_configENS1_27upper_bound_config_selectorItlEEZNS1_14transform_implILb0ES3_S5_N6thrust23THRUST_200600_302600_NS17counting_iteratorItNS8_11use_defaultESA_SA_EEPlZNS1_13binary_searchIS3_S5_PtSB_SC_NS1_21upper_bound_search_opENS8_6detail16wrapped_functionINS0_4lessIvEEbEEEE10hipError_tPvRmT1_T2_T3_mmT4_T5_P12ihipStream_tbEUlRKtE_EESL_SP_SQ_mSR_SU_bEUlT_E_NS1_11comp_targetILNS1_3genE3ELNS1_11target_archE908ELNS1_3gpuE7ELNS1_3repE0EEENS1_30default_config_static_selectorELNS0_4arch9wavefront6targetE1EEEvSO_
	.p2align	8
	.type	_ZN7rocprim17ROCPRIM_400000_NS6detail17trampoline_kernelINS0_14default_configENS1_27upper_bound_config_selectorItlEEZNS1_14transform_implILb0ES3_S5_N6thrust23THRUST_200600_302600_NS17counting_iteratorItNS8_11use_defaultESA_SA_EEPlZNS1_13binary_searchIS3_S5_PtSB_SC_NS1_21upper_bound_search_opENS8_6detail16wrapped_functionINS0_4lessIvEEbEEEE10hipError_tPvRmT1_T2_T3_mmT4_T5_P12ihipStream_tbEUlRKtE_EESL_SP_SQ_mSR_SU_bEUlT_E_NS1_11comp_targetILNS1_3genE3ELNS1_11target_archE908ELNS1_3gpuE7ELNS1_3repE0EEENS1_30default_config_static_selectorELNS0_4arch9wavefront6targetE1EEEvSO_,@function
_ZN7rocprim17ROCPRIM_400000_NS6detail17trampoline_kernelINS0_14default_configENS1_27upper_bound_config_selectorItlEEZNS1_14transform_implILb0ES3_S5_N6thrust23THRUST_200600_302600_NS17counting_iteratorItNS8_11use_defaultESA_SA_EEPlZNS1_13binary_searchIS3_S5_PtSB_SC_NS1_21upper_bound_search_opENS8_6detail16wrapped_functionINS0_4lessIvEEbEEEE10hipError_tPvRmT1_T2_T3_mmT4_T5_P12ihipStream_tbEUlRKtE_EESL_SP_SQ_mSR_SU_bEUlT_E_NS1_11comp_targetILNS1_3genE3ELNS1_11target_archE908ELNS1_3gpuE7ELNS1_3repE0EEENS1_30default_config_static_selectorELNS0_4arch9wavefront6targetE1EEEvSO_: ; @_ZN7rocprim17ROCPRIM_400000_NS6detail17trampoline_kernelINS0_14default_configENS1_27upper_bound_config_selectorItlEEZNS1_14transform_implILb0ES3_S5_N6thrust23THRUST_200600_302600_NS17counting_iteratorItNS8_11use_defaultESA_SA_EEPlZNS1_13binary_searchIS3_S5_PtSB_SC_NS1_21upper_bound_search_opENS8_6detail16wrapped_functionINS0_4lessIvEEbEEEE10hipError_tPvRmT1_T2_T3_mmT4_T5_P12ihipStream_tbEUlRKtE_EESL_SP_SQ_mSR_SU_bEUlT_E_NS1_11comp_targetILNS1_3genE3ELNS1_11target_archE908ELNS1_3gpuE7ELNS1_3repE0EEENS1_30default_config_static_selectorELNS0_4arch9wavefront6targetE1EEEvSO_
; %bb.0:
	.section	.rodata,"a",@progbits
	.p2align	6, 0x0
	.amdhsa_kernel _ZN7rocprim17ROCPRIM_400000_NS6detail17trampoline_kernelINS0_14default_configENS1_27upper_bound_config_selectorItlEEZNS1_14transform_implILb0ES3_S5_N6thrust23THRUST_200600_302600_NS17counting_iteratorItNS8_11use_defaultESA_SA_EEPlZNS1_13binary_searchIS3_S5_PtSB_SC_NS1_21upper_bound_search_opENS8_6detail16wrapped_functionINS0_4lessIvEEbEEEE10hipError_tPvRmT1_T2_T3_mmT4_T5_P12ihipStream_tbEUlRKtE_EESL_SP_SQ_mSR_SU_bEUlT_E_NS1_11comp_targetILNS1_3genE3ELNS1_11target_archE908ELNS1_3gpuE7ELNS1_3repE0EEENS1_30default_config_static_selectorELNS0_4arch9wavefront6targetE1EEEvSO_
		.amdhsa_group_segment_fixed_size 0
		.amdhsa_private_segment_fixed_size 0
		.amdhsa_kernarg_size 56
		.amdhsa_user_sgpr_count 6
		.amdhsa_user_sgpr_private_segment_buffer 1
		.amdhsa_user_sgpr_dispatch_ptr 0
		.amdhsa_user_sgpr_queue_ptr 0
		.amdhsa_user_sgpr_kernarg_segment_ptr 1
		.amdhsa_user_sgpr_dispatch_id 0
		.amdhsa_user_sgpr_flat_scratch_init 0
		.amdhsa_user_sgpr_kernarg_preload_length 0
		.amdhsa_user_sgpr_kernarg_preload_offset 0
		.amdhsa_user_sgpr_private_segment_size 0
		.amdhsa_uses_dynamic_stack 0
		.amdhsa_system_sgpr_private_segment_wavefront_offset 0
		.amdhsa_system_sgpr_workgroup_id_x 1
		.amdhsa_system_sgpr_workgroup_id_y 0
		.amdhsa_system_sgpr_workgroup_id_z 0
		.amdhsa_system_sgpr_workgroup_info 0
		.amdhsa_system_vgpr_workitem_id 0
		.amdhsa_next_free_vgpr 1
		.amdhsa_next_free_sgpr 0
		.amdhsa_accum_offset 4
		.amdhsa_reserve_vcc 0
		.amdhsa_reserve_flat_scratch 0
		.amdhsa_float_round_mode_32 0
		.amdhsa_float_round_mode_16_64 0
		.amdhsa_float_denorm_mode_32 3
		.amdhsa_float_denorm_mode_16_64 3
		.amdhsa_dx10_clamp 1
		.amdhsa_ieee_mode 1
		.amdhsa_fp16_overflow 0
		.amdhsa_tg_split 0
		.amdhsa_exception_fp_ieee_invalid_op 0
		.amdhsa_exception_fp_denorm_src 0
		.amdhsa_exception_fp_ieee_div_zero 0
		.amdhsa_exception_fp_ieee_overflow 0
		.amdhsa_exception_fp_ieee_underflow 0
		.amdhsa_exception_fp_ieee_inexact 0
		.amdhsa_exception_int_div_zero 0
	.end_amdhsa_kernel
	.section	.text._ZN7rocprim17ROCPRIM_400000_NS6detail17trampoline_kernelINS0_14default_configENS1_27upper_bound_config_selectorItlEEZNS1_14transform_implILb0ES3_S5_N6thrust23THRUST_200600_302600_NS17counting_iteratorItNS8_11use_defaultESA_SA_EEPlZNS1_13binary_searchIS3_S5_PtSB_SC_NS1_21upper_bound_search_opENS8_6detail16wrapped_functionINS0_4lessIvEEbEEEE10hipError_tPvRmT1_T2_T3_mmT4_T5_P12ihipStream_tbEUlRKtE_EESL_SP_SQ_mSR_SU_bEUlT_E_NS1_11comp_targetILNS1_3genE3ELNS1_11target_archE908ELNS1_3gpuE7ELNS1_3repE0EEENS1_30default_config_static_selectorELNS0_4arch9wavefront6targetE1EEEvSO_,"axG",@progbits,_ZN7rocprim17ROCPRIM_400000_NS6detail17trampoline_kernelINS0_14default_configENS1_27upper_bound_config_selectorItlEEZNS1_14transform_implILb0ES3_S5_N6thrust23THRUST_200600_302600_NS17counting_iteratorItNS8_11use_defaultESA_SA_EEPlZNS1_13binary_searchIS3_S5_PtSB_SC_NS1_21upper_bound_search_opENS8_6detail16wrapped_functionINS0_4lessIvEEbEEEE10hipError_tPvRmT1_T2_T3_mmT4_T5_P12ihipStream_tbEUlRKtE_EESL_SP_SQ_mSR_SU_bEUlT_E_NS1_11comp_targetILNS1_3genE3ELNS1_11target_archE908ELNS1_3gpuE7ELNS1_3repE0EEENS1_30default_config_static_selectorELNS0_4arch9wavefront6targetE1EEEvSO_,comdat
.Lfunc_end132:
	.size	_ZN7rocprim17ROCPRIM_400000_NS6detail17trampoline_kernelINS0_14default_configENS1_27upper_bound_config_selectorItlEEZNS1_14transform_implILb0ES3_S5_N6thrust23THRUST_200600_302600_NS17counting_iteratorItNS8_11use_defaultESA_SA_EEPlZNS1_13binary_searchIS3_S5_PtSB_SC_NS1_21upper_bound_search_opENS8_6detail16wrapped_functionINS0_4lessIvEEbEEEE10hipError_tPvRmT1_T2_T3_mmT4_T5_P12ihipStream_tbEUlRKtE_EESL_SP_SQ_mSR_SU_bEUlT_E_NS1_11comp_targetILNS1_3genE3ELNS1_11target_archE908ELNS1_3gpuE7ELNS1_3repE0EEENS1_30default_config_static_selectorELNS0_4arch9wavefront6targetE1EEEvSO_, .Lfunc_end132-_ZN7rocprim17ROCPRIM_400000_NS6detail17trampoline_kernelINS0_14default_configENS1_27upper_bound_config_selectorItlEEZNS1_14transform_implILb0ES3_S5_N6thrust23THRUST_200600_302600_NS17counting_iteratorItNS8_11use_defaultESA_SA_EEPlZNS1_13binary_searchIS3_S5_PtSB_SC_NS1_21upper_bound_search_opENS8_6detail16wrapped_functionINS0_4lessIvEEbEEEE10hipError_tPvRmT1_T2_T3_mmT4_T5_P12ihipStream_tbEUlRKtE_EESL_SP_SQ_mSR_SU_bEUlT_E_NS1_11comp_targetILNS1_3genE3ELNS1_11target_archE908ELNS1_3gpuE7ELNS1_3repE0EEENS1_30default_config_static_selectorELNS0_4arch9wavefront6targetE1EEEvSO_
                                        ; -- End function
	.section	.AMDGPU.csdata,"",@progbits
; Kernel info:
; codeLenInByte = 0
; NumSgprs: 4
; NumVgprs: 0
; NumAgprs: 0
; TotalNumVgprs: 0
; ScratchSize: 0
; MemoryBound: 0
; FloatMode: 240
; IeeeMode: 1
; LDSByteSize: 0 bytes/workgroup (compile time only)
; SGPRBlocks: 0
; VGPRBlocks: 0
; NumSGPRsForWavesPerEU: 4
; NumVGPRsForWavesPerEU: 1
; AccumOffset: 4
; Occupancy: 8
; WaveLimiterHint : 0
; COMPUTE_PGM_RSRC2:SCRATCH_EN: 0
; COMPUTE_PGM_RSRC2:USER_SGPR: 6
; COMPUTE_PGM_RSRC2:TRAP_HANDLER: 0
; COMPUTE_PGM_RSRC2:TGID_X_EN: 1
; COMPUTE_PGM_RSRC2:TGID_Y_EN: 0
; COMPUTE_PGM_RSRC2:TGID_Z_EN: 0
; COMPUTE_PGM_RSRC2:TIDIG_COMP_CNT: 0
; COMPUTE_PGM_RSRC3_GFX90A:ACCUM_OFFSET: 0
; COMPUTE_PGM_RSRC3_GFX90A:TG_SPLIT: 0
	.section	.text._ZN7rocprim17ROCPRIM_400000_NS6detail17trampoline_kernelINS0_14default_configENS1_27upper_bound_config_selectorItlEEZNS1_14transform_implILb0ES3_S5_N6thrust23THRUST_200600_302600_NS17counting_iteratorItNS8_11use_defaultESA_SA_EEPlZNS1_13binary_searchIS3_S5_PtSB_SC_NS1_21upper_bound_search_opENS8_6detail16wrapped_functionINS0_4lessIvEEbEEEE10hipError_tPvRmT1_T2_T3_mmT4_T5_P12ihipStream_tbEUlRKtE_EESL_SP_SQ_mSR_SU_bEUlT_E_NS1_11comp_targetILNS1_3genE2ELNS1_11target_archE906ELNS1_3gpuE6ELNS1_3repE0EEENS1_30default_config_static_selectorELNS0_4arch9wavefront6targetE1EEEvSO_,"axG",@progbits,_ZN7rocprim17ROCPRIM_400000_NS6detail17trampoline_kernelINS0_14default_configENS1_27upper_bound_config_selectorItlEEZNS1_14transform_implILb0ES3_S5_N6thrust23THRUST_200600_302600_NS17counting_iteratorItNS8_11use_defaultESA_SA_EEPlZNS1_13binary_searchIS3_S5_PtSB_SC_NS1_21upper_bound_search_opENS8_6detail16wrapped_functionINS0_4lessIvEEbEEEE10hipError_tPvRmT1_T2_T3_mmT4_T5_P12ihipStream_tbEUlRKtE_EESL_SP_SQ_mSR_SU_bEUlT_E_NS1_11comp_targetILNS1_3genE2ELNS1_11target_archE906ELNS1_3gpuE6ELNS1_3repE0EEENS1_30default_config_static_selectorELNS0_4arch9wavefront6targetE1EEEvSO_,comdat
	.protected	_ZN7rocprim17ROCPRIM_400000_NS6detail17trampoline_kernelINS0_14default_configENS1_27upper_bound_config_selectorItlEEZNS1_14transform_implILb0ES3_S5_N6thrust23THRUST_200600_302600_NS17counting_iteratorItNS8_11use_defaultESA_SA_EEPlZNS1_13binary_searchIS3_S5_PtSB_SC_NS1_21upper_bound_search_opENS8_6detail16wrapped_functionINS0_4lessIvEEbEEEE10hipError_tPvRmT1_T2_T3_mmT4_T5_P12ihipStream_tbEUlRKtE_EESL_SP_SQ_mSR_SU_bEUlT_E_NS1_11comp_targetILNS1_3genE2ELNS1_11target_archE906ELNS1_3gpuE6ELNS1_3repE0EEENS1_30default_config_static_selectorELNS0_4arch9wavefront6targetE1EEEvSO_ ; -- Begin function _ZN7rocprim17ROCPRIM_400000_NS6detail17trampoline_kernelINS0_14default_configENS1_27upper_bound_config_selectorItlEEZNS1_14transform_implILb0ES3_S5_N6thrust23THRUST_200600_302600_NS17counting_iteratorItNS8_11use_defaultESA_SA_EEPlZNS1_13binary_searchIS3_S5_PtSB_SC_NS1_21upper_bound_search_opENS8_6detail16wrapped_functionINS0_4lessIvEEbEEEE10hipError_tPvRmT1_T2_T3_mmT4_T5_P12ihipStream_tbEUlRKtE_EESL_SP_SQ_mSR_SU_bEUlT_E_NS1_11comp_targetILNS1_3genE2ELNS1_11target_archE906ELNS1_3gpuE6ELNS1_3repE0EEENS1_30default_config_static_selectorELNS0_4arch9wavefront6targetE1EEEvSO_
	.globl	_ZN7rocprim17ROCPRIM_400000_NS6detail17trampoline_kernelINS0_14default_configENS1_27upper_bound_config_selectorItlEEZNS1_14transform_implILb0ES3_S5_N6thrust23THRUST_200600_302600_NS17counting_iteratorItNS8_11use_defaultESA_SA_EEPlZNS1_13binary_searchIS3_S5_PtSB_SC_NS1_21upper_bound_search_opENS8_6detail16wrapped_functionINS0_4lessIvEEbEEEE10hipError_tPvRmT1_T2_T3_mmT4_T5_P12ihipStream_tbEUlRKtE_EESL_SP_SQ_mSR_SU_bEUlT_E_NS1_11comp_targetILNS1_3genE2ELNS1_11target_archE906ELNS1_3gpuE6ELNS1_3repE0EEENS1_30default_config_static_selectorELNS0_4arch9wavefront6targetE1EEEvSO_
	.p2align	8
	.type	_ZN7rocprim17ROCPRIM_400000_NS6detail17trampoline_kernelINS0_14default_configENS1_27upper_bound_config_selectorItlEEZNS1_14transform_implILb0ES3_S5_N6thrust23THRUST_200600_302600_NS17counting_iteratorItNS8_11use_defaultESA_SA_EEPlZNS1_13binary_searchIS3_S5_PtSB_SC_NS1_21upper_bound_search_opENS8_6detail16wrapped_functionINS0_4lessIvEEbEEEE10hipError_tPvRmT1_T2_T3_mmT4_T5_P12ihipStream_tbEUlRKtE_EESL_SP_SQ_mSR_SU_bEUlT_E_NS1_11comp_targetILNS1_3genE2ELNS1_11target_archE906ELNS1_3gpuE6ELNS1_3repE0EEENS1_30default_config_static_selectorELNS0_4arch9wavefront6targetE1EEEvSO_,@function
_ZN7rocprim17ROCPRIM_400000_NS6detail17trampoline_kernelINS0_14default_configENS1_27upper_bound_config_selectorItlEEZNS1_14transform_implILb0ES3_S5_N6thrust23THRUST_200600_302600_NS17counting_iteratorItNS8_11use_defaultESA_SA_EEPlZNS1_13binary_searchIS3_S5_PtSB_SC_NS1_21upper_bound_search_opENS8_6detail16wrapped_functionINS0_4lessIvEEbEEEE10hipError_tPvRmT1_T2_T3_mmT4_T5_P12ihipStream_tbEUlRKtE_EESL_SP_SQ_mSR_SU_bEUlT_E_NS1_11comp_targetILNS1_3genE2ELNS1_11target_archE906ELNS1_3gpuE6ELNS1_3repE0EEENS1_30default_config_static_selectorELNS0_4arch9wavefront6targetE1EEEvSO_: ; @_ZN7rocprim17ROCPRIM_400000_NS6detail17trampoline_kernelINS0_14default_configENS1_27upper_bound_config_selectorItlEEZNS1_14transform_implILb0ES3_S5_N6thrust23THRUST_200600_302600_NS17counting_iteratorItNS8_11use_defaultESA_SA_EEPlZNS1_13binary_searchIS3_S5_PtSB_SC_NS1_21upper_bound_search_opENS8_6detail16wrapped_functionINS0_4lessIvEEbEEEE10hipError_tPvRmT1_T2_T3_mmT4_T5_P12ihipStream_tbEUlRKtE_EESL_SP_SQ_mSR_SU_bEUlT_E_NS1_11comp_targetILNS1_3genE2ELNS1_11target_archE906ELNS1_3gpuE6ELNS1_3repE0EEENS1_30default_config_static_selectorELNS0_4arch9wavefront6targetE1EEEvSO_
; %bb.0:
	.section	.rodata,"a",@progbits
	.p2align	6, 0x0
	.amdhsa_kernel _ZN7rocprim17ROCPRIM_400000_NS6detail17trampoline_kernelINS0_14default_configENS1_27upper_bound_config_selectorItlEEZNS1_14transform_implILb0ES3_S5_N6thrust23THRUST_200600_302600_NS17counting_iteratorItNS8_11use_defaultESA_SA_EEPlZNS1_13binary_searchIS3_S5_PtSB_SC_NS1_21upper_bound_search_opENS8_6detail16wrapped_functionINS0_4lessIvEEbEEEE10hipError_tPvRmT1_T2_T3_mmT4_T5_P12ihipStream_tbEUlRKtE_EESL_SP_SQ_mSR_SU_bEUlT_E_NS1_11comp_targetILNS1_3genE2ELNS1_11target_archE906ELNS1_3gpuE6ELNS1_3repE0EEENS1_30default_config_static_selectorELNS0_4arch9wavefront6targetE1EEEvSO_
		.amdhsa_group_segment_fixed_size 0
		.amdhsa_private_segment_fixed_size 0
		.amdhsa_kernarg_size 56
		.amdhsa_user_sgpr_count 6
		.amdhsa_user_sgpr_private_segment_buffer 1
		.amdhsa_user_sgpr_dispatch_ptr 0
		.amdhsa_user_sgpr_queue_ptr 0
		.amdhsa_user_sgpr_kernarg_segment_ptr 1
		.amdhsa_user_sgpr_dispatch_id 0
		.amdhsa_user_sgpr_flat_scratch_init 0
		.amdhsa_user_sgpr_kernarg_preload_length 0
		.amdhsa_user_sgpr_kernarg_preload_offset 0
		.amdhsa_user_sgpr_private_segment_size 0
		.amdhsa_uses_dynamic_stack 0
		.amdhsa_system_sgpr_private_segment_wavefront_offset 0
		.amdhsa_system_sgpr_workgroup_id_x 1
		.amdhsa_system_sgpr_workgroup_id_y 0
		.amdhsa_system_sgpr_workgroup_id_z 0
		.amdhsa_system_sgpr_workgroup_info 0
		.amdhsa_system_vgpr_workitem_id 0
		.amdhsa_next_free_vgpr 1
		.amdhsa_next_free_sgpr 0
		.amdhsa_accum_offset 4
		.amdhsa_reserve_vcc 0
		.amdhsa_reserve_flat_scratch 0
		.amdhsa_float_round_mode_32 0
		.amdhsa_float_round_mode_16_64 0
		.amdhsa_float_denorm_mode_32 3
		.amdhsa_float_denorm_mode_16_64 3
		.amdhsa_dx10_clamp 1
		.amdhsa_ieee_mode 1
		.amdhsa_fp16_overflow 0
		.amdhsa_tg_split 0
		.amdhsa_exception_fp_ieee_invalid_op 0
		.amdhsa_exception_fp_denorm_src 0
		.amdhsa_exception_fp_ieee_div_zero 0
		.amdhsa_exception_fp_ieee_overflow 0
		.amdhsa_exception_fp_ieee_underflow 0
		.amdhsa_exception_fp_ieee_inexact 0
		.amdhsa_exception_int_div_zero 0
	.end_amdhsa_kernel
	.section	.text._ZN7rocprim17ROCPRIM_400000_NS6detail17trampoline_kernelINS0_14default_configENS1_27upper_bound_config_selectorItlEEZNS1_14transform_implILb0ES3_S5_N6thrust23THRUST_200600_302600_NS17counting_iteratorItNS8_11use_defaultESA_SA_EEPlZNS1_13binary_searchIS3_S5_PtSB_SC_NS1_21upper_bound_search_opENS8_6detail16wrapped_functionINS0_4lessIvEEbEEEE10hipError_tPvRmT1_T2_T3_mmT4_T5_P12ihipStream_tbEUlRKtE_EESL_SP_SQ_mSR_SU_bEUlT_E_NS1_11comp_targetILNS1_3genE2ELNS1_11target_archE906ELNS1_3gpuE6ELNS1_3repE0EEENS1_30default_config_static_selectorELNS0_4arch9wavefront6targetE1EEEvSO_,"axG",@progbits,_ZN7rocprim17ROCPRIM_400000_NS6detail17trampoline_kernelINS0_14default_configENS1_27upper_bound_config_selectorItlEEZNS1_14transform_implILb0ES3_S5_N6thrust23THRUST_200600_302600_NS17counting_iteratorItNS8_11use_defaultESA_SA_EEPlZNS1_13binary_searchIS3_S5_PtSB_SC_NS1_21upper_bound_search_opENS8_6detail16wrapped_functionINS0_4lessIvEEbEEEE10hipError_tPvRmT1_T2_T3_mmT4_T5_P12ihipStream_tbEUlRKtE_EESL_SP_SQ_mSR_SU_bEUlT_E_NS1_11comp_targetILNS1_3genE2ELNS1_11target_archE906ELNS1_3gpuE6ELNS1_3repE0EEENS1_30default_config_static_selectorELNS0_4arch9wavefront6targetE1EEEvSO_,comdat
.Lfunc_end133:
	.size	_ZN7rocprim17ROCPRIM_400000_NS6detail17trampoline_kernelINS0_14default_configENS1_27upper_bound_config_selectorItlEEZNS1_14transform_implILb0ES3_S5_N6thrust23THRUST_200600_302600_NS17counting_iteratorItNS8_11use_defaultESA_SA_EEPlZNS1_13binary_searchIS3_S5_PtSB_SC_NS1_21upper_bound_search_opENS8_6detail16wrapped_functionINS0_4lessIvEEbEEEE10hipError_tPvRmT1_T2_T3_mmT4_T5_P12ihipStream_tbEUlRKtE_EESL_SP_SQ_mSR_SU_bEUlT_E_NS1_11comp_targetILNS1_3genE2ELNS1_11target_archE906ELNS1_3gpuE6ELNS1_3repE0EEENS1_30default_config_static_selectorELNS0_4arch9wavefront6targetE1EEEvSO_, .Lfunc_end133-_ZN7rocprim17ROCPRIM_400000_NS6detail17trampoline_kernelINS0_14default_configENS1_27upper_bound_config_selectorItlEEZNS1_14transform_implILb0ES3_S5_N6thrust23THRUST_200600_302600_NS17counting_iteratorItNS8_11use_defaultESA_SA_EEPlZNS1_13binary_searchIS3_S5_PtSB_SC_NS1_21upper_bound_search_opENS8_6detail16wrapped_functionINS0_4lessIvEEbEEEE10hipError_tPvRmT1_T2_T3_mmT4_T5_P12ihipStream_tbEUlRKtE_EESL_SP_SQ_mSR_SU_bEUlT_E_NS1_11comp_targetILNS1_3genE2ELNS1_11target_archE906ELNS1_3gpuE6ELNS1_3repE0EEENS1_30default_config_static_selectorELNS0_4arch9wavefront6targetE1EEEvSO_
                                        ; -- End function
	.section	.AMDGPU.csdata,"",@progbits
; Kernel info:
; codeLenInByte = 0
; NumSgprs: 4
; NumVgprs: 0
; NumAgprs: 0
; TotalNumVgprs: 0
; ScratchSize: 0
; MemoryBound: 0
; FloatMode: 240
; IeeeMode: 1
; LDSByteSize: 0 bytes/workgroup (compile time only)
; SGPRBlocks: 0
; VGPRBlocks: 0
; NumSGPRsForWavesPerEU: 4
; NumVGPRsForWavesPerEU: 1
; AccumOffset: 4
; Occupancy: 8
; WaveLimiterHint : 0
; COMPUTE_PGM_RSRC2:SCRATCH_EN: 0
; COMPUTE_PGM_RSRC2:USER_SGPR: 6
; COMPUTE_PGM_RSRC2:TRAP_HANDLER: 0
; COMPUTE_PGM_RSRC2:TGID_X_EN: 1
; COMPUTE_PGM_RSRC2:TGID_Y_EN: 0
; COMPUTE_PGM_RSRC2:TGID_Z_EN: 0
; COMPUTE_PGM_RSRC2:TIDIG_COMP_CNT: 0
; COMPUTE_PGM_RSRC3_GFX90A:ACCUM_OFFSET: 0
; COMPUTE_PGM_RSRC3_GFX90A:TG_SPLIT: 0
	.section	.text._ZN7rocprim17ROCPRIM_400000_NS6detail17trampoline_kernelINS0_14default_configENS1_27upper_bound_config_selectorItlEEZNS1_14transform_implILb0ES3_S5_N6thrust23THRUST_200600_302600_NS17counting_iteratorItNS8_11use_defaultESA_SA_EEPlZNS1_13binary_searchIS3_S5_PtSB_SC_NS1_21upper_bound_search_opENS8_6detail16wrapped_functionINS0_4lessIvEEbEEEE10hipError_tPvRmT1_T2_T3_mmT4_T5_P12ihipStream_tbEUlRKtE_EESL_SP_SQ_mSR_SU_bEUlT_E_NS1_11comp_targetILNS1_3genE10ELNS1_11target_archE1201ELNS1_3gpuE5ELNS1_3repE0EEENS1_30default_config_static_selectorELNS0_4arch9wavefront6targetE1EEEvSO_,"axG",@progbits,_ZN7rocprim17ROCPRIM_400000_NS6detail17trampoline_kernelINS0_14default_configENS1_27upper_bound_config_selectorItlEEZNS1_14transform_implILb0ES3_S5_N6thrust23THRUST_200600_302600_NS17counting_iteratorItNS8_11use_defaultESA_SA_EEPlZNS1_13binary_searchIS3_S5_PtSB_SC_NS1_21upper_bound_search_opENS8_6detail16wrapped_functionINS0_4lessIvEEbEEEE10hipError_tPvRmT1_T2_T3_mmT4_T5_P12ihipStream_tbEUlRKtE_EESL_SP_SQ_mSR_SU_bEUlT_E_NS1_11comp_targetILNS1_3genE10ELNS1_11target_archE1201ELNS1_3gpuE5ELNS1_3repE0EEENS1_30default_config_static_selectorELNS0_4arch9wavefront6targetE1EEEvSO_,comdat
	.protected	_ZN7rocprim17ROCPRIM_400000_NS6detail17trampoline_kernelINS0_14default_configENS1_27upper_bound_config_selectorItlEEZNS1_14transform_implILb0ES3_S5_N6thrust23THRUST_200600_302600_NS17counting_iteratorItNS8_11use_defaultESA_SA_EEPlZNS1_13binary_searchIS3_S5_PtSB_SC_NS1_21upper_bound_search_opENS8_6detail16wrapped_functionINS0_4lessIvEEbEEEE10hipError_tPvRmT1_T2_T3_mmT4_T5_P12ihipStream_tbEUlRKtE_EESL_SP_SQ_mSR_SU_bEUlT_E_NS1_11comp_targetILNS1_3genE10ELNS1_11target_archE1201ELNS1_3gpuE5ELNS1_3repE0EEENS1_30default_config_static_selectorELNS0_4arch9wavefront6targetE1EEEvSO_ ; -- Begin function _ZN7rocprim17ROCPRIM_400000_NS6detail17trampoline_kernelINS0_14default_configENS1_27upper_bound_config_selectorItlEEZNS1_14transform_implILb0ES3_S5_N6thrust23THRUST_200600_302600_NS17counting_iteratorItNS8_11use_defaultESA_SA_EEPlZNS1_13binary_searchIS3_S5_PtSB_SC_NS1_21upper_bound_search_opENS8_6detail16wrapped_functionINS0_4lessIvEEbEEEE10hipError_tPvRmT1_T2_T3_mmT4_T5_P12ihipStream_tbEUlRKtE_EESL_SP_SQ_mSR_SU_bEUlT_E_NS1_11comp_targetILNS1_3genE10ELNS1_11target_archE1201ELNS1_3gpuE5ELNS1_3repE0EEENS1_30default_config_static_selectorELNS0_4arch9wavefront6targetE1EEEvSO_
	.globl	_ZN7rocprim17ROCPRIM_400000_NS6detail17trampoline_kernelINS0_14default_configENS1_27upper_bound_config_selectorItlEEZNS1_14transform_implILb0ES3_S5_N6thrust23THRUST_200600_302600_NS17counting_iteratorItNS8_11use_defaultESA_SA_EEPlZNS1_13binary_searchIS3_S5_PtSB_SC_NS1_21upper_bound_search_opENS8_6detail16wrapped_functionINS0_4lessIvEEbEEEE10hipError_tPvRmT1_T2_T3_mmT4_T5_P12ihipStream_tbEUlRKtE_EESL_SP_SQ_mSR_SU_bEUlT_E_NS1_11comp_targetILNS1_3genE10ELNS1_11target_archE1201ELNS1_3gpuE5ELNS1_3repE0EEENS1_30default_config_static_selectorELNS0_4arch9wavefront6targetE1EEEvSO_
	.p2align	8
	.type	_ZN7rocprim17ROCPRIM_400000_NS6detail17trampoline_kernelINS0_14default_configENS1_27upper_bound_config_selectorItlEEZNS1_14transform_implILb0ES3_S5_N6thrust23THRUST_200600_302600_NS17counting_iteratorItNS8_11use_defaultESA_SA_EEPlZNS1_13binary_searchIS3_S5_PtSB_SC_NS1_21upper_bound_search_opENS8_6detail16wrapped_functionINS0_4lessIvEEbEEEE10hipError_tPvRmT1_T2_T3_mmT4_T5_P12ihipStream_tbEUlRKtE_EESL_SP_SQ_mSR_SU_bEUlT_E_NS1_11comp_targetILNS1_3genE10ELNS1_11target_archE1201ELNS1_3gpuE5ELNS1_3repE0EEENS1_30default_config_static_selectorELNS0_4arch9wavefront6targetE1EEEvSO_,@function
_ZN7rocprim17ROCPRIM_400000_NS6detail17trampoline_kernelINS0_14default_configENS1_27upper_bound_config_selectorItlEEZNS1_14transform_implILb0ES3_S5_N6thrust23THRUST_200600_302600_NS17counting_iteratorItNS8_11use_defaultESA_SA_EEPlZNS1_13binary_searchIS3_S5_PtSB_SC_NS1_21upper_bound_search_opENS8_6detail16wrapped_functionINS0_4lessIvEEbEEEE10hipError_tPvRmT1_T2_T3_mmT4_T5_P12ihipStream_tbEUlRKtE_EESL_SP_SQ_mSR_SU_bEUlT_E_NS1_11comp_targetILNS1_3genE10ELNS1_11target_archE1201ELNS1_3gpuE5ELNS1_3repE0EEENS1_30default_config_static_selectorELNS0_4arch9wavefront6targetE1EEEvSO_: ; @_ZN7rocprim17ROCPRIM_400000_NS6detail17trampoline_kernelINS0_14default_configENS1_27upper_bound_config_selectorItlEEZNS1_14transform_implILb0ES3_S5_N6thrust23THRUST_200600_302600_NS17counting_iteratorItNS8_11use_defaultESA_SA_EEPlZNS1_13binary_searchIS3_S5_PtSB_SC_NS1_21upper_bound_search_opENS8_6detail16wrapped_functionINS0_4lessIvEEbEEEE10hipError_tPvRmT1_T2_T3_mmT4_T5_P12ihipStream_tbEUlRKtE_EESL_SP_SQ_mSR_SU_bEUlT_E_NS1_11comp_targetILNS1_3genE10ELNS1_11target_archE1201ELNS1_3gpuE5ELNS1_3repE0EEENS1_30default_config_static_selectorELNS0_4arch9wavefront6targetE1EEEvSO_
; %bb.0:
	.section	.rodata,"a",@progbits
	.p2align	6, 0x0
	.amdhsa_kernel _ZN7rocprim17ROCPRIM_400000_NS6detail17trampoline_kernelINS0_14default_configENS1_27upper_bound_config_selectorItlEEZNS1_14transform_implILb0ES3_S5_N6thrust23THRUST_200600_302600_NS17counting_iteratorItNS8_11use_defaultESA_SA_EEPlZNS1_13binary_searchIS3_S5_PtSB_SC_NS1_21upper_bound_search_opENS8_6detail16wrapped_functionINS0_4lessIvEEbEEEE10hipError_tPvRmT1_T2_T3_mmT4_T5_P12ihipStream_tbEUlRKtE_EESL_SP_SQ_mSR_SU_bEUlT_E_NS1_11comp_targetILNS1_3genE10ELNS1_11target_archE1201ELNS1_3gpuE5ELNS1_3repE0EEENS1_30default_config_static_selectorELNS0_4arch9wavefront6targetE1EEEvSO_
		.amdhsa_group_segment_fixed_size 0
		.amdhsa_private_segment_fixed_size 0
		.amdhsa_kernarg_size 56
		.amdhsa_user_sgpr_count 6
		.amdhsa_user_sgpr_private_segment_buffer 1
		.amdhsa_user_sgpr_dispatch_ptr 0
		.amdhsa_user_sgpr_queue_ptr 0
		.amdhsa_user_sgpr_kernarg_segment_ptr 1
		.amdhsa_user_sgpr_dispatch_id 0
		.amdhsa_user_sgpr_flat_scratch_init 0
		.amdhsa_user_sgpr_kernarg_preload_length 0
		.amdhsa_user_sgpr_kernarg_preload_offset 0
		.amdhsa_user_sgpr_private_segment_size 0
		.amdhsa_uses_dynamic_stack 0
		.amdhsa_system_sgpr_private_segment_wavefront_offset 0
		.amdhsa_system_sgpr_workgroup_id_x 1
		.amdhsa_system_sgpr_workgroup_id_y 0
		.amdhsa_system_sgpr_workgroup_id_z 0
		.amdhsa_system_sgpr_workgroup_info 0
		.amdhsa_system_vgpr_workitem_id 0
		.amdhsa_next_free_vgpr 1
		.amdhsa_next_free_sgpr 0
		.amdhsa_accum_offset 4
		.amdhsa_reserve_vcc 0
		.amdhsa_reserve_flat_scratch 0
		.amdhsa_float_round_mode_32 0
		.amdhsa_float_round_mode_16_64 0
		.amdhsa_float_denorm_mode_32 3
		.amdhsa_float_denorm_mode_16_64 3
		.amdhsa_dx10_clamp 1
		.amdhsa_ieee_mode 1
		.amdhsa_fp16_overflow 0
		.amdhsa_tg_split 0
		.amdhsa_exception_fp_ieee_invalid_op 0
		.amdhsa_exception_fp_denorm_src 0
		.amdhsa_exception_fp_ieee_div_zero 0
		.amdhsa_exception_fp_ieee_overflow 0
		.amdhsa_exception_fp_ieee_underflow 0
		.amdhsa_exception_fp_ieee_inexact 0
		.amdhsa_exception_int_div_zero 0
	.end_amdhsa_kernel
	.section	.text._ZN7rocprim17ROCPRIM_400000_NS6detail17trampoline_kernelINS0_14default_configENS1_27upper_bound_config_selectorItlEEZNS1_14transform_implILb0ES3_S5_N6thrust23THRUST_200600_302600_NS17counting_iteratorItNS8_11use_defaultESA_SA_EEPlZNS1_13binary_searchIS3_S5_PtSB_SC_NS1_21upper_bound_search_opENS8_6detail16wrapped_functionINS0_4lessIvEEbEEEE10hipError_tPvRmT1_T2_T3_mmT4_T5_P12ihipStream_tbEUlRKtE_EESL_SP_SQ_mSR_SU_bEUlT_E_NS1_11comp_targetILNS1_3genE10ELNS1_11target_archE1201ELNS1_3gpuE5ELNS1_3repE0EEENS1_30default_config_static_selectorELNS0_4arch9wavefront6targetE1EEEvSO_,"axG",@progbits,_ZN7rocprim17ROCPRIM_400000_NS6detail17trampoline_kernelINS0_14default_configENS1_27upper_bound_config_selectorItlEEZNS1_14transform_implILb0ES3_S5_N6thrust23THRUST_200600_302600_NS17counting_iteratorItNS8_11use_defaultESA_SA_EEPlZNS1_13binary_searchIS3_S5_PtSB_SC_NS1_21upper_bound_search_opENS8_6detail16wrapped_functionINS0_4lessIvEEbEEEE10hipError_tPvRmT1_T2_T3_mmT4_T5_P12ihipStream_tbEUlRKtE_EESL_SP_SQ_mSR_SU_bEUlT_E_NS1_11comp_targetILNS1_3genE10ELNS1_11target_archE1201ELNS1_3gpuE5ELNS1_3repE0EEENS1_30default_config_static_selectorELNS0_4arch9wavefront6targetE1EEEvSO_,comdat
.Lfunc_end134:
	.size	_ZN7rocprim17ROCPRIM_400000_NS6detail17trampoline_kernelINS0_14default_configENS1_27upper_bound_config_selectorItlEEZNS1_14transform_implILb0ES3_S5_N6thrust23THRUST_200600_302600_NS17counting_iteratorItNS8_11use_defaultESA_SA_EEPlZNS1_13binary_searchIS3_S5_PtSB_SC_NS1_21upper_bound_search_opENS8_6detail16wrapped_functionINS0_4lessIvEEbEEEE10hipError_tPvRmT1_T2_T3_mmT4_T5_P12ihipStream_tbEUlRKtE_EESL_SP_SQ_mSR_SU_bEUlT_E_NS1_11comp_targetILNS1_3genE10ELNS1_11target_archE1201ELNS1_3gpuE5ELNS1_3repE0EEENS1_30default_config_static_selectorELNS0_4arch9wavefront6targetE1EEEvSO_, .Lfunc_end134-_ZN7rocprim17ROCPRIM_400000_NS6detail17trampoline_kernelINS0_14default_configENS1_27upper_bound_config_selectorItlEEZNS1_14transform_implILb0ES3_S5_N6thrust23THRUST_200600_302600_NS17counting_iteratorItNS8_11use_defaultESA_SA_EEPlZNS1_13binary_searchIS3_S5_PtSB_SC_NS1_21upper_bound_search_opENS8_6detail16wrapped_functionINS0_4lessIvEEbEEEE10hipError_tPvRmT1_T2_T3_mmT4_T5_P12ihipStream_tbEUlRKtE_EESL_SP_SQ_mSR_SU_bEUlT_E_NS1_11comp_targetILNS1_3genE10ELNS1_11target_archE1201ELNS1_3gpuE5ELNS1_3repE0EEENS1_30default_config_static_selectorELNS0_4arch9wavefront6targetE1EEEvSO_
                                        ; -- End function
	.section	.AMDGPU.csdata,"",@progbits
; Kernel info:
; codeLenInByte = 0
; NumSgprs: 4
; NumVgprs: 0
; NumAgprs: 0
; TotalNumVgprs: 0
; ScratchSize: 0
; MemoryBound: 0
; FloatMode: 240
; IeeeMode: 1
; LDSByteSize: 0 bytes/workgroup (compile time only)
; SGPRBlocks: 0
; VGPRBlocks: 0
; NumSGPRsForWavesPerEU: 4
; NumVGPRsForWavesPerEU: 1
; AccumOffset: 4
; Occupancy: 8
; WaveLimiterHint : 0
; COMPUTE_PGM_RSRC2:SCRATCH_EN: 0
; COMPUTE_PGM_RSRC2:USER_SGPR: 6
; COMPUTE_PGM_RSRC2:TRAP_HANDLER: 0
; COMPUTE_PGM_RSRC2:TGID_X_EN: 1
; COMPUTE_PGM_RSRC2:TGID_Y_EN: 0
; COMPUTE_PGM_RSRC2:TGID_Z_EN: 0
; COMPUTE_PGM_RSRC2:TIDIG_COMP_CNT: 0
; COMPUTE_PGM_RSRC3_GFX90A:ACCUM_OFFSET: 0
; COMPUTE_PGM_RSRC3_GFX90A:TG_SPLIT: 0
	.section	.text._ZN7rocprim17ROCPRIM_400000_NS6detail17trampoline_kernelINS0_14default_configENS1_27upper_bound_config_selectorItlEEZNS1_14transform_implILb0ES3_S5_N6thrust23THRUST_200600_302600_NS17counting_iteratorItNS8_11use_defaultESA_SA_EEPlZNS1_13binary_searchIS3_S5_PtSB_SC_NS1_21upper_bound_search_opENS8_6detail16wrapped_functionINS0_4lessIvEEbEEEE10hipError_tPvRmT1_T2_T3_mmT4_T5_P12ihipStream_tbEUlRKtE_EESL_SP_SQ_mSR_SU_bEUlT_E_NS1_11comp_targetILNS1_3genE10ELNS1_11target_archE1200ELNS1_3gpuE4ELNS1_3repE0EEENS1_30default_config_static_selectorELNS0_4arch9wavefront6targetE1EEEvSO_,"axG",@progbits,_ZN7rocprim17ROCPRIM_400000_NS6detail17trampoline_kernelINS0_14default_configENS1_27upper_bound_config_selectorItlEEZNS1_14transform_implILb0ES3_S5_N6thrust23THRUST_200600_302600_NS17counting_iteratorItNS8_11use_defaultESA_SA_EEPlZNS1_13binary_searchIS3_S5_PtSB_SC_NS1_21upper_bound_search_opENS8_6detail16wrapped_functionINS0_4lessIvEEbEEEE10hipError_tPvRmT1_T2_T3_mmT4_T5_P12ihipStream_tbEUlRKtE_EESL_SP_SQ_mSR_SU_bEUlT_E_NS1_11comp_targetILNS1_3genE10ELNS1_11target_archE1200ELNS1_3gpuE4ELNS1_3repE0EEENS1_30default_config_static_selectorELNS0_4arch9wavefront6targetE1EEEvSO_,comdat
	.protected	_ZN7rocprim17ROCPRIM_400000_NS6detail17trampoline_kernelINS0_14default_configENS1_27upper_bound_config_selectorItlEEZNS1_14transform_implILb0ES3_S5_N6thrust23THRUST_200600_302600_NS17counting_iteratorItNS8_11use_defaultESA_SA_EEPlZNS1_13binary_searchIS3_S5_PtSB_SC_NS1_21upper_bound_search_opENS8_6detail16wrapped_functionINS0_4lessIvEEbEEEE10hipError_tPvRmT1_T2_T3_mmT4_T5_P12ihipStream_tbEUlRKtE_EESL_SP_SQ_mSR_SU_bEUlT_E_NS1_11comp_targetILNS1_3genE10ELNS1_11target_archE1200ELNS1_3gpuE4ELNS1_3repE0EEENS1_30default_config_static_selectorELNS0_4arch9wavefront6targetE1EEEvSO_ ; -- Begin function _ZN7rocprim17ROCPRIM_400000_NS6detail17trampoline_kernelINS0_14default_configENS1_27upper_bound_config_selectorItlEEZNS1_14transform_implILb0ES3_S5_N6thrust23THRUST_200600_302600_NS17counting_iteratorItNS8_11use_defaultESA_SA_EEPlZNS1_13binary_searchIS3_S5_PtSB_SC_NS1_21upper_bound_search_opENS8_6detail16wrapped_functionINS0_4lessIvEEbEEEE10hipError_tPvRmT1_T2_T3_mmT4_T5_P12ihipStream_tbEUlRKtE_EESL_SP_SQ_mSR_SU_bEUlT_E_NS1_11comp_targetILNS1_3genE10ELNS1_11target_archE1200ELNS1_3gpuE4ELNS1_3repE0EEENS1_30default_config_static_selectorELNS0_4arch9wavefront6targetE1EEEvSO_
	.globl	_ZN7rocprim17ROCPRIM_400000_NS6detail17trampoline_kernelINS0_14default_configENS1_27upper_bound_config_selectorItlEEZNS1_14transform_implILb0ES3_S5_N6thrust23THRUST_200600_302600_NS17counting_iteratorItNS8_11use_defaultESA_SA_EEPlZNS1_13binary_searchIS3_S5_PtSB_SC_NS1_21upper_bound_search_opENS8_6detail16wrapped_functionINS0_4lessIvEEbEEEE10hipError_tPvRmT1_T2_T3_mmT4_T5_P12ihipStream_tbEUlRKtE_EESL_SP_SQ_mSR_SU_bEUlT_E_NS1_11comp_targetILNS1_3genE10ELNS1_11target_archE1200ELNS1_3gpuE4ELNS1_3repE0EEENS1_30default_config_static_selectorELNS0_4arch9wavefront6targetE1EEEvSO_
	.p2align	8
	.type	_ZN7rocprim17ROCPRIM_400000_NS6detail17trampoline_kernelINS0_14default_configENS1_27upper_bound_config_selectorItlEEZNS1_14transform_implILb0ES3_S5_N6thrust23THRUST_200600_302600_NS17counting_iteratorItNS8_11use_defaultESA_SA_EEPlZNS1_13binary_searchIS3_S5_PtSB_SC_NS1_21upper_bound_search_opENS8_6detail16wrapped_functionINS0_4lessIvEEbEEEE10hipError_tPvRmT1_T2_T3_mmT4_T5_P12ihipStream_tbEUlRKtE_EESL_SP_SQ_mSR_SU_bEUlT_E_NS1_11comp_targetILNS1_3genE10ELNS1_11target_archE1200ELNS1_3gpuE4ELNS1_3repE0EEENS1_30default_config_static_selectorELNS0_4arch9wavefront6targetE1EEEvSO_,@function
_ZN7rocprim17ROCPRIM_400000_NS6detail17trampoline_kernelINS0_14default_configENS1_27upper_bound_config_selectorItlEEZNS1_14transform_implILb0ES3_S5_N6thrust23THRUST_200600_302600_NS17counting_iteratorItNS8_11use_defaultESA_SA_EEPlZNS1_13binary_searchIS3_S5_PtSB_SC_NS1_21upper_bound_search_opENS8_6detail16wrapped_functionINS0_4lessIvEEbEEEE10hipError_tPvRmT1_T2_T3_mmT4_T5_P12ihipStream_tbEUlRKtE_EESL_SP_SQ_mSR_SU_bEUlT_E_NS1_11comp_targetILNS1_3genE10ELNS1_11target_archE1200ELNS1_3gpuE4ELNS1_3repE0EEENS1_30default_config_static_selectorELNS0_4arch9wavefront6targetE1EEEvSO_: ; @_ZN7rocprim17ROCPRIM_400000_NS6detail17trampoline_kernelINS0_14default_configENS1_27upper_bound_config_selectorItlEEZNS1_14transform_implILb0ES3_S5_N6thrust23THRUST_200600_302600_NS17counting_iteratorItNS8_11use_defaultESA_SA_EEPlZNS1_13binary_searchIS3_S5_PtSB_SC_NS1_21upper_bound_search_opENS8_6detail16wrapped_functionINS0_4lessIvEEbEEEE10hipError_tPvRmT1_T2_T3_mmT4_T5_P12ihipStream_tbEUlRKtE_EESL_SP_SQ_mSR_SU_bEUlT_E_NS1_11comp_targetILNS1_3genE10ELNS1_11target_archE1200ELNS1_3gpuE4ELNS1_3repE0EEENS1_30default_config_static_selectorELNS0_4arch9wavefront6targetE1EEEvSO_
; %bb.0:
	.section	.rodata,"a",@progbits
	.p2align	6, 0x0
	.amdhsa_kernel _ZN7rocprim17ROCPRIM_400000_NS6detail17trampoline_kernelINS0_14default_configENS1_27upper_bound_config_selectorItlEEZNS1_14transform_implILb0ES3_S5_N6thrust23THRUST_200600_302600_NS17counting_iteratorItNS8_11use_defaultESA_SA_EEPlZNS1_13binary_searchIS3_S5_PtSB_SC_NS1_21upper_bound_search_opENS8_6detail16wrapped_functionINS0_4lessIvEEbEEEE10hipError_tPvRmT1_T2_T3_mmT4_T5_P12ihipStream_tbEUlRKtE_EESL_SP_SQ_mSR_SU_bEUlT_E_NS1_11comp_targetILNS1_3genE10ELNS1_11target_archE1200ELNS1_3gpuE4ELNS1_3repE0EEENS1_30default_config_static_selectorELNS0_4arch9wavefront6targetE1EEEvSO_
		.amdhsa_group_segment_fixed_size 0
		.amdhsa_private_segment_fixed_size 0
		.amdhsa_kernarg_size 56
		.amdhsa_user_sgpr_count 6
		.amdhsa_user_sgpr_private_segment_buffer 1
		.amdhsa_user_sgpr_dispatch_ptr 0
		.amdhsa_user_sgpr_queue_ptr 0
		.amdhsa_user_sgpr_kernarg_segment_ptr 1
		.amdhsa_user_sgpr_dispatch_id 0
		.amdhsa_user_sgpr_flat_scratch_init 0
		.amdhsa_user_sgpr_kernarg_preload_length 0
		.amdhsa_user_sgpr_kernarg_preload_offset 0
		.amdhsa_user_sgpr_private_segment_size 0
		.amdhsa_uses_dynamic_stack 0
		.amdhsa_system_sgpr_private_segment_wavefront_offset 0
		.amdhsa_system_sgpr_workgroup_id_x 1
		.amdhsa_system_sgpr_workgroup_id_y 0
		.amdhsa_system_sgpr_workgroup_id_z 0
		.amdhsa_system_sgpr_workgroup_info 0
		.amdhsa_system_vgpr_workitem_id 0
		.amdhsa_next_free_vgpr 1
		.amdhsa_next_free_sgpr 0
		.amdhsa_accum_offset 4
		.amdhsa_reserve_vcc 0
		.amdhsa_reserve_flat_scratch 0
		.amdhsa_float_round_mode_32 0
		.amdhsa_float_round_mode_16_64 0
		.amdhsa_float_denorm_mode_32 3
		.amdhsa_float_denorm_mode_16_64 3
		.amdhsa_dx10_clamp 1
		.amdhsa_ieee_mode 1
		.amdhsa_fp16_overflow 0
		.amdhsa_tg_split 0
		.amdhsa_exception_fp_ieee_invalid_op 0
		.amdhsa_exception_fp_denorm_src 0
		.amdhsa_exception_fp_ieee_div_zero 0
		.amdhsa_exception_fp_ieee_overflow 0
		.amdhsa_exception_fp_ieee_underflow 0
		.amdhsa_exception_fp_ieee_inexact 0
		.amdhsa_exception_int_div_zero 0
	.end_amdhsa_kernel
	.section	.text._ZN7rocprim17ROCPRIM_400000_NS6detail17trampoline_kernelINS0_14default_configENS1_27upper_bound_config_selectorItlEEZNS1_14transform_implILb0ES3_S5_N6thrust23THRUST_200600_302600_NS17counting_iteratorItNS8_11use_defaultESA_SA_EEPlZNS1_13binary_searchIS3_S5_PtSB_SC_NS1_21upper_bound_search_opENS8_6detail16wrapped_functionINS0_4lessIvEEbEEEE10hipError_tPvRmT1_T2_T3_mmT4_T5_P12ihipStream_tbEUlRKtE_EESL_SP_SQ_mSR_SU_bEUlT_E_NS1_11comp_targetILNS1_3genE10ELNS1_11target_archE1200ELNS1_3gpuE4ELNS1_3repE0EEENS1_30default_config_static_selectorELNS0_4arch9wavefront6targetE1EEEvSO_,"axG",@progbits,_ZN7rocprim17ROCPRIM_400000_NS6detail17trampoline_kernelINS0_14default_configENS1_27upper_bound_config_selectorItlEEZNS1_14transform_implILb0ES3_S5_N6thrust23THRUST_200600_302600_NS17counting_iteratorItNS8_11use_defaultESA_SA_EEPlZNS1_13binary_searchIS3_S5_PtSB_SC_NS1_21upper_bound_search_opENS8_6detail16wrapped_functionINS0_4lessIvEEbEEEE10hipError_tPvRmT1_T2_T3_mmT4_T5_P12ihipStream_tbEUlRKtE_EESL_SP_SQ_mSR_SU_bEUlT_E_NS1_11comp_targetILNS1_3genE10ELNS1_11target_archE1200ELNS1_3gpuE4ELNS1_3repE0EEENS1_30default_config_static_selectorELNS0_4arch9wavefront6targetE1EEEvSO_,comdat
.Lfunc_end135:
	.size	_ZN7rocprim17ROCPRIM_400000_NS6detail17trampoline_kernelINS0_14default_configENS1_27upper_bound_config_selectorItlEEZNS1_14transform_implILb0ES3_S5_N6thrust23THRUST_200600_302600_NS17counting_iteratorItNS8_11use_defaultESA_SA_EEPlZNS1_13binary_searchIS3_S5_PtSB_SC_NS1_21upper_bound_search_opENS8_6detail16wrapped_functionINS0_4lessIvEEbEEEE10hipError_tPvRmT1_T2_T3_mmT4_T5_P12ihipStream_tbEUlRKtE_EESL_SP_SQ_mSR_SU_bEUlT_E_NS1_11comp_targetILNS1_3genE10ELNS1_11target_archE1200ELNS1_3gpuE4ELNS1_3repE0EEENS1_30default_config_static_selectorELNS0_4arch9wavefront6targetE1EEEvSO_, .Lfunc_end135-_ZN7rocprim17ROCPRIM_400000_NS6detail17trampoline_kernelINS0_14default_configENS1_27upper_bound_config_selectorItlEEZNS1_14transform_implILb0ES3_S5_N6thrust23THRUST_200600_302600_NS17counting_iteratorItNS8_11use_defaultESA_SA_EEPlZNS1_13binary_searchIS3_S5_PtSB_SC_NS1_21upper_bound_search_opENS8_6detail16wrapped_functionINS0_4lessIvEEbEEEE10hipError_tPvRmT1_T2_T3_mmT4_T5_P12ihipStream_tbEUlRKtE_EESL_SP_SQ_mSR_SU_bEUlT_E_NS1_11comp_targetILNS1_3genE10ELNS1_11target_archE1200ELNS1_3gpuE4ELNS1_3repE0EEENS1_30default_config_static_selectorELNS0_4arch9wavefront6targetE1EEEvSO_
                                        ; -- End function
	.section	.AMDGPU.csdata,"",@progbits
; Kernel info:
; codeLenInByte = 0
; NumSgprs: 4
; NumVgprs: 0
; NumAgprs: 0
; TotalNumVgprs: 0
; ScratchSize: 0
; MemoryBound: 0
; FloatMode: 240
; IeeeMode: 1
; LDSByteSize: 0 bytes/workgroup (compile time only)
; SGPRBlocks: 0
; VGPRBlocks: 0
; NumSGPRsForWavesPerEU: 4
; NumVGPRsForWavesPerEU: 1
; AccumOffset: 4
; Occupancy: 8
; WaveLimiterHint : 0
; COMPUTE_PGM_RSRC2:SCRATCH_EN: 0
; COMPUTE_PGM_RSRC2:USER_SGPR: 6
; COMPUTE_PGM_RSRC2:TRAP_HANDLER: 0
; COMPUTE_PGM_RSRC2:TGID_X_EN: 1
; COMPUTE_PGM_RSRC2:TGID_Y_EN: 0
; COMPUTE_PGM_RSRC2:TGID_Z_EN: 0
; COMPUTE_PGM_RSRC2:TIDIG_COMP_CNT: 0
; COMPUTE_PGM_RSRC3_GFX90A:ACCUM_OFFSET: 0
; COMPUTE_PGM_RSRC3_GFX90A:TG_SPLIT: 0
	.section	.text._ZN7rocprim17ROCPRIM_400000_NS6detail17trampoline_kernelINS0_14default_configENS1_27upper_bound_config_selectorItlEEZNS1_14transform_implILb0ES3_S5_N6thrust23THRUST_200600_302600_NS17counting_iteratorItNS8_11use_defaultESA_SA_EEPlZNS1_13binary_searchIS3_S5_PtSB_SC_NS1_21upper_bound_search_opENS8_6detail16wrapped_functionINS0_4lessIvEEbEEEE10hipError_tPvRmT1_T2_T3_mmT4_T5_P12ihipStream_tbEUlRKtE_EESL_SP_SQ_mSR_SU_bEUlT_E_NS1_11comp_targetILNS1_3genE9ELNS1_11target_archE1100ELNS1_3gpuE3ELNS1_3repE0EEENS1_30default_config_static_selectorELNS0_4arch9wavefront6targetE1EEEvSO_,"axG",@progbits,_ZN7rocprim17ROCPRIM_400000_NS6detail17trampoline_kernelINS0_14default_configENS1_27upper_bound_config_selectorItlEEZNS1_14transform_implILb0ES3_S5_N6thrust23THRUST_200600_302600_NS17counting_iteratorItNS8_11use_defaultESA_SA_EEPlZNS1_13binary_searchIS3_S5_PtSB_SC_NS1_21upper_bound_search_opENS8_6detail16wrapped_functionINS0_4lessIvEEbEEEE10hipError_tPvRmT1_T2_T3_mmT4_T5_P12ihipStream_tbEUlRKtE_EESL_SP_SQ_mSR_SU_bEUlT_E_NS1_11comp_targetILNS1_3genE9ELNS1_11target_archE1100ELNS1_3gpuE3ELNS1_3repE0EEENS1_30default_config_static_selectorELNS0_4arch9wavefront6targetE1EEEvSO_,comdat
	.protected	_ZN7rocprim17ROCPRIM_400000_NS6detail17trampoline_kernelINS0_14default_configENS1_27upper_bound_config_selectorItlEEZNS1_14transform_implILb0ES3_S5_N6thrust23THRUST_200600_302600_NS17counting_iteratorItNS8_11use_defaultESA_SA_EEPlZNS1_13binary_searchIS3_S5_PtSB_SC_NS1_21upper_bound_search_opENS8_6detail16wrapped_functionINS0_4lessIvEEbEEEE10hipError_tPvRmT1_T2_T3_mmT4_T5_P12ihipStream_tbEUlRKtE_EESL_SP_SQ_mSR_SU_bEUlT_E_NS1_11comp_targetILNS1_3genE9ELNS1_11target_archE1100ELNS1_3gpuE3ELNS1_3repE0EEENS1_30default_config_static_selectorELNS0_4arch9wavefront6targetE1EEEvSO_ ; -- Begin function _ZN7rocprim17ROCPRIM_400000_NS6detail17trampoline_kernelINS0_14default_configENS1_27upper_bound_config_selectorItlEEZNS1_14transform_implILb0ES3_S5_N6thrust23THRUST_200600_302600_NS17counting_iteratorItNS8_11use_defaultESA_SA_EEPlZNS1_13binary_searchIS3_S5_PtSB_SC_NS1_21upper_bound_search_opENS8_6detail16wrapped_functionINS0_4lessIvEEbEEEE10hipError_tPvRmT1_T2_T3_mmT4_T5_P12ihipStream_tbEUlRKtE_EESL_SP_SQ_mSR_SU_bEUlT_E_NS1_11comp_targetILNS1_3genE9ELNS1_11target_archE1100ELNS1_3gpuE3ELNS1_3repE0EEENS1_30default_config_static_selectorELNS0_4arch9wavefront6targetE1EEEvSO_
	.globl	_ZN7rocprim17ROCPRIM_400000_NS6detail17trampoline_kernelINS0_14default_configENS1_27upper_bound_config_selectorItlEEZNS1_14transform_implILb0ES3_S5_N6thrust23THRUST_200600_302600_NS17counting_iteratorItNS8_11use_defaultESA_SA_EEPlZNS1_13binary_searchIS3_S5_PtSB_SC_NS1_21upper_bound_search_opENS8_6detail16wrapped_functionINS0_4lessIvEEbEEEE10hipError_tPvRmT1_T2_T3_mmT4_T5_P12ihipStream_tbEUlRKtE_EESL_SP_SQ_mSR_SU_bEUlT_E_NS1_11comp_targetILNS1_3genE9ELNS1_11target_archE1100ELNS1_3gpuE3ELNS1_3repE0EEENS1_30default_config_static_selectorELNS0_4arch9wavefront6targetE1EEEvSO_
	.p2align	8
	.type	_ZN7rocprim17ROCPRIM_400000_NS6detail17trampoline_kernelINS0_14default_configENS1_27upper_bound_config_selectorItlEEZNS1_14transform_implILb0ES3_S5_N6thrust23THRUST_200600_302600_NS17counting_iteratorItNS8_11use_defaultESA_SA_EEPlZNS1_13binary_searchIS3_S5_PtSB_SC_NS1_21upper_bound_search_opENS8_6detail16wrapped_functionINS0_4lessIvEEbEEEE10hipError_tPvRmT1_T2_T3_mmT4_T5_P12ihipStream_tbEUlRKtE_EESL_SP_SQ_mSR_SU_bEUlT_E_NS1_11comp_targetILNS1_3genE9ELNS1_11target_archE1100ELNS1_3gpuE3ELNS1_3repE0EEENS1_30default_config_static_selectorELNS0_4arch9wavefront6targetE1EEEvSO_,@function
_ZN7rocprim17ROCPRIM_400000_NS6detail17trampoline_kernelINS0_14default_configENS1_27upper_bound_config_selectorItlEEZNS1_14transform_implILb0ES3_S5_N6thrust23THRUST_200600_302600_NS17counting_iteratorItNS8_11use_defaultESA_SA_EEPlZNS1_13binary_searchIS3_S5_PtSB_SC_NS1_21upper_bound_search_opENS8_6detail16wrapped_functionINS0_4lessIvEEbEEEE10hipError_tPvRmT1_T2_T3_mmT4_T5_P12ihipStream_tbEUlRKtE_EESL_SP_SQ_mSR_SU_bEUlT_E_NS1_11comp_targetILNS1_3genE9ELNS1_11target_archE1100ELNS1_3gpuE3ELNS1_3repE0EEENS1_30default_config_static_selectorELNS0_4arch9wavefront6targetE1EEEvSO_: ; @_ZN7rocprim17ROCPRIM_400000_NS6detail17trampoline_kernelINS0_14default_configENS1_27upper_bound_config_selectorItlEEZNS1_14transform_implILb0ES3_S5_N6thrust23THRUST_200600_302600_NS17counting_iteratorItNS8_11use_defaultESA_SA_EEPlZNS1_13binary_searchIS3_S5_PtSB_SC_NS1_21upper_bound_search_opENS8_6detail16wrapped_functionINS0_4lessIvEEbEEEE10hipError_tPvRmT1_T2_T3_mmT4_T5_P12ihipStream_tbEUlRKtE_EESL_SP_SQ_mSR_SU_bEUlT_E_NS1_11comp_targetILNS1_3genE9ELNS1_11target_archE1100ELNS1_3gpuE3ELNS1_3repE0EEENS1_30default_config_static_selectorELNS0_4arch9wavefront6targetE1EEEvSO_
; %bb.0:
	.section	.rodata,"a",@progbits
	.p2align	6, 0x0
	.amdhsa_kernel _ZN7rocprim17ROCPRIM_400000_NS6detail17trampoline_kernelINS0_14default_configENS1_27upper_bound_config_selectorItlEEZNS1_14transform_implILb0ES3_S5_N6thrust23THRUST_200600_302600_NS17counting_iteratorItNS8_11use_defaultESA_SA_EEPlZNS1_13binary_searchIS3_S5_PtSB_SC_NS1_21upper_bound_search_opENS8_6detail16wrapped_functionINS0_4lessIvEEbEEEE10hipError_tPvRmT1_T2_T3_mmT4_T5_P12ihipStream_tbEUlRKtE_EESL_SP_SQ_mSR_SU_bEUlT_E_NS1_11comp_targetILNS1_3genE9ELNS1_11target_archE1100ELNS1_3gpuE3ELNS1_3repE0EEENS1_30default_config_static_selectorELNS0_4arch9wavefront6targetE1EEEvSO_
		.amdhsa_group_segment_fixed_size 0
		.amdhsa_private_segment_fixed_size 0
		.amdhsa_kernarg_size 56
		.amdhsa_user_sgpr_count 6
		.amdhsa_user_sgpr_private_segment_buffer 1
		.amdhsa_user_sgpr_dispatch_ptr 0
		.amdhsa_user_sgpr_queue_ptr 0
		.amdhsa_user_sgpr_kernarg_segment_ptr 1
		.amdhsa_user_sgpr_dispatch_id 0
		.amdhsa_user_sgpr_flat_scratch_init 0
		.amdhsa_user_sgpr_kernarg_preload_length 0
		.amdhsa_user_sgpr_kernarg_preload_offset 0
		.amdhsa_user_sgpr_private_segment_size 0
		.amdhsa_uses_dynamic_stack 0
		.amdhsa_system_sgpr_private_segment_wavefront_offset 0
		.amdhsa_system_sgpr_workgroup_id_x 1
		.amdhsa_system_sgpr_workgroup_id_y 0
		.amdhsa_system_sgpr_workgroup_id_z 0
		.amdhsa_system_sgpr_workgroup_info 0
		.amdhsa_system_vgpr_workitem_id 0
		.amdhsa_next_free_vgpr 1
		.amdhsa_next_free_sgpr 0
		.amdhsa_accum_offset 4
		.amdhsa_reserve_vcc 0
		.amdhsa_reserve_flat_scratch 0
		.amdhsa_float_round_mode_32 0
		.amdhsa_float_round_mode_16_64 0
		.amdhsa_float_denorm_mode_32 3
		.amdhsa_float_denorm_mode_16_64 3
		.amdhsa_dx10_clamp 1
		.amdhsa_ieee_mode 1
		.amdhsa_fp16_overflow 0
		.amdhsa_tg_split 0
		.amdhsa_exception_fp_ieee_invalid_op 0
		.amdhsa_exception_fp_denorm_src 0
		.amdhsa_exception_fp_ieee_div_zero 0
		.amdhsa_exception_fp_ieee_overflow 0
		.amdhsa_exception_fp_ieee_underflow 0
		.amdhsa_exception_fp_ieee_inexact 0
		.amdhsa_exception_int_div_zero 0
	.end_amdhsa_kernel
	.section	.text._ZN7rocprim17ROCPRIM_400000_NS6detail17trampoline_kernelINS0_14default_configENS1_27upper_bound_config_selectorItlEEZNS1_14transform_implILb0ES3_S5_N6thrust23THRUST_200600_302600_NS17counting_iteratorItNS8_11use_defaultESA_SA_EEPlZNS1_13binary_searchIS3_S5_PtSB_SC_NS1_21upper_bound_search_opENS8_6detail16wrapped_functionINS0_4lessIvEEbEEEE10hipError_tPvRmT1_T2_T3_mmT4_T5_P12ihipStream_tbEUlRKtE_EESL_SP_SQ_mSR_SU_bEUlT_E_NS1_11comp_targetILNS1_3genE9ELNS1_11target_archE1100ELNS1_3gpuE3ELNS1_3repE0EEENS1_30default_config_static_selectorELNS0_4arch9wavefront6targetE1EEEvSO_,"axG",@progbits,_ZN7rocprim17ROCPRIM_400000_NS6detail17trampoline_kernelINS0_14default_configENS1_27upper_bound_config_selectorItlEEZNS1_14transform_implILb0ES3_S5_N6thrust23THRUST_200600_302600_NS17counting_iteratorItNS8_11use_defaultESA_SA_EEPlZNS1_13binary_searchIS3_S5_PtSB_SC_NS1_21upper_bound_search_opENS8_6detail16wrapped_functionINS0_4lessIvEEbEEEE10hipError_tPvRmT1_T2_T3_mmT4_T5_P12ihipStream_tbEUlRKtE_EESL_SP_SQ_mSR_SU_bEUlT_E_NS1_11comp_targetILNS1_3genE9ELNS1_11target_archE1100ELNS1_3gpuE3ELNS1_3repE0EEENS1_30default_config_static_selectorELNS0_4arch9wavefront6targetE1EEEvSO_,comdat
.Lfunc_end136:
	.size	_ZN7rocprim17ROCPRIM_400000_NS6detail17trampoline_kernelINS0_14default_configENS1_27upper_bound_config_selectorItlEEZNS1_14transform_implILb0ES3_S5_N6thrust23THRUST_200600_302600_NS17counting_iteratorItNS8_11use_defaultESA_SA_EEPlZNS1_13binary_searchIS3_S5_PtSB_SC_NS1_21upper_bound_search_opENS8_6detail16wrapped_functionINS0_4lessIvEEbEEEE10hipError_tPvRmT1_T2_T3_mmT4_T5_P12ihipStream_tbEUlRKtE_EESL_SP_SQ_mSR_SU_bEUlT_E_NS1_11comp_targetILNS1_3genE9ELNS1_11target_archE1100ELNS1_3gpuE3ELNS1_3repE0EEENS1_30default_config_static_selectorELNS0_4arch9wavefront6targetE1EEEvSO_, .Lfunc_end136-_ZN7rocprim17ROCPRIM_400000_NS6detail17trampoline_kernelINS0_14default_configENS1_27upper_bound_config_selectorItlEEZNS1_14transform_implILb0ES3_S5_N6thrust23THRUST_200600_302600_NS17counting_iteratorItNS8_11use_defaultESA_SA_EEPlZNS1_13binary_searchIS3_S5_PtSB_SC_NS1_21upper_bound_search_opENS8_6detail16wrapped_functionINS0_4lessIvEEbEEEE10hipError_tPvRmT1_T2_T3_mmT4_T5_P12ihipStream_tbEUlRKtE_EESL_SP_SQ_mSR_SU_bEUlT_E_NS1_11comp_targetILNS1_3genE9ELNS1_11target_archE1100ELNS1_3gpuE3ELNS1_3repE0EEENS1_30default_config_static_selectorELNS0_4arch9wavefront6targetE1EEEvSO_
                                        ; -- End function
	.section	.AMDGPU.csdata,"",@progbits
; Kernel info:
; codeLenInByte = 0
; NumSgprs: 4
; NumVgprs: 0
; NumAgprs: 0
; TotalNumVgprs: 0
; ScratchSize: 0
; MemoryBound: 0
; FloatMode: 240
; IeeeMode: 1
; LDSByteSize: 0 bytes/workgroup (compile time only)
; SGPRBlocks: 0
; VGPRBlocks: 0
; NumSGPRsForWavesPerEU: 4
; NumVGPRsForWavesPerEU: 1
; AccumOffset: 4
; Occupancy: 8
; WaveLimiterHint : 0
; COMPUTE_PGM_RSRC2:SCRATCH_EN: 0
; COMPUTE_PGM_RSRC2:USER_SGPR: 6
; COMPUTE_PGM_RSRC2:TRAP_HANDLER: 0
; COMPUTE_PGM_RSRC2:TGID_X_EN: 1
; COMPUTE_PGM_RSRC2:TGID_Y_EN: 0
; COMPUTE_PGM_RSRC2:TGID_Z_EN: 0
; COMPUTE_PGM_RSRC2:TIDIG_COMP_CNT: 0
; COMPUTE_PGM_RSRC3_GFX90A:ACCUM_OFFSET: 0
; COMPUTE_PGM_RSRC3_GFX90A:TG_SPLIT: 0
	.section	.text._ZN7rocprim17ROCPRIM_400000_NS6detail17trampoline_kernelINS0_14default_configENS1_27upper_bound_config_selectorItlEEZNS1_14transform_implILb0ES3_S5_N6thrust23THRUST_200600_302600_NS17counting_iteratorItNS8_11use_defaultESA_SA_EEPlZNS1_13binary_searchIS3_S5_PtSB_SC_NS1_21upper_bound_search_opENS8_6detail16wrapped_functionINS0_4lessIvEEbEEEE10hipError_tPvRmT1_T2_T3_mmT4_T5_P12ihipStream_tbEUlRKtE_EESL_SP_SQ_mSR_SU_bEUlT_E_NS1_11comp_targetILNS1_3genE8ELNS1_11target_archE1030ELNS1_3gpuE2ELNS1_3repE0EEENS1_30default_config_static_selectorELNS0_4arch9wavefront6targetE1EEEvSO_,"axG",@progbits,_ZN7rocprim17ROCPRIM_400000_NS6detail17trampoline_kernelINS0_14default_configENS1_27upper_bound_config_selectorItlEEZNS1_14transform_implILb0ES3_S5_N6thrust23THRUST_200600_302600_NS17counting_iteratorItNS8_11use_defaultESA_SA_EEPlZNS1_13binary_searchIS3_S5_PtSB_SC_NS1_21upper_bound_search_opENS8_6detail16wrapped_functionINS0_4lessIvEEbEEEE10hipError_tPvRmT1_T2_T3_mmT4_T5_P12ihipStream_tbEUlRKtE_EESL_SP_SQ_mSR_SU_bEUlT_E_NS1_11comp_targetILNS1_3genE8ELNS1_11target_archE1030ELNS1_3gpuE2ELNS1_3repE0EEENS1_30default_config_static_selectorELNS0_4arch9wavefront6targetE1EEEvSO_,comdat
	.protected	_ZN7rocprim17ROCPRIM_400000_NS6detail17trampoline_kernelINS0_14default_configENS1_27upper_bound_config_selectorItlEEZNS1_14transform_implILb0ES3_S5_N6thrust23THRUST_200600_302600_NS17counting_iteratorItNS8_11use_defaultESA_SA_EEPlZNS1_13binary_searchIS3_S5_PtSB_SC_NS1_21upper_bound_search_opENS8_6detail16wrapped_functionINS0_4lessIvEEbEEEE10hipError_tPvRmT1_T2_T3_mmT4_T5_P12ihipStream_tbEUlRKtE_EESL_SP_SQ_mSR_SU_bEUlT_E_NS1_11comp_targetILNS1_3genE8ELNS1_11target_archE1030ELNS1_3gpuE2ELNS1_3repE0EEENS1_30default_config_static_selectorELNS0_4arch9wavefront6targetE1EEEvSO_ ; -- Begin function _ZN7rocprim17ROCPRIM_400000_NS6detail17trampoline_kernelINS0_14default_configENS1_27upper_bound_config_selectorItlEEZNS1_14transform_implILb0ES3_S5_N6thrust23THRUST_200600_302600_NS17counting_iteratorItNS8_11use_defaultESA_SA_EEPlZNS1_13binary_searchIS3_S5_PtSB_SC_NS1_21upper_bound_search_opENS8_6detail16wrapped_functionINS0_4lessIvEEbEEEE10hipError_tPvRmT1_T2_T3_mmT4_T5_P12ihipStream_tbEUlRKtE_EESL_SP_SQ_mSR_SU_bEUlT_E_NS1_11comp_targetILNS1_3genE8ELNS1_11target_archE1030ELNS1_3gpuE2ELNS1_3repE0EEENS1_30default_config_static_selectorELNS0_4arch9wavefront6targetE1EEEvSO_
	.globl	_ZN7rocprim17ROCPRIM_400000_NS6detail17trampoline_kernelINS0_14default_configENS1_27upper_bound_config_selectorItlEEZNS1_14transform_implILb0ES3_S5_N6thrust23THRUST_200600_302600_NS17counting_iteratorItNS8_11use_defaultESA_SA_EEPlZNS1_13binary_searchIS3_S5_PtSB_SC_NS1_21upper_bound_search_opENS8_6detail16wrapped_functionINS0_4lessIvEEbEEEE10hipError_tPvRmT1_T2_T3_mmT4_T5_P12ihipStream_tbEUlRKtE_EESL_SP_SQ_mSR_SU_bEUlT_E_NS1_11comp_targetILNS1_3genE8ELNS1_11target_archE1030ELNS1_3gpuE2ELNS1_3repE0EEENS1_30default_config_static_selectorELNS0_4arch9wavefront6targetE1EEEvSO_
	.p2align	8
	.type	_ZN7rocprim17ROCPRIM_400000_NS6detail17trampoline_kernelINS0_14default_configENS1_27upper_bound_config_selectorItlEEZNS1_14transform_implILb0ES3_S5_N6thrust23THRUST_200600_302600_NS17counting_iteratorItNS8_11use_defaultESA_SA_EEPlZNS1_13binary_searchIS3_S5_PtSB_SC_NS1_21upper_bound_search_opENS8_6detail16wrapped_functionINS0_4lessIvEEbEEEE10hipError_tPvRmT1_T2_T3_mmT4_T5_P12ihipStream_tbEUlRKtE_EESL_SP_SQ_mSR_SU_bEUlT_E_NS1_11comp_targetILNS1_3genE8ELNS1_11target_archE1030ELNS1_3gpuE2ELNS1_3repE0EEENS1_30default_config_static_selectorELNS0_4arch9wavefront6targetE1EEEvSO_,@function
_ZN7rocprim17ROCPRIM_400000_NS6detail17trampoline_kernelINS0_14default_configENS1_27upper_bound_config_selectorItlEEZNS1_14transform_implILb0ES3_S5_N6thrust23THRUST_200600_302600_NS17counting_iteratorItNS8_11use_defaultESA_SA_EEPlZNS1_13binary_searchIS3_S5_PtSB_SC_NS1_21upper_bound_search_opENS8_6detail16wrapped_functionINS0_4lessIvEEbEEEE10hipError_tPvRmT1_T2_T3_mmT4_T5_P12ihipStream_tbEUlRKtE_EESL_SP_SQ_mSR_SU_bEUlT_E_NS1_11comp_targetILNS1_3genE8ELNS1_11target_archE1030ELNS1_3gpuE2ELNS1_3repE0EEENS1_30default_config_static_selectorELNS0_4arch9wavefront6targetE1EEEvSO_: ; @_ZN7rocprim17ROCPRIM_400000_NS6detail17trampoline_kernelINS0_14default_configENS1_27upper_bound_config_selectorItlEEZNS1_14transform_implILb0ES3_S5_N6thrust23THRUST_200600_302600_NS17counting_iteratorItNS8_11use_defaultESA_SA_EEPlZNS1_13binary_searchIS3_S5_PtSB_SC_NS1_21upper_bound_search_opENS8_6detail16wrapped_functionINS0_4lessIvEEbEEEE10hipError_tPvRmT1_T2_T3_mmT4_T5_P12ihipStream_tbEUlRKtE_EESL_SP_SQ_mSR_SU_bEUlT_E_NS1_11comp_targetILNS1_3genE8ELNS1_11target_archE1030ELNS1_3gpuE2ELNS1_3repE0EEENS1_30default_config_static_selectorELNS0_4arch9wavefront6targetE1EEEvSO_
; %bb.0:
	.section	.rodata,"a",@progbits
	.p2align	6, 0x0
	.amdhsa_kernel _ZN7rocprim17ROCPRIM_400000_NS6detail17trampoline_kernelINS0_14default_configENS1_27upper_bound_config_selectorItlEEZNS1_14transform_implILb0ES3_S5_N6thrust23THRUST_200600_302600_NS17counting_iteratorItNS8_11use_defaultESA_SA_EEPlZNS1_13binary_searchIS3_S5_PtSB_SC_NS1_21upper_bound_search_opENS8_6detail16wrapped_functionINS0_4lessIvEEbEEEE10hipError_tPvRmT1_T2_T3_mmT4_T5_P12ihipStream_tbEUlRKtE_EESL_SP_SQ_mSR_SU_bEUlT_E_NS1_11comp_targetILNS1_3genE8ELNS1_11target_archE1030ELNS1_3gpuE2ELNS1_3repE0EEENS1_30default_config_static_selectorELNS0_4arch9wavefront6targetE1EEEvSO_
		.amdhsa_group_segment_fixed_size 0
		.amdhsa_private_segment_fixed_size 0
		.amdhsa_kernarg_size 56
		.amdhsa_user_sgpr_count 6
		.amdhsa_user_sgpr_private_segment_buffer 1
		.amdhsa_user_sgpr_dispatch_ptr 0
		.amdhsa_user_sgpr_queue_ptr 0
		.amdhsa_user_sgpr_kernarg_segment_ptr 1
		.amdhsa_user_sgpr_dispatch_id 0
		.amdhsa_user_sgpr_flat_scratch_init 0
		.amdhsa_user_sgpr_kernarg_preload_length 0
		.amdhsa_user_sgpr_kernarg_preload_offset 0
		.amdhsa_user_sgpr_private_segment_size 0
		.amdhsa_uses_dynamic_stack 0
		.amdhsa_system_sgpr_private_segment_wavefront_offset 0
		.amdhsa_system_sgpr_workgroup_id_x 1
		.amdhsa_system_sgpr_workgroup_id_y 0
		.amdhsa_system_sgpr_workgroup_id_z 0
		.amdhsa_system_sgpr_workgroup_info 0
		.amdhsa_system_vgpr_workitem_id 0
		.amdhsa_next_free_vgpr 1
		.amdhsa_next_free_sgpr 0
		.amdhsa_accum_offset 4
		.amdhsa_reserve_vcc 0
		.amdhsa_reserve_flat_scratch 0
		.amdhsa_float_round_mode_32 0
		.amdhsa_float_round_mode_16_64 0
		.amdhsa_float_denorm_mode_32 3
		.amdhsa_float_denorm_mode_16_64 3
		.amdhsa_dx10_clamp 1
		.amdhsa_ieee_mode 1
		.amdhsa_fp16_overflow 0
		.amdhsa_tg_split 0
		.amdhsa_exception_fp_ieee_invalid_op 0
		.amdhsa_exception_fp_denorm_src 0
		.amdhsa_exception_fp_ieee_div_zero 0
		.amdhsa_exception_fp_ieee_overflow 0
		.amdhsa_exception_fp_ieee_underflow 0
		.amdhsa_exception_fp_ieee_inexact 0
		.amdhsa_exception_int_div_zero 0
	.end_amdhsa_kernel
	.section	.text._ZN7rocprim17ROCPRIM_400000_NS6detail17trampoline_kernelINS0_14default_configENS1_27upper_bound_config_selectorItlEEZNS1_14transform_implILb0ES3_S5_N6thrust23THRUST_200600_302600_NS17counting_iteratorItNS8_11use_defaultESA_SA_EEPlZNS1_13binary_searchIS3_S5_PtSB_SC_NS1_21upper_bound_search_opENS8_6detail16wrapped_functionINS0_4lessIvEEbEEEE10hipError_tPvRmT1_T2_T3_mmT4_T5_P12ihipStream_tbEUlRKtE_EESL_SP_SQ_mSR_SU_bEUlT_E_NS1_11comp_targetILNS1_3genE8ELNS1_11target_archE1030ELNS1_3gpuE2ELNS1_3repE0EEENS1_30default_config_static_selectorELNS0_4arch9wavefront6targetE1EEEvSO_,"axG",@progbits,_ZN7rocprim17ROCPRIM_400000_NS6detail17trampoline_kernelINS0_14default_configENS1_27upper_bound_config_selectorItlEEZNS1_14transform_implILb0ES3_S5_N6thrust23THRUST_200600_302600_NS17counting_iteratorItNS8_11use_defaultESA_SA_EEPlZNS1_13binary_searchIS3_S5_PtSB_SC_NS1_21upper_bound_search_opENS8_6detail16wrapped_functionINS0_4lessIvEEbEEEE10hipError_tPvRmT1_T2_T3_mmT4_T5_P12ihipStream_tbEUlRKtE_EESL_SP_SQ_mSR_SU_bEUlT_E_NS1_11comp_targetILNS1_3genE8ELNS1_11target_archE1030ELNS1_3gpuE2ELNS1_3repE0EEENS1_30default_config_static_selectorELNS0_4arch9wavefront6targetE1EEEvSO_,comdat
.Lfunc_end137:
	.size	_ZN7rocprim17ROCPRIM_400000_NS6detail17trampoline_kernelINS0_14default_configENS1_27upper_bound_config_selectorItlEEZNS1_14transform_implILb0ES3_S5_N6thrust23THRUST_200600_302600_NS17counting_iteratorItNS8_11use_defaultESA_SA_EEPlZNS1_13binary_searchIS3_S5_PtSB_SC_NS1_21upper_bound_search_opENS8_6detail16wrapped_functionINS0_4lessIvEEbEEEE10hipError_tPvRmT1_T2_T3_mmT4_T5_P12ihipStream_tbEUlRKtE_EESL_SP_SQ_mSR_SU_bEUlT_E_NS1_11comp_targetILNS1_3genE8ELNS1_11target_archE1030ELNS1_3gpuE2ELNS1_3repE0EEENS1_30default_config_static_selectorELNS0_4arch9wavefront6targetE1EEEvSO_, .Lfunc_end137-_ZN7rocprim17ROCPRIM_400000_NS6detail17trampoline_kernelINS0_14default_configENS1_27upper_bound_config_selectorItlEEZNS1_14transform_implILb0ES3_S5_N6thrust23THRUST_200600_302600_NS17counting_iteratorItNS8_11use_defaultESA_SA_EEPlZNS1_13binary_searchIS3_S5_PtSB_SC_NS1_21upper_bound_search_opENS8_6detail16wrapped_functionINS0_4lessIvEEbEEEE10hipError_tPvRmT1_T2_T3_mmT4_T5_P12ihipStream_tbEUlRKtE_EESL_SP_SQ_mSR_SU_bEUlT_E_NS1_11comp_targetILNS1_3genE8ELNS1_11target_archE1030ELNS1_3gpuE2ELNS1_3repE0EEENS1_30default_config_static_selectorELNS0_4arch9wavefront6targetE1EEEvSO_
                                        ; -- End function
	.section	.AMDGPU.csdata,"",@progbits
; Kernel info:
; codeLenInByte = 0
; NumSgprs: 4
; NumVgprs: 0
; NumAgprs: 0
; TotalNumVgprs: 0
; ScratchSize: 0
; MemoryBound: 0
; FloatMode: 240
; IeeeMode: 1
; LDSByteSize: 0 bytes/workgroup (compile time only)
; SGPRBlocks: 0
; VGPRBlocks: 0
; NumSGPRsForWavesPerEU: 4
; NumVGPRsForWavesPerEU: 1
; AccumOffset: 4
; Occupancy: 8
; WaveLimiterHint : 0
; COMPUTE_PGM_RSRC2:SCRATCH_EN: 0
; COMPUTE_PGM_RSRC2:USER_SGPR: 6
; COMPUTE_PGM_RSRC2:TRAP_HANDLER: 0
; COMPUTE_PGM_RSRC2:TGID_X_EN: 1
; COMPUTE_PGM_RSRC2:TGID_Y_EN: 0
; COMPUTE_PGM_RSRC2:TGID_Z_EN: 0
; COMPUTE_PGM_RSRC2:TIDIG_COMP_CNT: 0
; COMPUTE_PGM_RSRC3_GFX90A:ACCUM_OFFSET: 0
; COMPUTE_PGM_RSRC3_GFX90A:TG_SPLIT: 0
	.section	.text._Z18upper_bound_kernelIxEvmPT_Pl,"axG",@progbits,_Z18upper_bound_kernelIxEvmPT_Pl,comdat
	.protected	_Z18upper_bound_kernelIxEvmPT_Pl ; -- Begin function _Z18upper_bound_kernelIxEvmPT_Pl
	.globl	_Z18upper_bound_kernelIxEvmPT_Pl
	.p2align	8
	.type	_Z18upper_bound_kernelIxEvmPT_Pl,@function
_Z18upper_bound_kernelIxEvmPT_Pl:       ; @_Z18upper_bound_kernelIxEvmPT_Pl
; %bb.0:
	s_load_dwordx4 s[8:11], s[4:5], 0x0
	s_load_dwordx2 s[6:7], s[4:5], 0x10
	s_mov_b64 s[2:3], 0
	s_waitcnt lgkmcnt(0)
	v_cmp_lt_i64_e64 s[0:1], s[8:9], 1
	s_and_b64 s[0:1], exec, s[0:1]
	s_mov_b64 vcc, s[0:1]
	s_cbranch_vccnz .LBB138_3
; %bb.1:
	s_mov_b64 s[4:5], s[8:9]
.LBB138_2:                              ; =>This Inner Loop Header: Depth=1
	s_sub_u32 s12, s4, s2
	s_subb_u32 s13, s5, s3
	s_lshr_b32 s14, s13, 31
	s_add_u32 s12, s12, s14
	s_addc_u32 s13, s13, 0
	s_ashr_i64 s[12:13], s[12:13], 1
	s_add_u32 s12, s12, s2
	s_addc_u32 s13, s13, s3
	s_lshl_b64 s[14:15], s[12:13], 3
	s_add_u32 s14, s10, s14
	s_addc_u32 s15, s11, s15
	s_load_dwordx2 s[14:15], s[14:15], 0x0
	s_add_u32 s16, s12, 1
	s_addc_u32 s17, s13, 0
	s_waitcnt lgkmcnt(0)
	v_cmp_gt_i64_e64 s[14:15], s[14:15], 0
	s_and_b64 s[14:15], s[14:15], exec
	s_cselect_b32 s5, s13, s5
	s_cselect_b32 s4, s12, s4
	;; [unrolled: 1-line block ×4, first 2 shown]
	v_pk_mov_b32 v[0:1], s[4:5], s[4:5] op_sel:[0,1]
	v_cmp_lt_i64_e32 vcc, s[2:3], v[0:1]
	s_cbranch_vccnz .LBB138_2
.LBB138_3:
	v_cmp_gt_i64_e64 s[4:5], s[8:9], 0
	v_cndmask_b32_e64 v3, 0, 1, s[4:5]
	v_mov_b32_e32 v2, 0
	v_pk_mov_b32 v[0:1], s[2:3], s[2:3] op_sel:[0,1]
	v_cmp_ne_u32_e64 s[2:3], 1, v3
	s_andn2_b64 vcc, exec, s[4:5]
	s_mov_b64 s[4:5], 0
	global_store_dwordx2 v2, v[0:1], s[6:7]
	s_cbranch_vccnz .LBB138_6
; %bb.4:
	s_mov_b64 s[12:13], s[8:9]
.LBB138_5:                              ; =>This Inner Loop Header: Depth=1
	s_sub_u32 s14, s12, s4
	s_subb_u32 s15, s13, s5
	s_lshr_b32 s16, s15, 31
	s_add_u32 s14, s14, s16
	s_addc_u32 s15, s15, 0
	s_ashr_i64 s[14:15], s[14:15], 1
	s_add_u32 s14, s14, s4
	s_addc_u32 s15, s15, s5
	s_lshl_b64 s[16:17], s[14:15], 3
	s_add_u32 s16, s10, s16
	s_addc_u32 s17, s11, s17
	s_load_dwordx2 s[16:17], s[16:17], 0x0
	s_add_u32 s18, s14, 1
	s_addc_u32 s19, s15, 0
	s_waitcnt lgkmcnt(0)
	v_cmp_gt_i64_e64 s[16:17], s[16:17], 1
	s_and_b64 s[16:17], s[16:17], exec
	s_cselect_b32 s13, s15, s13
	s_cselect_b32 s12, s14, s12
	;; [unrolled: 1-line block ×4, first 2 shown]
	v_pk_mov_b32 v[0:1], s[12:13], s[12:13] op_sel:[0,1]
	v_cmp_lt_i64_e32 vcc, s[4:5], v[0:1]
	s_cbranch_vccnz .LBB138_5
.LBB138_6:
	v_mov_b32_e32 v2, 0
	v_pk_mov_b32 v[0:1], s[4:5], s[4:5] op_sel:[0,1]
	s_and_b64 vcc, exec, s[2:3]
	s_mov_b64 s[4:5], 0
	global_store_dwordx2 v2, v[0:1], s[6:7] offset:8
	s_cbranch_vccnz .LBB138_9
; %bb.7:
	s_mov_b64 s[12:13], s[8:9]
.LBB138_8:                              ; =>This Inner Loop Header: Depth=1
	s_sub_u32 s14, s12, s4
	s_subb_u32 s15, s13, s5
	s_lshr_b32 s16, s15, 31
	s_add_u32 s14, s14, s16
	s_addc_u32 s15, s15, 0
	s_ashr_i64 s[14:15], s[14:15], 1
	s_add_u32 s14, s14, s4
	s_addc_u32 s15, s15, s5
	s_lshl_b64 s[16:17], s[14:15], 3
	s_add_u32 s16, s10, s16
	s_addc_u32 s17, s11, s17
	s_load_dwordx2 s[16:17], s[16:17], 0x0
	s_add_u32 s18, s14, 1
	s_addc_u32 s19, s15, 0
	s_waitcnt lgkmcnt(0)
	v_cmp_gt_i64_e64 s[16:17], s[16:17], 2
	s_and_b64 s[16:17], s[16:17], exec
	s_cselect_b32 s13, s15, s13
	s_cselect_b32 s12, s14, s12
	;; [unrolled: 1-line block ×4, first 2 shown]
	v_pk_mov_b32 v[0:1], s[12:13], s[12:13] op_sel:[0,1]
	v_cmp_lt_i64_e32 vcc, s[4:5], v[0:1]
	s_cbranch_vccnz .LBB138_8
.LBB138_9:
	v_mov_b32_e32 v2, 0
	v_pk_mov_b32 v[0:1], s[4:5], s[4:5] op_sel:[0,1]
	s_and_b64 vcc, exec, s[2:3]
	s_mov_b64 s[4:5], 0
	global_store_dwordx2 v2, v[0:1], s[6:7] offset:16
	s_cbranch_vccnz .LBB138_12
; %bb.10:
	s_mov_b64 s[12:13], s[8:9]
.LBB138_11:                             ; =>This Inner Loop Header: Depth=1
	s_sub_u32 s14, s12, s4
	s_subb_u32 s15, s13, s5
	s_lshr_b32 s16, s15, 31
	s_add_u32 s14, s14, s16
	s_addc_u32 s15, s15, 0
	s_ashr_i64 s[14:15], s[14:15], 1
	s_add_u32 s14, s14, s4
	s_addc_u32 s15, s15, s5
	s_lshl_b64 s[16:17], s[14:15], 3
	s_add_u32 s16, s10, s16
	s_addc_u32 s17, s11, s17
	s_load_dwordx2 s[16:17], s[16:17], 0x0
	s_add_u32 s18, s14, 1
	s_addc_u32 s19, s15, 0
	s_waitcnt lgkmcnt(0)
	v_cmp_gt_i64_e64 s[16:17], s[16:17], 3
	s_and_b64 s[16:17], s[16:17], exec
	s_cselect_b32 s13, s15, s13
	s_cselect_b32 s12, s14, s12
	s_cselect_b32 s5, s5, s19
	s_cselect_b32 s4, s4, s18
	v_pk_mov_b32 v[0:1], s[12:13], s[12:13] op_sel:[0,1]
	v_cmp_lt_i64_e32 vcc, s[4:5], v[0:1]
	s_cbranch_vccnz .LBB138_11
.LBB138_12:
	v_mov_b32_e32 v2, 0
	v_pk_mov_b32 v[0:1], s[4:5], s[4:5] op_sel:[0,1]
	s_and_b64 vcc, exec, s[2:3]
	s_mov_b64 s[4:5], 0
	global_store_dwordx2 v2, v[0:1], s[6:7] offset:24
	s_cbranch_vccnz .LBB138_15
; %bb.13:
	s_mov_b64 s[12:13], s[8:9]
.LBB138_14:                             ; =>This Inner Loop Header: Depth=1
	s_sub_u32 s14, s12, s4
	s_subb_u32 s15, s13, s5
	s_lshr_b32 s16, s15, 31
	s_add_u32 s14, s14, s16
	s_addc_u32 s15, s15, 0
	s_ashr_i64 s[14:15], s[14:15], 1
	s_add_u32 s14, s14, s4
	s_addc_u32 s15, s15, s5
	s_lshl_b64 s[16:17], s[14:15], 3
	s_add_u32 s16, s10, s16
	s_addc_u32 s17, s11, s17
	s_load_dwordx2 s[16:17], s[16:17], 0x0
	s_add_u32 s18, s14, 1
	s_addc_u32 s19, s15, 0
	s_waitcnt lgkmcnt(0)
	v_cmp_gt_i64_e64 s[16:17], s[16:17], 4
	s_and_b64 s[16:17], s[16:17], exec
	s_cselect_b32 s13, s15, s13
	s_cselect_b32 s12, s14, s12
	s_cselect_b32 s5, s5, s19
	s_cselect_b32 s4, s4, s18
	v_pk_mov_b32 v[0:1], s[12:13], s[12:13] op_sel:[0,1]
	v_cmp_lt_i64_e32 vcc, s[4:5], v[0:1]
	s_cbranch_vccnz .LBB138_14
.LBB138_15:
	;; [unrolled: 34-line block ×5, first 2 shown]
	v_mov_b32_e32 v0, 0
	v_pk_mov_b32 v[2:3], s[2:3], s[2:3] op_sel:[0,1]
	s_mov_b64 vcc, s[0:1]
	global_store_dwordx2 v0, v[2:3], s[6:7] offset:56
	s_cbranch_vccz .LBB138_26
; %bb.25:
	v_mov_b32_e32 v1, v0
	global_store_dwordx2 v0, v[0:1], s[6:7] offset:64
	s_mov_b64 s[0:1], 0
	s_cbranch_execz .LBB138_27
	s_branch .LBB138_31
.LBB138_26:
                                        ; implicit-def: $sgpr0_sgpr1
.LBB138_27:
	s_mov_b64 s[0:1], 0
	s_mov_b64 s[2:3], s[8:9]
.LBB138_28:                             ; =>This Inner Loop Header: Depth=1
	s_sub_u32 s4, s2, s0
	s_subb_u32 s5, s3, s1
	s_lshr_b32 s12, s5, 31
	s_add_u32 s4, s4, s12
	s_addc_u32 s5, s5, 0
	s_ashr_i64 s[4:5], s[4:5], 1
	s_add_u32 s4, s4, s0
	s_addc_u32 s5, s5, s1
	s_lshl_b64 s[12:13], s[4:5], 3
	s_add_u32 s12, s10, s12
	s_addc_u32 s13, s11, s13
	s_load_dwordx2 s[12:13], s[12:13], 0x0
	s_add_u32 s14, s4, 1
	s_addc_u32 s15, s5, 0
	s_waitcnt lgkmcnt(0)
	v_cmp_gt_i64_e64 s[12:13], s[12:13], 8
	s_and_b64 s[12:13], s[12:13], exec
	s_cselect_b32 s3, s5, s3
	s_cselect_b32 s2, s4, s2
	;; [unrolled: 1-line block ×4, first 2 shown]
	v_pk_mov_b32 v[0:1], s[2:3], s[2:3] op_sel:[0,1]
	v_cmp_lt_i64_e32 vcc, s[0:1], v[0:1]
	s_cbranch_vccnz .LBB138_28
; %bb.29:
	v_mov_b32_e32 v2, 0
	v_pk_mov_b32 v[0:1], s[0:1], s[0:1] op_sel:[0,1]
	s_mov_b64 s[0:1], 0
	global_store_dwordx2 v2, v[0:1], s[6:7] offset:64
.LBB138_30:                             ; =>This Inner Loop Header: Depth=1
	s_sub_u32 s2, s8, s0
	s_subb_u32 s3, s9, s1
	s_lshr_b32 s4, s3, 31
	s_add_u32 s2, s2, s4
	s_addc_u32 s3, s3, 0
	s_ashr_i64 s[2:3], s[2:3], 1
	s_add_u32 s2, s2, s0
	s_addc_u32 s3, s3, s1
	s_lshl_b64 s[4:5], s[2:3], 3
	s_add_u32 s4, s10, s4
	s_addc_u32 s5, s11, s5
	s_load_dwordx2 s[4:5], s[4:5], 0x0
	s_add_u32 s12, s2, 1
	s_addc_u32 s13, s3, 0
	s_waitcnt lgkmcnt(0)
	v_cmp_gt_i64_e64 s[4:5], s[4:5], 9
	s_and_b64 s[4:5], s[4:5], exec
	s_cselect_b32 s9, s3, s9
	s_cselect_b32 s8, s2, s8
	;; [unrolled: 1-line block ×4, first 2 shown]
	v_pk_mov_b32 v[0:1], s[8:9], s[8:9] op_sel:[0,1]
	v_cmp_ge_i64_e32 vcc, s[0:1], v[0:1]
	s_cbranch_vccz .LBB138_30
.LBB138_31:
	v_mov_b32_e32 v2, 0
	v_pk_mov_b32 v[0:1], s[0:1], s[0:1] op_sel:[0,1]
	global_store_dwordx2 v2, v[0:1], s[6:7] offset:72
	s_endpgm
	.section	.rodata,"a",@progbits
	.p2align	6, 0x0
	.amdhsa_kernel _Z18upper_bound_kernelIxEvmPT_Pl
		.amdhsa_group_segment_fixed_size 0
		.amdhsa_private_segment_fixed_size 0
		.amdhsa_kernarg_size 24
		.amdhsa_user_sgpr_count 6
		.amdhsa_user_sgpr_private_segment_buffer 1
		.amdhsa_user_sgpr_dispatch_ptr 0
		.amdhsa_user_sgpr_queue_ptr 0
		.amdhsa_user_sgpr_kernarg_segment_ptr 1
		.amdhsa_user_sgpr_dispatch_id 0
		.amdhsa_user_sgpr_flat_scratch_init 0
		.amdhsa_user_sgpr_kernarg_preload_length 0
		.amdhsa_user_sgpr_kernarg_preload_offset 0
		.amdhsa_user_sgpr_private_segment_size 0
		.amdhsa_uses_dynamic_stack 0
		.amdhsa_system_sgpr_private_segment_wavefront_offset 0
		.amdhsa_system_sgpr_workgroup_id_x 1
		.amdhsa_system_sgpr_workgroup_id_y 0
		.amdhsa_system_sgpr_workgroup_id_z 0
		.amdhsa_system_sgpr_workgroup_info 0
		.amdhsa_system_vgpr_workitem_id 0
		.amdhsa_next_free_vgpr 4
		.amdhsa_next_free_sgpr 20
		.amdhsa_accum_offset 4
		.amdhsa_reserve_vcc 1
		.amdhsa_reserve_flat_scratch 0
		.amdhsa_float_round_mode_32 0
		.amdhsa_float_round_mode_16_64 0
		.amdhsa_float_denorm_mode_32 3
		.amdhsa_float_denorm_mode_16_64 3
		.amdhsa_dx10_clamp 1
		.amdhsa_ieee_mode 1
		.amdhsa_fp16_overflow 0
		.amdhsa_tg_split 0
		.amdhsa_exception_fp_ieee_invalid_op 0
		.amdhsa_exception_fp_denorm_src 0
		.amdhsa_exception_fp_ieee_div_zero 0
		.amdhsa_exception_fp_ieee_overflow 0
		.amdhsa_exception_fp_ieee_underflow 0
		.amdhsa_exception_fp_ieee_inexact 0
		.amdhsa_exception_int_div_zero 0
	.end_amdhsa_kernel
	.section	.text._Z18upper_bound_kernelIxEvmPT_Pl,"axG",@progbits,_Z18upper_bound_kernelIxEvmPT_Pl,comdat
.Lfunc_end138:
	.size	_Z18upper_bound_kernelIxEvmPT_Pl, .Lfunc_end138-_Z18upper_bound_kernelIxEvmPT_Pl
                                        ; -- End function
	.section	.AMDGPU.csdata,"",@progbits
; Kernel info:
; codeLenInByte = 1512
; NumSgprs: 24
; NumVgprs: 4
; NumAgprs: 0
; TotalNumVgprs: 4
; ScratchSize: 0
; MemoryBound: 0
; FloatMode: 240
; IeeeMode: 1
; LDSByteSize: 0 bytes/workgroup (compile time only)
; SGPRBlocks: 2
; VGPRBlocks: 0
; NumSGPRsForWavesPerEU: 24
; NumVGPRsForWavesPerEU: 4
; AccumOffset: 4
; Occupancy: 8
; WaveLimiterHint : 0
; COMPUTE_PGM_RSRC2:SCRATCH_EN: 0
; COMPUTE_PGM_RSRC2:USER_SGPR: 6
; COMPUTE_PGM_RSRC2:TRAP_HANDLER: 0
; COMPUTE_PGM_RSRC2:TGID_X_EN: 1
; COMPUTE_PGM_RSRC2:TGID_Y_EN: 0
; COMPUTE_PGM_RSRC2:TGID_Z_EN: 0
; COMPUTE_PGM_RSRC2:TIDIG_COMP_CNT: 0
; COMPUTE_PGM_RSRC3_GFX90A:ACCUM_OFFSET: 0
; COMPUTE_PGM_RSRC3_GFX90A:TG_SPLIT: 0
	.section	.text._ZN7rocprim17ROCPRIM_400000_NS6detail17trampoline_kernelINS0_14default_configENS1_27upper_bound_config_selectorIxlEEZNS1_14transform_implILb0ES3_S5_N6thrust23THRUST_200600_302600_NS17counting_iteratorIxNS8_11use_defaultESA_SA_EEPlZNS1_13binary_searchIS3_S5_PxSB_SC_NS1_21upper_bound_search_opENS8_6detail16wrapped_functionINS0_4lessIvEEbEEEE10hipError_tPvRmT1_T2_T3_mmT4_T5_P12ihipStream_tbEUlRKxE_EESL_SP_SQ_mSR_SU_bEUlT_E_NS1_11comp_targetILNS1_3genE0ELNS1_11target_archE4294967295ELNS1_3gpuE0ELNS1_3repE0EEENS1_30default_config_static_selectorELNS0_4arch9wavefront6targetE1EEEvSO_,"axG",@progbits,_ZN7rocprim17ROCPRIM_400000_NS6detail17trampoline_kernelINS0_14default_configENS1_27upper_bound_config_selectorIxlEEZNS1_14transform_implILb0ES3_S5_N6thrust23THRUST_200600_302600_NS17counting_iteratorIxNS8_11use_defaultESA_SA_EEPlZNS1_13binary_searchIS3_S5_PxSB_SC_NS1_21upper_bound_search_opENS8_6detail16wrapped_functionINS0_4lessIvEEbEEEE10hipError_tPvRmT1_T2_T3_mmT4_T5_P12ihipStream_tbEUlRKxE_EESL_SP_SQ_mSR_SU_bEUlT_E_NS1_11comp_targetILNS1_3genE0ELNS1_11target_archE4294967295ELNS1_3gpuE0ELNS1_3repE0EEENS1_30default_config_static_selectorELNS0_4arch9wavefront6targetE1EEEvSO_,comdat
	.protected	_ZN7rocprim17ROCPRIM_400000_NS6detail17trampoline_kernelINS0_14default_configENS1_27upper_bound_config_selectorIxlEEZNS1_14transform_implILb0ES3_S5_N6thrust23THRUST_200600_302600_NS17counting_iteratorIxNS8_11use_defaultESA_SA_EEPlZNS1_13binary_searchIS3_S5_PxSB_SC_NS1_21upper_bound_search_opENS8_6detail16wrapped_functionINS0_4lessIvEEbEEEE10hipError_tPvRmT1_T2_T3_mmT4_T5_P12ihipStream_tbEUlRKxE_EESL_SP_SQ_mSR_SU_bEUlT_E_NS1_11comp_targetILNS1_3genE0ELNS1_11target_archE4294967295ELNS1_3gpuE0ELNS1_3repE0EEENS1_30default_config_static_selectorELNS0_4arch9wavefront6targetE1EEEvSO_ ; -- Begin function _ZN7rocprim17ROCPRIM_400000_NS6detail17trampoline_kernelINS0_14default_configENS1_27upper_bound_config_selectorIxlEEZNS1_14transform_implILb0ES3_S5_N6thrust23THRUST_200600_302600_NS17counting_iteratorIxNS8_11use_defaultESA_SA_EEPlZNS1_13binary_searchIS3_S5_PxSB_SC_NS1_21upper_bound_search_opENS8_6detail16wrapped_functionINS0_4lessIvEEbEEEE10hipError_tPvRmT1_T2_T3_mmT4_T5_P12ihipStream_tbEUlRKxE_EESL_SP_SQ_mSR_SU_bEUlT_E_NS1_11comp_targetILNS1_3genE0ELNS1_11target_archE4294967295ELNS1_3gpuE0ELNS1_3repE0EEENS1_30default_config_static_selectorELNS0_4arch9wavefront6targetE1EEEvSO_
	.globl	_ZN7rocprim17ROCPRIM_400000_NS6detail17trampoline_kernelINS0_14default_configENS1_27upper_bound_config_selectorIxlEEZNS1_14transform_implILb0ES3_S5_N6thrust23THRUST_200600_302600_NS17counting_iteratorIxNS8_11use_defaultESA_SA_EEPlZNS1_13binary_searchIS3_S5_PxSB_SC_NS1_21upper_bound_search_opENS8_6detail16wrapped_functionINS0_4lessIvEEbEEEE10hipError_tPvRmT1_T2_T3_mmT4_T5_P12ihipStream_tbEUlRKxE_EESL_SP_SQ_mSR_SU_bEUlT_E_NS1_11comp_targetILNS1_3genE0ELNS1_11target_archE4294967295ELNS1_3gpuE0ELNS1_3repE0EEENS1_30default_config_static_selectorELNS0_4arch9wavefront6targetE1EEEvSO_
	.p2align	8
	.type	_ZN7rocprim17ROCPRIM_400000_NS6detail17trampoline_kernelINS0_14default_configENS1_27upper_bound_config_selectorIxlEEZNS1_14transform_implILb0ES3_S5_N6thrust23THRUST_200600_302600_NS17counting_iteratorIxNS8_11use_defaultESA_SA_EEPlZNS1_13binary_searchIS3_S5_PxSB_SC_NS1_21upper_bound_search_opENS8_6detail16wrapped_functionINS0_4lessIvEEbEEEE10hipError_tPvRmT1_T2_T3_mmT4_T5_P12ihipStream_tbEUlRKxE_EESL_SP_SQ_mSR_SU_bEUlT_E_NS1_11comp_targetILNS1_3genE0ELNS1_11target_archE4294967295ELNS1_3gpuE0ELNS1_3repE0EEENS1_30default_config_static_selectorELNS0_4arch9wavefront6targetE1EEEvSO_,@function
_ZN7rocprim17ROCPRIM_400000_NS6detail17trampoline_kernelINS0_14default_configENS1_27upper_bound_config_selectorIxlEEZNS1_14transform_implILb0ES3_S5_N6thrust23THRUST_200600_302600_NS17counting_iteratorIxNS8_11use_defaultESA_SA_EEPlZNS1_13binary_searchIS3_S5_PxSB_SC_NS1_21upper_bound_search_opENS8_6detail16wrapped_functionINS0_4lessIvEEbEEEE10hipError_tPvRmT1_T2_T3_mmT4_T5_P12ihipStream_tbEUlRKxE_EESL_SP_SQ_mSR_SU_bEUlT_E_NS1_11comp_targetILNS1_3genE0ELNS1_11target_archE4294967295ELNS1_3gpuE0ELNS1_3repE0EEENS1_30default_config_static_selectorELNS0_4arch9wavefront6targetE1EEEvSO_: ; @_ZN7rocprim17ROCPRIM_400000_NS6detail17trampoline_kernelINS0_14default_configENS1_27upper_bound_config_selectorIxlEEZNS1_14transform_implILb0ES3_S5_N6thrust23THRUST_200600_302600_NS17counting_iteratorIxNS8_11use_defaultESA_SA_EEPlZNS1_13binary_searchIS3_S5_PxSB_SC_NS1_21upper_bound_search_opENS8_6detail16wrapped_functionINS0_4lessIvEEbEEEE10hipError_tPvRmT1_T2_T3_mmT4_T5_P12ihipStream_tbEUlRKxE_EESL_SP_SQ_mSR_SU_bEUlT_E_NS1_11comp_targetILNS1_3genE0ELNS1_11target_archE4294967295ELNS1_3gpuE0ELNS1_3repE0EEENS1_30default_config_static_selectorELNS0_4arch9wavefront6targetE1EEEvSO_
; %bb.0:
	.section	.rodata,"a",@progbits
	.p2align	6, 0x0
	.amdhsa_kernel _ZN7rocprim17ROCPRIM_400000_NS6detail17trampoline_kernelINS0_14default_configENS1_27upper_bound_config_selectorIxlEEZNS1_14transform_implILb0ES3_S5_N6thrust23THRUST_200600_302600_NS17counting_iteratorIxNS8_11use_defaultESA_SA_EEPlZNS1_13binary_searchIS3_S5_PxSB_SC_NS1_21upper_bound_search_opENS8_6detail16wrapped_functionINS0_4lessIvEEbEEEE10hipError_tPvRmT1_T2_T3_mmT4_T5_P12ihipStream_tbEUlRKxE_EESL_SP_SQ_mSR_SU_bEUlT_E_NS1_11comp_targetILNS1_3genE0ELNS1_11target_archE4294967295ELNS1_3gpuE0ELNS1_3repE0EEENS1_30default_config_static_selectorELNS0_4arch9wavefront6targetE1EEEvSO_
		.amdhsa_group_segment_fixed_size 0
		.amdhsa_private_segment_fixed_size 0
		.amdhsa_kernarg_size 56
		.amdhsa_user_sgpr_count 6
		.amdhsa_user_sgpr_private_segment_buffer 1
		.amdhsa_user_sgpr_dispatch_ptr 0
		.amdhsa_user_sgpr_queue_ptr 0
		.amdhsa_user_sgpr_kernarg_segment_ptr 1
		.amdhsa_user_sgpr_dispatch_id 0
		.amdhsa_user_sgpr_flat_scratch_init 0
		.amdhsa_user_sgpr_kernarg_preload_length 0
		.amdhsa_user_sgpr_kernarg_preload_offset 0
		.amdhsa_user_sgpr_private_segment_size 0
		.amdhsa_uses_dynamic_stack 0
		.amdhsa_system_sgpr_private_segment_wavefront_offset 0
		.amdhsa_system_sgpr_workgroup_id_x 1
		.amdhsa_system_sgpr_workgroup_id_y 0
		.amdhsa_system_sgpr_workgroup_id_z 0
		.amdhsa_system_sgpr_workgroup_info 0
		.amdhsa_system_vgpr_workitem_id 0
		.amdhsa_next_free_vgpr 1
		.amdhsa_next_free_sgpr 0
		.amdhsa_accum_offset 4
		.amdhsa_reserve_vcc 0
		.amdhsa_reserve_flat_scratch 0
		.amdhsa_float_round_mode_32 0
		.amdhsa_float_round_mode_16_64 0
		.amdhsa_float_denorm_mode_32 3
		.amdhsa_float_denorm_mode_16_64 3
		.amdhsa_dx10_clamp 1
		.amdhsa_ieee_mode 1
		.amdhsa_fp16_overflow 0
		.amdhsa_tg_split 0
		.amdhsa_exception_fp_ieee_invalid_op 0
		.amdhsa_exception_fp_denorm_src 0
		.amdhsa_exception_fp_ieee_div_zero 0
		.amdhsa_exception_fp_ieee_overflow 0
		.amdhsa_exception_fp_ieee_underflow 0
		.amdhsa_exception_fp_ieee_inexact 0
		.amdhsa_exception_int_div_zero 0
	.end_amdhsa_kernel
	.section	.text._ZN7rocprim17ROCPRIM_400000_NS6detail17trampoline_kernelINS0_14default_configENS1_27upper_bound_config_selectorIxlEEZNS1_14transform_implILb0ES3_S5_N6thrust23THRUST_200600_302600_NS17counting_iteratorIxNS8_11use_defaultESA_SA_EEPlZNS1_13binary_searchIS3_S5_PxSB_SC_NS1_21upper_bound_search_opENS8_6detail16wrapped_functionINS0_4lessIvEEbEEEE10hipError_tPvRmT1_T2_T3_mmT4_T5_P12ihipStream_tbEUlRKxE_EESL_SP_SQ_mSR_SU_bEUlT_E_NS1_11comp_targetILNS1_3genE0ELNS1_11target_archE4294967295ELNS1_3gpuE0ELNS1_3repE0EEENS1_30default_config_static_selectorELNS0_4arch9wavefront6targetE1EEEvSO_,"axG",@progbits,_ZN7rocprim17ROCPRIM_400000_NS6detail17trampoline_kernelINS0_14default_configENS1_27upper_bound_config_selectorIxlEEZNS1_14transform_implILb0ES3_S5_N6thrust23THRUST_200600_302600_NS17counting_iteratorIxNS8_11use_defaultESA_SA_EEPlZNS1_13binary_searchIS3_S5_PxSB_SC_NS1_21upper_bound_search_opENS8_6detail16wrapped_functionINS0_4lessIvEEbEEEE10hipError_tPvRmT1_T2_T3_mmT4_T5_P12ihipStream_tbEUlRKxE_EESL_SP_SQ_mSR_SU_bEUlT_E_NS1_11comp_targetILNS1_3genE0ELNS1_11target_archE4294967295ELNS1_3gpuE0ELNS1_3repE0EEENS1_30default_config_static_selectorELNS0_4arch9wavefront6targetE1EEEvSO_,comdat
.Lfunc_end139:
	.size	_ZN7rocprim17ROCPRIM_400000_NS6detail17trampoline_kernelINS0_14default_configENS1_27upper_bound_config_selectorIxlEEZNS1_14transform_implILb0ES3_S5_N6thrust23THRUST_200600_302600_NS17counting_iteratorIxNS8_11use_defaultESA_SA_EEPlZNS1_13binary_searchIS3_S5_PxSB_SC_NS1_21upper_bound_search_opENS8_6detail16wrapped_functionINS0_4lessIvEEbEEEE10hipError_tPvRmT1_T2_T3_mmT4_T5_P12ihipStream_tbEUlRKxE_EESL_SP_SQ_mSR_SU_bEUlT_E_NS1_11comp_targetILNS1_3genE0ELNS1_11target_archE4294967295ELNS1_3gpuE0ELNS1_3repE0EEENS1_30default_config_static_selectorELNS0_4arch9wavefront6targetE1EEEvSO_, .Lfunc_end139-_ZN7rocprim17ROCPRIM_400000_NS6detail17trampoline_kernelINS0_14default_configENS1_27upper_bound_config_selectorIxlEEZNS1_14transform_implILb0ES3_S5_N6thrust23THRUST_200600_302600_NS17counting_iteratorIxNS8_11use_defaultESA_SA_EEPlZNS1_13binary_searchIS3_S5_PxSB_SC_NS1_21upper_bound_search_opENS8_6detail16wrapped_functionINS0_4lessIvEEbEEEE10hipError_tPvRmT1_T2_T3_mmT4_T5_P12ihipStream_tbEUlRKxE_EESL_SP_SQ_mSR_SU_bEUlT_E_NS1_11comp_targetILNS1_3genE0ELNS1_11target_archE4294967295ELNS1_3gpuE0ELNS1_3repE0EEENS1_30default_config_static_selectorELNS0_4arch9wavefront6targetE1EEEvSO_
                                        ; -- End function
	.section	.AMDGPU.csdata,"",@progbits
; Kernel info:
; codeLenInByte = 0
; NumSgprs: 4
; NumVgprs: 0
; NumAgprs: 0
; TotalNumVgprs: 0
; ScratchSize: 0
; MemoryBound: 0
; FloatMode: 240
; IeeeMode: 1
; LDSByteSize: 0 bytes/workgroup (compile time only)
; SGPRBlocks: 0
; VGPRBlocks: 0
; NumSGPRsForWavesPerEU: 4
; NumVGPRsForWavesPerEU: 1
; AccumOffset: 4
; Occupancy: 8
; WaveLimiterHint : 0
; COMPUTE_PGM_RSRC2:SCRATCH_EN: 0
; COMPUTE_PGM_RSRC2:USER_SGPR: 6
; COMPUTE_PGM_RSRC2:TRAP_HANDLER: 0
; COMPUTE_PGM_RSRC2:TGID_X_EN: 1
; COMPUTE_PGM_RSRC2:TGID_Y_EN: 0
; COMPUTE_PGM_RSRC2:TGID_Z_EN: 0
; COMPUTE_PGM_RSRC2:TIDIG_COMP_CNT: 0
; COMPUTE_PGM_RSRC3_GFX90A:ACCUM_OFFSET: 0
; COMPUTE_PGM_RSRC3_GFX90A:TG_SPLIT: 0
	.section	.text._ZN7rocprim17ROCPRIM_400000_NS6detail17trampoline_kernelINS0_14default_configENS1_27upper_bound_config_selectorIxlEEZNS1_14transform_implILb0ES3_S5_N6thrust23THRUST_200600_302600_NS17counting_iteratorIxNS8_11use_defaultESA_SA_EEPlZNS1_13binary_searchIS3_S5_PxSB_SC_NS1_21upper_bound_search_opENS8_6detail16wrapped_functionINS0_4lessIvEEbEEEE10hipError_tPvRmT1_T2_T3_mmT4_T5_P12ihipStream_tbEUlRKxE_EESL_SP_SQ_mSR_SU_bEUlT_E_NS1_11comp_targetILNS1_3genE5ELNS1_11target_archE942ELNS1_3gpuE9ELNS1_3repE0EEENS1_30default_config_static_selectorELNS0_4arch9wavefront6targetE1EEEvSO_,"axG",@progbits,_ZN7rocprim17ROCPRIM_400000_NS6detail17trampoline_kernelINS0_14default_configENS1_27upper_bound_config_selectorIxlEEZNS1_14transform_implILb0ES3_S5_N6thrust23THRUST_200600_302600_NS17counting_iteratorIxNS8_11use_defaultESA_SA_EEPlZNS1_13binary_searchIS3_S5_PxSB_SC_NS1_21upper_bound_search_opENS8_6detail16wrapped_functionINS0_4lessIvEEbEEEE10hipError_tPvRmT1_T2_T3_mmT4_T5_P12ihipStream_tbEUlRKxE_EESL_SP_SQ_mSR_SU_bEUlT_E_NS1_11comp_targetILNS1_3genE5ELNS1_11target_archE942ELNS1_3gpuE9ELNS1_3repE0EEENS1_30default_config_static_selectorELNS0_4arch9wavefront6targetE1EEEvSO_,comdat
	.protected	_ZN7rocprim17ROCPRIM_400000_NS6detail17trampoline_kernelINS0_14default_configENS1_27upper_bound_config_selectorIxlEEZNS1_14transform_implILb0ES3_S5_N6thrust23THRUST_200600_302600_NS17counting_iteratorIxNS8_11use_defaultESA_SA_EEPlZNS1_13binary_searchIS3_S5_PxSB_SC_NS1_21upper_bound_search_opENS8_6detail16wrapped_functionINS0_4lessIvEEbEEEE10hipError_tPvRmT1_T2_T3_mmT4_T5_P12ihipStream_tbEUlRKxE_EESL_SP_SQ_mSR_SU_bEUlT_E_NS1_11comp_targetILNS1_3genE5ELNS1_11target_archE942ELNS1_3gpuE9ELNS1_3repE0EEENS1_30default_config_static_selectorELNS0_4arch9wavefront6targetE1EEEvSO_ ; -- Begin function _ZN7rocprim17ROCPRIM_400000_NS6detail17trampoline_kernelINS0_14default_configENS1_27upper_bound_config_selectorIxlEEZNS1_14transform_implILb0ES3_S5_N6thrust23THRUST_200600_302600_NS17counting_iteratorIxNS8_11use_defaultESA_SA_EEPlZNS1_13binary_searchIS3_S5_PxSB_SC_NS1_21upper_bound_search_opENS8_6detail16wrapped_functionINS0_4lessIvEEbEEEE10hipError_tPvRmT1_T2_T3_mmT4_T5_P12ihipStream_tbEUlRKxE_EESL_SP_SQ_mSR_SU_bEUlT_E_NS1_11comp_targetILNS1_3genE5ELNS1_11target_archE942ELNS1_3gpuE9ELNS1_3repE0EEENS1_30default_config_static_selectorELNS0_4arch9wavefront6targetE1EEEvSO_
	.globl	_ZN7rocprim17ROCPRIM_400000_NS6detail17trampoline_kernelINS0_14default_configENS1_27upper_bound_config_selectorIxlEEZNS1_14transform_implILb0ES3_S5_N6thrust23THRUST_200600_302600_NS17counting_iteratorIxNS8_11use_defaultESA_SA_EEPlZNS1_13binary_searchIS3_S5_PxSB_SC_NS1_21upper_bound_search_opENS8_6detail16wrapped_functionINS0_4lessIvEEbEEEE10hipError_tPvRmT1_T2_T3_mmT4_T5_P12ihipStream_tbEUlRKxE_EESL_SP_SQ_mSR_SU_bEUlT_E_NS1_11comp_targetILNS1_3genE5ELNS1_11target_archE942ELNS1_3gpuE9ELNS1_3repE0EEENS1_30default_config_static_selectorELNS0_4arch9wavefront6targetE1EEEvSO_
	.p2align	8
	.type	_ZN7rocprim17ROCPRIM_400000_NS6detail17trampoline_kernelINS0_14default_configENS1_27upper_bound_config_selectorIxlEEZNS1_14transform_implILb0ES3_S5_N6thrust23THRUST_200600_302600_NS17counting_iteratorIxNS8_11use_defaultESA_SA_EEPlZNS1_13binary_searchIS3_S5_PxSB_SC_NS1_21upper_bound_search_opENS8_6detail16wrapped_functionINS0_4lessIvEEbEEEE10hipError_tPvRmT1_T2_T3_mmT4_T5_P12ihipStream_tbEUlRKxE_EESL_SP_SQ_mSR_SU_bEUlT_E_NS1_11comp_targetILNS1_3genE5ELNS1_11target_archE942ELNS1_3gpuE9ELNS1_3repE0EEENS1_30default_config_static_selectorELNS0_4arch9wavefront6targetE1EEEvSO_,@function
_ZN7rocprim17ROCPRIM_400000_NS6detail17trampoline_kernelINS0_14default_configENS1_27upper_bound_config_selectorIxlEEZNS1_14transform_implILb0ES3_S5_N6thrust23THRUST_200600_302600_NS17counting_iteratorIxNS8_11use_defaultESA_SA_EEPlZNS1_13binary_searchIS3_S5_PxSB_SC_NS1_21upper_bound_search_opENS8_6detail16wrapped_functionINS0_4lessIvEEbEEEE10hipError_tPvRmT1_T2_T3_mmT4_T5_P12ihipStream_tbEUlRKxE_EESL_SP_SQ_mSR_SU_bEUlT_E_NS1_11comp_targetILNS1_3genE5ELNS1_11target_archE942ELNS1_3gpuE9ELNS1_3repE0EEENS1_30default_config_static_selectorELNS0_4arch9wavefront6targetE1EEEvSO_: ; @_ZN7rocprim17ROCPRIM_400000_NS6detail17trampoline_kernelINS0_14default_configENS1_27upper_bound_config_selectorIxlEEZNS1_14transform_implILb0ES3_S5_N6thrust23THRUST_200600_302600_NS17counting_iteratorIxNS8_11use_defaultESA_SA_EEPlZNS1_13binary_searchIS3_S5_PxSB_SC_NS1_21upper_bound_search_opENS8_6detail16wrapped_functionINS0_4lessIvEEbEEEE10hipError_tPvRmT1_T2_T3_mmT4_T5_P12ihipStream_tbEUlRKxE_EESL_SP_SQ_mSR_SU_bEUlT_E_NS1_11comp_targetILNS1_3genE5ELNS1_11target_archE942ELNS1_3gpuE9ELNS1_3repE0EEENS1_30default_config_static_selectorELNS0_4arch9wavefront6targetE1EEEvSO_
; %bb.0:
	.section	.rodata,"a",@progbits
	.p2align	6, 0x0
	.amdhsa_kernel _ZN7rocprim17ROCPRIM_400000_NS6detail17trampoline_kernelINS0_14default_configENS1_27upper_bound_config_selectorIxlEEZNS1_14transform_implILb0ES3_S5_N6thrust23THRUST_200600_302600_NS17counting_iteratorIxNS8_11use_defaultESA_SA_EEPlZNS1_13binary_searchIS3_S5_PxSB_SC_NS1_21upper_bound_search_opENS8_6detail16wrapped_functionINS0_4lessIvEEbEEEE10hipError_tPvRmT1_T2_T3_mmT4_T5_P12ihipStream_tbEUlRKxE_EESL_SP_SQ_mSR_SU_bEUlT_E_NS1_11comp_targetILNS1_3genE5ELNS1_11target_archE942ELNS1_3gpuE9ELNS1_3repE0EEENS1_30default_config_static_selectorELNS0_4arch9wavefront6targetE1EEEvSO_
		.amdhsa_group_segment_fixed_size 0
		.amdhsa_private_segment_fixed_size 0
		.amdhsa_kernarg_size 56
		.amdhsa_user_sgpr_count 6
		.amdhsa_user_sgpr_private_segment_buffer 1
		.amdhsa_user_sgpr_dispatch_ptr 0
		.amdhsa_user_sgpr_queue_ptr 0
		.amdhsa_user_sgpr_kernarg_segment_ptr 1
		.amdhsa_user_sgpr_dispatch_id 0
		.amdhsa_user_sgpr_flat_scratch_init 0
		.amdhsa_user_sgpr_kernarg_preload_length 0
		.amdhsa_user_sgpr_kernarg_preload_offset 0
		.amdhsa_user_sgpr_private_segment_size 0
		.amdhsa_uses_dynamic_stack 0
		.amdhsa_system_sgpr_private_segment_wavefront_offset 0
		.amdhsa_system_sgpr_workgroup_id_x 1
		.amdhsa_system_sgpr_workgroup_id_y 0
		.amdhsa_system_sgpr_workgroup_id_z 0
		.amdhsa_system_sgpr_workgroup_info 0
		.amdhsa_system_vgpr_workitem_id 0
		.amdhsa_next_free_vgpr 1
		.amdhsa_next_free_sgpr 0
		.amdhsa_accum_offset 4
		.amdhsa_reserve_vcc 0
		.amdhsa_reserve_flat_scratch 0
		.amdhsa_float_round_mode_32 0
		.amdhsa_float_round_mode_16_64 0
		.amdhsa_float_denorm_mode_32 3
		.amdhsa_float_denorm_mode_16_64 3
		.amdhsa_dx10_clamp 1
		.amdhsa_ieee_mode 1
		.amdhsa_fp16_overflow 0
		.amdhsa_tg_split 0
		.amdhsa_exception_fp_ieee_invalid_op 0
		.amdhsa_exception_fp_denorm_src 0
		.amdhsa_exception_fp_ieee_div_zero 0
		.amdhsa_exception_fp_ieee_overflow 0
		.amdhsa_exception_fp_ieee_underflow 0
		.amdhsa_exception_fp_ieee_inexact 0
		.amdhsa_exception_int_div_zero 0
	.end_amdhsa_kernel
	.section	.text._ZN7rocprim17ROCPRIM_400000_NS6detail17trampoline_kernelINS0_14default_configENS1_27upper_bound_config_selectorIxlEEZNS1_14transform_implILb0ES3_S5_N6thrust23THRUST_200600_302600_NS17counting_iteratorIxNS8_11use_defaultESA_SA_EEPlZNS1_13binary_searchIS3_S5_PxSB_SC_NS1_21upper_bound_search_opENS8_6detail16wrapped_functionINS0_4lessIvEEbEEEE10hipError_tPvRmT1_T2_T3_mmT4_T5_P12ihipStream_tbEUlRKxE_EESL_SP_SQ_mSR_SU_bEUlT_E_NS1_11comp_targetILNS1_3genE5ELNS1_11target_archE942ELNS1_3gpuE9ELNS1_3repE0EEENS1_30default_config_static_selectorELNS0_4arch9wavefront6targetE1EEEvSO_,"axG",@progbits,_ZN7rocprim17ROCPRIM_400000_NS6detail17trampoline_kernelINS0_14default_configENS1_27upper_bound_config_selectorIxlEEZNS1_14transform_implILb0ES3_S5_N6thrust23THRUST_200600_302600_NS17counting_iteratorIxNS8_11use_defaultESA_SA_EEPlZNS1_13binary_searchIS3_S5_PxSB_SC_NS1_21upper_bound_search_opENS8_6detail16wrapped_functionINS0_4lessIvEEbEEEE10hipError_tPvRmT1_T2_T3_mmT4_T5_P12ihipStream_tbEUlRKxE_EESL_SP_SQ_mSR_SU_bEUlT_E_NS1_11comp_targetILNS1_3genE5ELNS1_11target_archE942ELNS1_3gpuE9ELNS1_3repE0EEENS1_30default_config_static_selectorELNS0_4arch9wavefront6targetE1EEEvSO_,comdat
.Lfunc_end140:
	.size	_ZN7rocprim17ROCPRIM_400000_NS6detail17trampoline_kernelINS0_14default_configENS1_27upper_bound_config_selectorIxlEEZNS1_14transform_implILb0ES3_S5_N6thrust23THRUST_200600_302600_NS17counting_iteratorIxNS8_11use_defaultESA_SA_EEPlZNS1_13binary_searchIS3_S5_PxSB_SC_NS1_21upper_bound_search_opENS8_6detail16wrapped_functionINS0_4lessIvEEbEEEE10hipError_tPvRmT1_T2_T3_mmT4_T5_P12ihipStream_tbEUlRKxE_EESL_SP_SQ_mSR_SU_bEUlT_E_NS1_11comp_targetILNS1_3genE5ELNS1_11target_archE942ELNS1_3gpuE9ELNS1_3repE0EEENS1_30default_config_static_selectorELNS0_4arch9wavefront6targetE1EEEvSO_, .Lfunc_end140-_ZN7rocprim17ROCPRIM_400000_NS6detail17trampoline_kernelINS0_14default_configENS1_27upper_bound_config_selectorIxlEEZNS1_14transform_implILb0ES3_S5_N6thrust23THRUST_200600_302600_NS17counting_iteratorIxNS8_11use_defaultESA_SA_EEPlZNS1_13binary_searchIS3_S5_PxSB_SC_NS1_21upper_bound_search_opENS8_6detail16wrapped_functionINS0_4lessIvEEbEEEE10hipError_tPvRmT1_T2_T3_mmT4_T5_P12ihipStream_tbEUlRKxE_EESL_SP_SQ_mSR_SU_bEUlT_E_NS1_11comp_targetILNS1_3genE5ELNS1_11target_archE942ELNS1_3gpuE9ELNS1_3repE0EEENS1_30default_config_static_selectorELNS0_4arch9wavefront6targetE1EEEvSO_
                                        ; -- End function
	.section	.AMDGPU.csdata,"",@progbits
; Kernel info:
; codeLenInByte = 0
; NumSgprs: 4
; NumVgprs: 0
; NumAgprs: 0
; TotalNumVgprs: 0
; ScratchSize: 0
; MemoryBound: 0
; FloatMode: 240
; IeeeMode: 1
; LDSByteSize: 0 bytes/workgroup (compile time only)
; SGPRBlocks: 0
; VGPRBlocks: 0
; NumSGPRsForWavesPerEU: 4
; NumVGPRsForWavesPerEU: 1
; AccumOffset: 4
; Occupancy: 8
; WaveLimiterHint : 0
; COMPUTE_PGM_RSRC2:SCRATCH_EN: 0
; COMPUTE_PGM_RSRC2:USER_SGPR: 6
; COMPUTE_PGM_RSRC2:TRAP_HANDLER: 0
; COMPUTE_PGM_RSRC2:TGID_X_EN: 1
; COMPUTE_PGM_RSRC2:TGID_Y_EN: 0
; COMPUTE_PGM_RSRC2:TGID_Z_EN: 0
; COMPUTE_PGM_RSRC2:TIDIG_COMP_CNT: 0
; COMPUTE_PGM_RSRC3_GFX90A:ACCUM_OFFSET: 0
; COMPUTE_PGM_RSRC3_GFX90A:TG_SPLIT: 0
	.section	.text._ZN7rocprim17ROCPRIM_400000_NS6detail17trampoline_kernelINS0_14default_configENS1_27upper_bound_config_selectorIxlEEZNS1_14transform_implILb0ES3_S5_N6thrust23THRUST_200600_302600_NS17counting_iteratorIxNS8_11use_defaultESA_SA_EEPlZNS1_13binary_searchIS3_S5_PxSB_SC_NS1_21upper_bound_search_opENS8_6detail16wrapped_functionINS0_4lessIvEEbEEEE10hipError_tPvRmT1_T2_T3_mmT4_T5_P12ihipStream_tbEUlRKxE_EESL_SP_SQ_mSR_SU_bEUlT_E_NS1_11comp_targetILNS1_3genE4ELNS1_11target_archE910ELNS1_3gpuE8ELNS1_3repE0EEENS1_30default_config_static_selectorELNS0_4arch9wavefront6targetE1EEEvSO_,"axG",@progbits,_ZN7rocprim17ROCPRIM_400000_NS6detail17trampoline_kernelINS0_14default_configENS1_27upper_bound_config_selectorIxlEEZNS1_14transform_implILb0ES3_S5_N6thrust23THRUST_200600_302600_NS17counting_iteratorIxNS8_11use_defaultESA_SA_EEPlZNS1_13binary_searchIS3_S5_PxSB_SC_NS1_21upper_bound_search_opENS8_6detail16wrapped_functionINS0_4lessIvEEbEEEE10hipError_tPvRmT1_T2_T3_mmT4_T5_P12ihipStream_tbEUlRKxE_EESL_SP_SQ_mSR_SU_bEUlT_E_NS1_11comp_targetILNS1_3genE4ELNS1_11target_archE910ELNS1_3gpuE8ELNS1_3repE0EEENS1_30default_config_static_selectorELNS0_4arch9wavefront6targetE1EEEvSO_,comdat
	.protected	_ZN7rocprim17ROCPRIM_400000_NS6detail17trampoline_kernelINS0_14default_configENS1_27upper_bound_config_selectorIxlEEZNS1_14transform_implILb0ES3_S5_N6thrust23THRUST_200600_302600_NS17counting_iteratorIxNS8_11use_defaultESA_SA_EEPlZNS1_13binary_searchIS3_S5_PxSB_SC_NS1_21upper_bound_search_opENS8_6detail16wrapped_functionINS0_4lessIvEEbEEEE10hipError_tPvRmT1_T2_T3_mmT4_T5_P12ihipStream_tbEUlRKxE_EESL_SP_SQ_mSR_SU_bEUlT_E_NS1_11comp_targetILNS1_3genE4ELNS1_11target_archE910ELNS1_3gpuE8ELNS1_3repE0EEENS1_30default_config_static_selectorELNS0_4arch9wavefront6targetE1EEEvSO_ ; -- Begin function _ZN7rocprim17ROCPRIM_400000_NS6detail17trampoline_kernelINS0_14default_configENS1_27upper_bound_config_selectorIxlEEZNS1_14transform_implILb0ES3_S5_N6thrust23THRUST_200600_302600_NS17counting_iteratorIxNS8_11use_defaultESA_SA_EEPlZNS1_13binary_searchIS3_S5_PxSB_SC_NS1_21upper_bound_search_opENS8_6detail16wrapped_functionINS0_4lessIvEEbEEEE10hipError_tPvRmT1_T2_T3_mmT4_T5_P12ihipStream_tbEUlRKxE_EESL_SP_SQ_mSR_SU_bEUlT_E_NS1_11comp_targetILNS1_3genE4ELNS1_11target_archE910ELNS1_3gpuE8ELNS1_3repE0EEENS1_30default_config_static_selectorELNS0_4arch9wavefront6targetE1EEEvSO_
	.globl	_ZN7rocprim17ROCPRIM_400000_NS6detail17trampoline_kernelINS0_14default_configENS1_27upper_bound_config_selectorIxlEEZNS1_14transform_implILb0ES3_S5_N6thrust23THRUST_200600_302600_NS17counting_iteratorIxNS8_11use_defaultESA_SA_EEPlZNS1_13binary_searchIS3_S5_PxSB_SC_NS1_21upper_bound_search_opENS8_6detail16wrapped_functionINS0_4lessIvEEbEEEE10hipError_tPvRmT1_T2_T3_mmT4_T5_P12ihipStream_tbEUlRKxE_EESL_SP_SQ_mSR_SU_bEUlT_E_NS1_11comp_targetILNS1_3genE4ELNS1_11target_archE910ELNS1_3gpuE8ELNS1_3repE0EEENS1_30default_config_static_selectorELNS0_4arch9wavefront6targetE1EEEvSO_
	.p2align	8
	.type	_ZN7rocprim17ROCPRIM_400000_NS6detail17trampoline_kernelINS0_14default_configENS1_27upper_bound_config_selectorIxlEEZNS1_14transform_implILb0ES3_S5_N6thrust23THRUST_200600_302600_NS17counting_iteratorIxNS8_11use_defaultESA_SA_EEPlZNS1_13binary_searchIS3_S5_PxSB_SC_NS1_21upper_bound_search_opENS8_6detail16wrapped_functionINS0_4lessIvEEbEEEE10hipError_tPvRmT1_T2_T3_mmT4_T5_P12ihipStream_tbEUlRKxE_EESL_SP_SQ_mSR_SU_bEUlT_E_NS1_11comp_targetILNS1_3genE4ELNS1_11target_archE910ELNS1_3gpuE8ELNS1_3repE0EEENS1_30default_config_static_selectorELNS0_4arch9wavefront6targetE1EEEvSO_,@function
_ZN7rocprim17ROCPRIM_400000_NS6detail17trampoline_kernelINS0_14default_configENS1_27upper_bound_config_selectorIxlEEZNS1_14transform_implILb0ES3_S5_N6thrust23THRUST_200600_302600_NS17counting_iteratorIxNS8_11use_defaultESA_SA_EEPlZNS1_13binary_searchIS3_S5_PxSB_SC_NS1_21upper_bound_search_opENS8_6detail16wrapped_functionINS0_4lessIvEEbEEEE10hipError_tPvRmT1_T2_T3_mmT4_T5_P12ihipStream_tbEUlRKxE_EESL_SP_SQ_mSR_SU_bEUlT_E_NS1_11comp_targetILNS1_3genE4ELNS1_11target_archE910ELNS1_3gpuE8ELNS1_3repE0EEENS1_30default_config_static_selectorELNS0_4arch9wavefront6targetE1EEEvSO_: ; @_ZN7rocprim17ROCPRIM_400000_NS6detail17trampoline_kernelINS0_14default_configENS1_27upper_bound_config_selectorIxlEEZNS1_14transform_implILb0ES3_S5_N6thrust23THRUST_200600_302600_NS17counting_iteratorIxNS8_11use_defaultESA_SA_EEPlZNS1_13binary_searchIS3_S5_PxSB_SC_NS1_21upper_bound_search_opENS8_6detail16wrapped_functionINS0_4lessIvEEbEEEE10hipError_tPvRmT1_T2_T3_mmT4_T5_P12ihipStream_tbEUlRKxE_EESL_SP_SQ_mSR_SU_bEUlT_E_NS1_11comp_targetILNS1_3genE4ELNS1_11target_archE910ELNS1_3gpuE8ELNS1_3repE0EEENS1_30default_config_static_selectorELNS0_4arch9wavefront6targetE1EEEvSO_
; %bb.0:
	s_load_dwordx4 s[0:3], s[4:5], 0x0
	s_load_dwordx2 s[12:13], s[4:5], 0x28
	s_load_dword s7, s[4:5], 0x38
	s_load_dwordx4 s[8:11], s[4:5], 0x18
	s_waitcnt lgkmcnt(0)
	s_add_u32 s16, s2, s0
	s_addc_u32 s17, s3, s1
	s_lshl_b32 s0, s6, 6
	s_add_i32 s7, s7, -1
	s_cmp_lg_u32 s6, s7
	s_mov_b32 s1, 0
	s_cbranch_scc0 .LBB141_6
; %bb.1:
	v_mov_b32_e32 v1, 0
	s_mov_b64 s[14:15], 0
	s_cmp_eq_u64 s[12:13], 0
	v_pk_mov_b32 v[2:3], 0, 0
	s_cbranch_scc1 .LBB141_5
; %bb.2:
	s_add_u32 s6, s16, s0
	s_addc_u32 s7, s17, 0
	v_mov_b32_e32 v2, s7
	v_add_co_u32_e32 v4, vcc, s6, v0
	v_addc_co_u32_e32 v5, vcc, 0, v2, vcc
	s_mov_b64 s[6:7], 0
	v_pk_mov_b32 v[2:3], 0, 0
	v_pk_mov_b32 v[6:7], s[12:13], s[12:13] op_sel:[0,1]
	v_mov_b32_e32 v8, s11
.LBB141_3:                              ; =>This Inner Loop Header: Depth=1
	v_sub_co_u32_e32 v10, vcc, v6, v2
	v_subb_co_u32_e32 v11, vcc, v7, v3, vcc
	v_lshrrev_b64 v[12:13], 1, v[10:11]
	v_add_co_u32_e32 v9, vcc, v12, v2
	v_lshrrev_b64 v[10:11], 6, v[10:11]
	v_addc_co_u32_e32 v12, vcc, v13, v3, vcc
	v_add_co_u32_e32 v10, vcc, v9, v10
	v_addc_co_u32_e32 v11, vcc, v12, v11, vcc
	v_lshlrev_b64 v[12:13], 3, v[10:11]
	v_add_co_u32_e32 v12, vcc, s10, v12
	v_addc_co_u32_e32 v13, vcc, v8, v13, vcc
	global_load_dwordx2 v[12:13], v[12:13], off
	v_add_co_u32_e32 v9, vcc, 1, v10
	v_addc_co_u32_e32 v14, vcc, 0, v11, vcc
	s_waitcnt vmcnt(0)
	v_cmp_gt_i64_e32 vcc, v[12:13], v[4:5]
	v_cndmask_b32_e32 v7, v7, v11, vcc
	v_cndmask_b32_e32 v6, v6, v10, vcc
	;; [unrolled: 1-line block ×4, first 2 shown]
	v_cmp_ge_u64_e32 vcc, v[2:3], v[6:7]
	s_or_b64 s[6:7], vcc, s[6:7]
	s_andn2_b64 exec, exec, s[6:7]
	s_cbranch_execnz .LBB141_3
; %bb.4:
	s_or_b64 exec, exec, s[6:7]
.LBB141_5:
	s_mov_b64 s[6:7], -1
	s_andn2_b64 vcc, exec, s[14:15]
	s_cbranch_vccz .LBB141_7
	s_branch .LBB141_13
.LBB141_6:
	s_mov_b64 s[6:7], 0
                                        ; implicit-def: $vgpr2_vgpr3
.LBB141_7:
	s_load_dword s4, s[4:5], 0x10
	v_mov_b32_e32 v1, 0
                                        ; implicit-def: $vgpr2_vgpr3
	s_waitcnt lgkmcnt(0)
	s_sub_i32 s4, s4, s0
	v_cmp_gt_u32_e64 s[6:7], s4, v0
	s_and_saveexec_b64 s[4:5], s[6:7]
	s_cbranch_execz .LBB141_12
; %bb.8:
	s_mov_b64 s[14:15], 0
	s_cmp_eq_u64 s[12:13], 0
	v_pk_mov_b32 v[2:3], 0, 0
	s_cbranch_scc1 .LBB141_12
; %bb.9:
	s_add_u32 s16, s16, s0
	s_addc_u32 s17, s17, 0
	v_mov_b32_e32 v2, s17
	v_add_co_u32_e32 v4, vcc, s16, v0
	v_addc_co_u32_e32 v5, vcc, 0, v2, vcc
	v_pk_mov_b32 v[2:3], 0, 0
	v_pk_mov_b32 v[6:7], s[12:13], s[12:13] op_sel:[0,1]
	v_mov_b32_e32 v8, s11
.LBB141_10:                             ; =>This Inner Loop Header: Depth=1
	v_sub_co_u32_e32 v10, vcc, v6, v2
	v_subb_co_u32_e32 v11, vcc, v7, v3, vcc
	v_lshrrev_b64 v[12:13], 1, v[10:11]
	v_add_co_u32_e32 v9, vcc, v12, v2
	v_lshrrev_b64 v[10:11], 6, v[10:11]
	v_addc_co_u32_e32 v12, vcc, v13, v3, vcc
	v_add_co_u32_e32 v10, vcc, v9, v10
	v_addc_co_u32_e32 v11, vcc, v12, v11, vcc
	v_lshlrev_b64 v[12:13], 3, v[10:11]
	v_add_co_u32_e32 v12, vcc, s10, v12
	v_addc_co_u32_e32 v13, vcc, v8, v13, vcc
	global_load_dwordx2 v[12:13], v[12:13], off
	v_add_co_u32_e32 v9, vcc, 1, v10
	v_addc_co_u32_e32 v14, vcc, 0, v11, vcc
	s_waitcnt vmcnt(0)
	v_cmp_gt_i64_e32 vcc, v[12:13], v[4:5]
	v_cndmask_b32_e32 v7, v7, v11, vcc
	v_cndmask_b32_e32 v6, v6, v10, vcc
	;; [unrolled: 1-line block ×4, first 2 shown]
	v_cmp_ge_u64_e32 vcc, v[2:3], v[6:7]
	s_or_b64 s[14:15], vcc, s[14:15]
	s_andn2_b64 exec, exec, s[14:15]
	s_cbranch_execnz .LBB141_10
; %bb.11:
	s_or_b64 exec, exec, s[14:15]
.LBB141_12:
	s_or_b64 exec, exec, s[4:5]
.LBB141_13:
	s_and_saveexec_b64 s[4:5], s[6:7]
	s_cbranch_execnz .LBB141_15
; %bb.14:
	s_endpgm
.LBB141_15:
	s_lshl_b64 s[2:3], s[2:3], 3
	s_add_u32 s2, s8, s2
	s_addc_u32 s3, s9, s3
	s_lshl_b64 s[0:1], s[0:1], 3
	s_add_u32 s0, s2, s0
	s_addc_u32 s1, s3, s1
	v_lshlrev_b64 v[0:1], 3, v[0:1]
	v_mov_b32_e32 v4, s1
	v_add_co_u32_e32 v0, vcc, s0, v0
	v_addc_co_u32_e32 v1, vcc, v4, v1, vcc
	global_store_dwordx2 v[0:1], v[2:3], off
	s_endpgm
	.section	.rodata,"a",@progbits
	.p2align	6, 0x0
	.amdhsa_kernel _ZN7rocprim17ROCPRIM_400000_NS6detail17trampoline_kernelINS0_14default_configENS1_27upper_bound_config_selectorIxlEEZNS1_14transform_implILb0ES3_S5_N6thrust23THRUST_200600_302600_NS17counting_iteratorIxNS8_11use_defaultESA_SA_EEPlZNS1_13binary_searchIS3_S5_PxSB_SC_NS1_21upper_bound_search_opENS8_6detail16wrapped_functionINS0_4lessIvEEbEEEE10hipError_tPvRmT1_T2_T3_mmT4_T5_P12ihipStream_tbEUlRKxE_EESL_SP_SQ_mSR_SU_bEUlT_E_NS1_11comp_targetILNS1_3genE4ELNS1_11target_archE910ELNS1_3gpuE8ELNS1_3repE0EEENS1_30default_config_static_selectorELNS0_4arch9wavefront6targetE1EEEvSO_
		.amdhsa_group_segment_fixed_size 0
		.amdhsa_private_segment_fixed_size 0
		.amdhsa_kernarg_size 312
		.amdhsa_user_sgpr_count 6
		.amdhsa_user_sgpr_private_segment_buffer 1
		.amdhsa_user_sgpr_dispatch_ptr 0
		.amdhsa_user_sgpr_queue_ptr 0
		.amdhsa_user_sgpr_kernarg_segment_ptr 1
		.amdhsa_user_sgpr_dispatch_id 0
		.amdhsa_user_sgpr_flat_scratch_init 0
		.amdhsa_user_sgpr_kernarg_preload_length 0
		.amdhsa_user_sgpr_kernarg_preload_offset 0
		.amdhsa_user_sgpr_private_segment_size 0
		.amdhsa_uses_dynamic_stack 0
		.amdhsa_system_sgpr_private_segment_wavefront_offset 0
		.amdhsa_system_sgpr_workgroup_id_x 1
		.amdhsa_system_sgpr_workgroup_id_y 0
		.amdhsa_system_sgpr_workgroup_id_z 0
		.amdhsa_system_sgpr_workgroup_info 0
		.amdhsa_system_vgpr_workitem_id 0
		.amdhsa_next_free_vgpr 15
		.amdhsa_next_free_sgpr 18
		.amdhsa_accum_offset 16
		.amdhsa_reserve_vcc 1
		.amdhsa_reserve_flat_scratch 0
		.amdhsa_float_round_mode_32 0
		.amdhsa_float_round_mode_16_64 0
		.amdhsa_float_denorm_mode_32 3
		.amdhsa_float_denorm_mode_16_64 3
		.amdhsa_dx10_clamp 1
		.amdhsa_ieee_mode 1
		.amdhsa_fp16_overflow 0
		.amdhsa_tg_split 0
		.amdhsa_exception_fp_ieee_invalid_op 0
		.amdhsa_exception_fp_denorm_src 0
		.amdhsa_exception_fp_ieee_div_zero 0
		.amdhsa_exception_fp_ieee_overflow 0
		.amdhsa_exception_fp_ieee_underflow 0
		.amdhsa_exception_fp_ieee_inexact 0
		.amdhsa_exception_int_div_zero 0
	.end_amdhsa_kernel
	.section	.text._ZN7rocprim17ROCPRIM_400000_NS6detail17trampoline_kernelINS0_14default_configENS1_27upper_bound_config_selectorIxlEEZNS1_14transform_implILb0ES3_S5_N6thrust23THRUST_200600_302600_NS17counting_iteratorIxNS8_11use_defaultESA_SA_EEPlZNS1_13binary_searchIS3_S5_PxSB_SC_NS1_21upper_bound_search_opENS8_6detail16wrapped_functionINS0_4lessIvEEbEEEE10hipError_tPvRmT1_T2_T3_mmT4_T5_P12ihipStream_tbEUlRKxE_EESL_SP_SQ_mSR_SU_bEUlT_E_NS1_11comp_targetILNS1_3genE4ELNS1_11target_archE910ELNS1_3gpuE8ELNS1_3repE0EEENS1_30default_config_static_selectorELNS0_4arch9wavefront6targetE1EEEvSO_,"axG",@progbits,_ZN7rocprim17ROCPRIM_400000_NS6detail17trampoline_kernelINS0_14default_configENS1_27upper_bound_config_selectorIxlEEZNS1_14transform_implILb0ES3_S5_N6thrust23THRUST_200600_302600_NS17counting_iteratorIxNS8_11use_defaultESA_SA_EEPlZNS1_13binary_searchIS3_S5_PxSB_SC_NS1_21upper_bound_search_opENS8_6detail16wrapped_functionINS0_4lessIvEEbEEEE10hipError_tPvRmT1_T2_T3_mmT4_T5_P12ihipStream_tbEUlRKxE_EESL_SP_SQ_mSR_SU_bEUlT_E_NS1_11comp_targetILNS1_3genE4ELNS1_11target_archE910ELNS1_3gpuE8ELNS1_3repE0EEENS1_30default_config_static_selectorELNS0_4arch9wavefront6targetE1EEEvSO_,comdat
.Lfunc_end141:
	.size	_ZN7rocprim17ROCPRIM_400000_NS6detail17trampoline_kernelINS0_14default_configENS1_27upper_bound_config_selectorIxlEEZNS1_14transform_implILb0ES3_S5_N6thrust23THRUST_200600_302600_NS17counting_iteratorIxNS8_11use_defaultESA_SA_EEPlZNS1_13binary_searchIS3_S5_PxSB_SC_NS1_21upper_bound_search_opENS8_6detail16wrapped_functionINS0_4lessIvEEbEEEE10hipError_tPvRmT1_T2_T3_mmT4_T5_P12ihipStream_tbEUlRKxE_EESL_SP_SQ_mSR_SU_bEUlT_E_NS1_11comp_targetILNS1_3genE4ELNS1_11target_archE910ELNS1_3gpuE8ELNS1_3repE0EEENS1_30default_config_static_selectorELNS0_4arch9wavefront6targetE1EEEvSO_, .Lfunc_end141-_ZN7rocprim17ROCPRIM_400000_NS6detail17trampoline_kernelINS0_14default_configENS1_27upper_bound_config_selectorIxlEEZNS1_14transform_implILb0ES3_S5_N6thrust23THRUST_200600_302600_NS17counting_iteratorIxNS8_11use_defaultESA_SA_EEPlZNS1_13binary_searchIS3_S5_PxSB_SC_NS1_21upper_bound_search_opENS8_6detail16wrapped_functionINS0_4lessIvEEbEEEE10hipError_tPvRmT1_T2_T3_mmT4_T5_P12ihipStream_tbEUlRKxE_EESL_SP_SQ_mSR_SU_bEUlT_E_NS1_11comp_targetILNS1_3genE4ELNS1_11target_archE910ELNS1_3gpuE8ELNS1_3repE0EEENS1_30default_config_static_selectorELNS0_4arch9wavefront6targetE1EEEvSO_
                                        ; -- End function
	.section	.AMDGPU.csdata,"",@progbits
; Kernel info:
; codeLenInByte = 552
; NumSgprs: 22
; NumVgprs: 15
; NumAgprs: 0
; TotalNumVgprs: 15
; ScratchSize: 0
; MemoryBound: 0
; FloatMode: 240
; IeeeMode: 1
; LDSByteSize: 0 bytes/workgroup (compile time only)
; SGPRBlocks: 2
; VGPRBlocks: 1
; NumSGPRsForWavesPerEU: 22
; NumVGPRsForWavesPerEU: 15
; AccumOffset: 16
; Occupancy: 8
; WaveLimiterHint : 0
; COMPUTE_PGM_RSRC2:SCRATCH_EN: 0
; COMPUTE_PGM_RSRC2:USER_SGPR: 6
; COMPUTE_PGM_RSRC2:TRAP_HANDLER: 0
; COMPUTE_PGM_RSRC2:TGID_X_EN: 1
; COMPUTE_PGM_RSRC2:TGID_Y_EN: 0
; COMPUTE_PGM_RSRC2:TGID_Z_EN: 0
; COMPUTE_PGM_RSRC2:TIDIG_COMP_CNT: 0
; COMPUTE_PGM_RSRC3_GFX90A:ACCUM_OFFSET: 3
; COMPUTE_PGM_RSRC3_GFX90A:TG_SPLIT: 0
	.section	.text._ZN7rocprim17ROCPRIM_400000_NS6detail17trampoline_kernelINS0_14default_configENS1_27upper_bound_config_selectorIxlEEZNS1_14transform_implILb0ES3_S5_N6thrust23THRUST_200600_302600_NS17counting_iteratorIxNS8_11use_defaultESA_SA_EEPlZNS1_13binary_searchIS3_S5_PxSB_SC_NS1_21upper_bound_search_opENS8_6detail16wrapped_functionINS0_4lessIvEEbEEEE10hipError_tPvRmT1_T2_T3_mmT4_T5_P12ihipStream_tbEUlRKxE_EESL_SP_SQ_mSR_SU_bEUlT_E_NS1_11comp_targetILNS1_3genE3ELNS1_11target_archE908ELNS1_3gpuE7ELNS1_3repE0EEENS1_30default_config_static_selectorELNS0_4arch9wavefront6targetE1EEEvSO_,"axG",@progbits,_ZN7rocprim17ROCPRIM_400000_NS6detail17trampoline_kernelINS0_14default_configENS1_27upper_bound_config_selectorIxlEEZNS1_14transform_implILb0ES3_S5_N6thrust23THRUST_200600_302600_NS17counting_iteratorIxNS8_11use_defaultESA_SA_EEPlZNS1_13binary_searchIS3_S5_PxSB_SC_NS1_21upper_bound_search_opENS8_6detail16wrapped_functionINS0_4lessIvEEbEEEE10hipError_tPvRmT1_T2_T3_mmT4_T5_P12ihipStream_tbEUlRKxE_EESL_SP_SQ_mSR_SU_bEUlT_E_NS1_11comp_targetILNS1_3genE3ELNS1_11target_archE908ELNS1_3gpuE7ELNS1_3repE0EEENS1_30default_config_static_selectorELNS0_4arch9wavefront6targetE1EEEvSO_,comdat
	.protected	_ZN7rocprim17ROCPRIM_400000_NS6detail17trampoline_kernelINS0_14default_configENS1_27upper_bound_config_selectorIxlEEZNS1_14transform_implILb0ES3_S5_N6thrust23THRUST_200600_302600_NS17counting_iteratorIxNS8_11use_defaultESA_SA_EEPlZNS1_13binary_searchIS3_S5_PxSB_SC_NS1_21upper_bound_search_opENS8_6detail16wrapped_functionINS0_4lessIvEEbEEEE10hipError_tPvRmT1_T2_T3_mmT4_T5_P12ihipStream_tbEUlRKxE_EESL_SP_SQ_mSR_SU_bEUlT_E_NS1_11comp_targetILNS1_3genE3ELNS1_11target_archE908ELNS1_3gpuE7ELNS1_3repE0EEENS1_30default_config_static_selectorELNS0_4arch9wavefront6targetE1EEEvSO_ ; -- Begin function _ZN7rocprim17ROCPRIM_400000_NS6detail17trampoline_kernelINS0_14default_configENS1_27upper_bound_config_selectorIxlEEZNS1_14transform_implILb0ES3_S5_N6thrust23THRUST_200600_302600_NS17counting_iteratorIxNS8_11use_defaultESA_SA_EEPlZNS1_13binary_searchIS3_S5_PxSB_SC_NS1_21upper_bound_search_opENS8_6detail16wrapped_functionINS0_4lessIvEEbEEEE10hipError_tPvRmT1_T2_T3_mmT4_T5_P12ihipStream_tbEUlRKxE_EESL_SP_SQ_mSR_SU_bEUlT_E_NS1_11comp_targetILNS1_3genE3ELNS1_11target_archE908ELNS1_3gpuE7ELNS1_3repE0EEENS1_30default_config_static_selectorELNS0_4arch9wavefront6targetE1EEEvSO_
	.globl	_ZN7rocprim17ROCPRIM_400000_NS6detail17trampoline_kernelINS0_14default_configENS1_27upper_bound_config_selectorIxlEEZNS1_14transform_implILb0ES3_S5_N6thrust23THRUST_200600_302600_NS17counting_iteratorIxNS8_11use_defaultESA_SA_EEPlZNS1_13binary_searchIS3_S5_PxSB_SC_NS1_21upper_bound_search_opENS8_6detail16wrapped_functionINS0_4lessIvEEbEEEE10hipError_tPvRmT1_T2_T3_mmT4_T5_P12ihipStream_tbEUlRKxE_EESL_SP_SQ_mSR_SU_bEUlT_E_NS1_11comp_targetILNS1_3genE3ELNS1_11target_archE908ELNS1_3gpuE7ELNS1_3repE0EEENS1_30default_config_static_selectorELNS0_4arch9wavefront6targetE1EEEvSO_
	.p2align	8
	.type	_ZN7rocprim17ROCPRIM_400000_NS6detail17trampoline_kernelINS0_14default_configENS1_27upper_bound_config_selectorIxlEEZNS1_14transform_implILb0ES3_S5_N6thrust23THRUST_200600_302600_NS17counting_iteratorIxNS8_11use_defaultESA_SA_EEPlZNS1_13binary_searchIS3_S5_PxSB_SC_NS1_21upper_bound_search_opENS8_6detail16wrapped_functionINS0_4lessIvEEbEEEE10hipError_tPvRmT1_T2_T3_mmT4_T5_P12ihipStream_tbEUlRKxE_EESL_SP_SQ_mSR_SU_bEUlT_E_NS1_11comp_targetILNS1_3genE3ELNS1_11target_archE908ELNS1_3gpuE7ELNS1_3repE0EEENS1_30default_config_static_selectorELNS0_4arch9wavefront6targetE1EEEvSO_,@function
_ZN7rocprim17ROCPRIM_400000_NS6detail17trampoline_kernelINS0_14default_configENS1_27upper_bound_config_selectorIxlEEZNS1_14transform_implILb0ES3_S5_N6thrust23THRUST_200600_302600_NS17counting_iteratorIxNS8_11use_defaultESA_SA_EEPlZNS1_13binary_searchIS3_S5_PxSB_SC_NS1_21upper_bound_search_opENS8_6detail16wrapped_functionINS0_4lessIvEEbEEEE10hipError_tPvRmT1_T2_T3_mmT4_T5_P12ihipStream_tbEUlRKxE_EESL_SP_SQ_mSR_SU_bEUlT_E_NS1_11comp_targetILNS1_3genE3ELNS1_11target_archE908ELNS1_3gpuE7ELNS1_3repE0EEENS1_30default_config_static_selectorELNS0_4arch9wavefront6targetE1EEEvSO_: ; @_ZN7rocprim17ROCPRIM_400000_NS6detail17trampoline_kernelINS0_14default_configENS1_27upper_bound_config_selectorIxlEEZNS1_14transform_implILb0ES3_S5_N6thrust23THRUST_200600_302600_NS17counting_iteratorIxNS8_11use_defaultESA_SA_EEPlZNS1_13binary_searchIS3_S5_PxSB_SC_NS1_21upper_bound_search_opENS8_6detail16wrapped_functionINS0_4lessIvEEbEEEE10hipError_tPvRmT1_T2_T3_mmT4_T5_P12ihipStream_tbEUlRKxE_EESL_SP_SQ_mSR_SU_bEUlT_E_NS1_11comp_targetILNS1_3genE3ELNS1_11target_archE908ELNS1_3gpuE7ELNS1_3repE0EEENS1_30default_config_static_selectorELNS0_4arch9wavefront6targetE1EEEvSO_
; %bb.0:
	.section	.rodata,"a",@progbits
	.p2align	6, 0x0
	.amdhsa_kernel _ZN7rocprim17ROCPRIM_400000_NS6detail17trampoline_kernelINS0_14default_configENS1_27upper_bound_config_selectorIxlEEZNS1_14transform_implILb0ES3_S5_N6thrust23THRUST_200600_302600_NS17counting_iteratorIxNS8_11use_defaultESA_SA_EEPlZNS1_13binary_searchIS3_S5_PxSB_SC_NS1_21upper_bound_search_opENS8_6detail16wrapped_functionINS0_4lessIvEEbEEEE10hipError_tPvRmT1_T2_T3_mmT4_T5_P12ihipStream_tbEUlRKxE_EESL_SP_SQ_mSR_SU_bEUlT_E_NS1_11comp_targetILNS1_3genE3ELNS1_11target_archE908ELNS1_3gpuE7ELNS1_3repE0EEENS1_30default_config_static_selectorELNS0_4arch9wavefront6targetE1EEEvSO_
		.amdhsa_group_segment_fixed_size 0
		.amdhsa_private_segment_fixed_size 0
		.amdhsa_kernarg_size 56
		.amdhsa_user_sgpr_count 6
		.amdhsa_user_sgpr_private_segment_buffer 1
		.amdhsa_user_sgpr_dispatch_ptr 0
		.amdhsa_user_sgpr_queue_ptr 0
		.amdhsa_user_sgpr_kernarg_segment_ptr 1
		.amdhsa_user_sgpr_dispatch_id 0
		.amdhsa_user_sgpr_flat_scratch_init 0
		.amdhsa_user_sgpr_kernarg_preload_length 0
		.amdhsa_user_sgpr_kernarg_preload_offset 0
		.amdhsa_user_sgpr_private_segment_size 0
		.amdhsa_uses_dynamic_stack 0
		.amdhsa_system_sgpr_private_segment_wavefront_offset 0
		.amdhsa_system_sgpr_workgroup_id_x 1
		.amdhsa_system_sgpr_workgroup_id_y 0
		.amdhsa_system_sgpr_workgroup_id_z 0
		.amdhsa_system_sgpr_workgroup_info 0
		.amdhsa_system_vgpr_workitem_id 0
		.amdhsa_next_free_vgpr 1
		.amdhsa_next_free_sgpr 0
		.amdhsa_accum_offset 4
		.amdhsa_reserve_vcc 0
		.amdhsa_reserve_flat_scratch 0
		.amdhsa_float_round_mode_32 0
		.amdhsa_float_round_mode_16_64 0
		.amdhsa_float_denorm_mode_32 3
		.amdhsa_float_denorm_mode_16_64 3
		.amdhsa_dx10_clamp 1
		.amdhsa_ieee_mode 1
		.amdhsa_fp16_overflow 0
		.amdhsa_tg_split 0
		.amdhsa_exception_fp_ieee_invalid_op 0
		.amdhsa_exception_fp_denorm_src 0
		.amdhsa_exception_fp_ieee_div_zero 0
		.amdhsa_exception_fp_ieee_overflow 0
		.amdhsa_exception_fp_ieee_underflow 0
		.amdhsa_exception_fp_ieee_inexact 0
		.amdhsa_exception_int_div_zero 0
	.end_amdhsa_kernel
	.section	.text._ZN7rocprim17ROCPRIM_400000_NS6detail17trampoline_kernelINS0_14default_configENS1_27upper_bound_config_selectorIxlEEZNS1_14transform_implILb0ES3_S5_N6thrust23THRUST_200600_302600_NS17counting_iteratorIxNS8_11use_defaultESA_SA_EEPlZNS1_13binary_searchIS3_S5_PxSB_SC_NS1_21upper_bound_search_opENS8_6detail16wrapped_functionINS0_4lessIvEEbEEEE10hipError_tPvRmT1_T2_T3_mmT4_T5_P12ihipStream_tbEUlRKxE_EESL_SP_SQ_mSR_SU_bEUlT_E_NS1_11comp_targetILNS1_3genE3ELNS1_11target_archE908ELNS1_3gpuE7ELNS1_3repE0EEENS1_30default_config_static_selectorELNS0_4arch9wavefront6targetE1EEEvSO_,"axG",@progbits,_ZN7rocprim17ROCPRIM_400000_NS6detail17trampoline_kernelINS0_14default_configENS1_27upper_bound_config_selectorIxlEEZNS1_14transform_implILb0ES3_S5_N6thrust23THRUST_200600_302600_NS17counting_iteratorIxNS8_11use_defaultESA_SA_EEPlZNS1_13binary_searchIS3_S5_PxSB_SC_NS1_21upper_bound_search_opENS8_6detail16wrapped_functionINS0_4lessIvEEbEEEE10hipError_tPvRmT1_T2_T3_mmT4_T5_P12ihipStream_tbEUlRKxE_EESL_SP_SQ_mSR_SU_bEUlT_E_NS1_11comp_targetILNS1_3genE3ELNS1_11target_archE908ELNS1_3gpuE7ELNS1_3repE0EEENS1_30default_config_static_selectorELNS0_4arch9wavefront6targetE1EEEvSO_,comdat
.Lfunc_end142:
	.size	_ZN7rocprim17ROCPRIM_400000_NS6detail17trampoline_kernelINS0_14default_configENS1_27upper_bound_config_selectorIxlEEZNS1_14transform_implILb0ES3_S5_N6thrust23THRUST_200600_302600_NS17counting_iteratorIxNS8_11use_defaultESA_SA_EEPlZNS1_13binary_searchIS3_S5_PxSB_SC_NS1_21upper_bound_search_opENS8_6detail16wrapped_functionINS0_4lessIvEEbEEEE10hipError_tPvRmT1_T2_T3_mmT4_T5_P12ihipStream_tbEUlRKxE_EESL_SP_SQ_mSR_SU_bEUlT_E_NS1_11comp_targetILNS1_3genE3ELNS1_11target_archE908ELNS1_3gpuE7ELNS1_3repE0EEENS1_30default_config_static_selectorELNS0_4arch9wavefront6targetE1EEEvSO_, .Lfunc_end142-_ZN7rocprim17ROCPRIM_400000_NS6detail17trampoline_kernelINS0_14default_configENS1_27upper_bound_config_selectorIxlEEZNS1_14transform_implILb0ES3_S5_N6thrust23THRUST_200600_302600_NS17counting_iteratorIxNS8_11use_defaultESA_SA_EEPlZNS1_13binary_searchIS3_S5_PxSB_SC_NS1_21upper_bound_search_opENS8_6detail16wrapped_functionINS0_4lessIvEEbEEEE10hipError_tPvRmT1_T2_T3_mmT4_T5_P12ihipStream_tbEUlRKxE_EESL_SP_SQ_mSR_SU_bEUlT_E_NS1_11comp_targetILNS1_3genE3ELNS1_11target_archE908ELNS1_3gpuE7ELNS1_3repE0EEENS1_30default_config_static_selectorELNS0_4arch9wavefront6targetE1EEEvSO_
                                        ; -- End function
	.section	.AMDGPU.csdata,"",@progbits
; Kernel info:
; codeLenInByte = 0
; NumSgprs: 4
; NumVgprs: 0
; NumAgprs: 0
; TotalNumVgprs: 0
; ScratchSize: 0
; MemoryBound: 0
; FloatMode: 240
; IeeeMode: 1
; LDSByteSize: 0 bytes/workgroup (compile time only)
; SGPRBlocks: 0
; VGPRBlocks: 0
; NumSGPRsForWavesPerEU: 4
; NumVGPRsForWavesPerEU: 1
; AccumOffset: 4
; Occupancy: 8
; WaveLimiterHint : 0
; COMPUTE_PGM_RSRC2:SCRATCH_EN: 0
; COMPUTE_PGM_RSRC2:USER_SGPR: 6
; COMPUTE_PGM_RSRC2:TRAP_HANDLER: 0
; COMPUTE_PGM_RSRC2:TGID_X_EN: 1
; COMPUTE_PGM_RSRC2:TGID_Y_EN: 0
; COMPUTE_PGM_RSRC2:TGID_Z_EN: 0
; COMPUTE_PGM_RSRC2:TIDIG_COMP_CNT: 0
; COMPUTE_PGM_RSRC3_GFX90A:ACCUM_OFFSET: 0
; COMPUTE_PGM_RSRC3_GFX90A:TG_SPLIT: 0
	.section	.text._ZN7rocprim17ROCPRIM_400000_NS6detail17trampoline_kernelINS0_14default_configENS1_27upper_bound_config_selectorIxlEEZNS1_14transform_implILb0ES3_S5_N6thrust23THRUST_200600_302600_NS17counting_iteratorIxNS8_11use_defaultESA_SA_EEPlZNS1_13binary_searchIS3_S5_PxSB_SC_NS1_21upper_bound_search_opENS8_6detail16wrapped_functionINS0_4lessIvEEbEEEE10hipError_tPvRmT1_T2_T3_mmT4_T5_P12ihipStream_tbEUlRKxE_EESL_SP_SQ_mSR_SU_bEUlT_E_NS1_11comp_targetILNS1_3genE2ELNS1_11target_archE906ELNS1_3gpuE6ELNS1_3repE0EEENS1_30default_config_static_selectorELNS0_4arch9wavefront6targetE1EEEvSO_,"axG",@progbits,_ZN7rocprim17ROCPRIM_400000_NS6detail17trampoline_kernelINS0_14default_configENS1_27upper_bound_config_selectorIxlEEZNS1_14transform_implILb0ES3_S5_N6thrust23THRUST_200600_302600_NS17counting_iteratorIxNS8_11use_defaultESA_SA_EEPlZNS1_13binary_searchIS3_S5_PxSB_SC_NS1_21upper_bound_search_opENS8_6detail16wrapped_functionINS0_4lessIvEEbEEEE10hipError_tPvRmT1_T2_T3_mmT4_T5_P12ihipStream_tbEUlRKxE_EESL_SP_SQ_mSR_SU_bEUlT_E_NS1_11comp_targetILNS1_3genE2ELNS1_11target_archE906ELNS1_3gpuE6ELNS1_3repE0EEENS1_30default_config_static_selectorELNS0_4arch9wavefront6targetE1EEEvSO_,comdat
	.protected	_ZN7rocprim17ROCPRIM_400000_NS6detail17trampoline_kernelINS0_14default_configENS1_27upper_bound_config_selectorIxlEEZNS1_14transform_implILb0ES3_S5_N6thrust23THRUST_200600_302600_NS17counting_iteratorIxNS8_11use_defaultESA_SA_EEPlZNS1_13binary_searchIS3_S5_PxSB_SC_NS1_21upper_bound_search_opENS8_6detail16wrapped_functionINS0_4lessIvEEbEEEE10hipError_tPvRmT1_T2_T3_mmT4_T5_P12ihipStream_tbEUlRKxE_EESL_SP_SQ_mSR_SU_bEUlT_E_NS1_11comp_targetILNS1_3genE2ELNS1_11target_archE906ELNS1_3gpuE6ELNS1_3repE0EEENS1_30default_config_static_selectorELNS0_4arch9wavefront6targetE1EEEvSO_ ; -- Begin function _ZN7rocprim17ROCPRIM_400000_NS6detail17trampoline_kernelINS0_14default_configENS1_27upper_bound_config_selectorIxlEEZNS1_14transform_implILb0ES3_S5_N6thrust23THRUST_200600_302600_NS17counting_iteratorIxNS8_11use_defaultESA_SA_EEPlZNS1_13binary_searchIS3_S5_PxSB_SC_NS1_21upper_bound_search_opENS8_6detail16wrapped_functionINS0_4lessIvEEbEEEE10hipError_tPvRmT1_T2_T3_mmT4_T5_P12ihipStream_tbEUlRKxE_EESL_SP_SQ_mSR_SU_bEUlT_E_NS1_11comp_targetILNS1_3genE2ELNS1_11target_archE906ELNS1_3gpuE6ELNS1_3repE0EEENS1_30default_config_static_selectorELNS0_4arch9wavefront6targetE1EEEvSO_
	.globl	_ZN7rocprim17ROCPRIM_400000_NS6detail17trampoline_kernelINS0_14default_configENS1_27upper_bound_config_selectorIxlEEZNS1_14transform_implILb0ES3_S5_N6thrust23THRUST_200600_302600_NS17counting_iteratorIxNS8_11use_defaultESA_SA_EEPlZNS1_13binary_searchIS3_S5_PxSB_SC_NS1_21upper_bound_search_opENS8_6detail16wrapped_functionINS0_4lessIvEEbEEEE10hipError_tPvRmT1_T2_T3_mmT4_T5_P12ihipStream_tbEUlRKxE_EESL_SP_SQ_mSR_SU_bEUlT_E_NS1_11comp_targetILNS1_3genE2ELNS1_11target_archE906ELNS1_3gpuE6ELNS1_3repE0EEENS1_30default_config_static_selectorELNS0_4arch9wavefront6targetE1EEEvSO_
	.p2align	8
	.type	_ZN7rocprim17ROCPRIM_400000_NS6detail17trampoline_kernelINS0_14default_configENS1_27upper_bound_config_selectorIxlEEZNS1_14transform_implILb0ES3_S5_N6thrust23THRUST_200600_302600_NS17counting_iteratorIxNS8_11use_defaultESA_SA_EEPlZNS1_13binary_searchIS3_S5_PxSB_SC_NS1_21upper_bound_search_opENS8_6detail16wrapped_functionINS0_4lessIvEEbEEEE10hipError_tPvRmT1_T2_T3_mmT4_T5_P12ihipStream_tbEUlRKxE_EESL_SP_SQ_mSR_SU_bEUlT_E_NS1_11comp_targetILNS1_3genE2ELNS1_11target_archE906ELNS1_3gpuE6ELNS1_3repE0EEENS1_30default_config_static_selectorELNS0_4arch9wavefront6targetE1EEEvSO_,@function
_ZN7rocprim17ROCPRIM_400000_NS6detail17trampoline_kernelINS0_14default_configENS1_27upper_bound_config_selectorIxlEEZNS1_14transform_implILb0ES3_S5_N6thrust23THRUST_200600_302600_NS17counting_iteratorIxNS8_11use_defaultESA_SA_EEPlZNS1_13binary_searchIS3_S5_PxSB_SC_NS1_21upper_bound_search_opENS8_6detail16wrapped_functionINS0_4lessIvEEbEEEE10hipError_tPvRmT1_T2_T3_mmT4_T5_P12ihipStream_tbEUlRKxE_EESL_SP_SQ_mSR_SU_bEUlT_E_NS1_11comp_targetILNS1_3genE2ELNS1_11target_archE906ELNS1_3gpuE6ELNS1_3repE0EEENS1_30default_config_static_selectorELNS0_4arch9wavefront6targetE1EEEvSO_: ; @_ZN7rocprim17ROCPRIM_400000_NS6detail17trampoline_kernelINS0_14default_configENS1_27upper_bound_config_selectorIxlEEZNS1_14transform_implILb0ES3_S5_N6thrust23THRUST_200600_302600_NS17counting_iteratorIxNS8_11use_defaultESA_SA_EEPlZNS1_13binary_searchIS3_S5_PxSB_SC_NS1_21upper_bound_search_opENS8_6detail16wrapped_functionINS0_4lessIvEEbEEEE10hipError_tPvRmT1_T2_T3_mmT4_T5_P12ihipStream_tbEUlRKxE_EESL_SP_SQ_mSR_SU_bEUlT_E_NS1_11comp_targetILNS1_3genE2ELNS1_11target_archE906ELNS1_3gpuE6ELNS1_3repE0EEENS1_30default_config_static_selectorELNS0_4arch9wavefront6targetE1EEEvSO_
; %bb.0:
	.section	.rodata,"a",@progbits
	.p2align	6, 0x0
	.amdhsa_kernel _ZN7rocprim17ROCPRIM_400000_NS6detail17trampoline_kernelINS0_14default_configENS1_27upper_bound_config_selectorIxlEEZNS1_14transform_implILb0ES3_S5_N6thrust23THRUST_200600_302600_NS17counting_iteratorIxNS8_11use_defaultESA_SA_EEPlZNS1_13binary_searchIS3_S5_PxSB_SC_NS1_21upper_bound_search_opENS8_6detail16wrapped_functionINS0_4lessIvEEbEEEE10hipError_tPvRmT1_T2_T3_mmT4_T5_P12ihipStream_tbEUlRKxE_EESL_SP_SQ_mSR_SU_bEUlT_E_NS1_11comp_targetILNS1_3genE2ELNS1_11target_archE906ELNS1_3gpuE6ELNS1_3repE0EEENS1_30default_config_static_selectorELNS0_4arch9wavefront6targetE1EEEvSO_
		.amdhsa_group_segment_fixed_size 0
		.amdhsa_private_segment_fixed_size 0
		.amdhsa_kernarg_size 56
		.amdhsa_user_sgpr_count 6
		.amdhsa_user_sgpr_private_segment_buffer 1
		.amdhsa_user_sgpr_dispatch_ptr 0
		.amdhsa_user_sgpr_queue_ptr 0
		.amdhsa_user_sgpr_kernarg_segment_ptr 1
		.amdhsa_user_sgpr_dispatch_id 0
		.amdhsa_user_sgpr_flat_scratch_init 0
		.amdhsa_user_sgpr_kernarg_preload_length 0
		.amdhsa_user_sgpr_kernarg_preload_offset 0
		.amdhsa_user_sgpr_private_segment_size 0
		.amdhsa_uses_dynamic_stack 0
		.amdhsa_system_sgpr_private_segment_wavefront_offset 0
		.amdhsa_system_sgpr_workgroup_id_x 1
		.amdhsa_system_sgpr_workgroup_id_y 0
		.amdhsa_system_sgpr_workgroup_id_z 0
		.amdhsa_system_sgpr_workgroup_info 0
		.amdhsa_system_vgpr_workitem_id 0
		.amdhsa_next_free_vgpr 1
		.amdhsa_next_free_sgpr 0
		.amdhsa_accum_offset 4
		.amdhsa_reserve_vcc 0
		.amdhsa_reserve_flat_scratch 0
		.amdhsa_float_round_mode_32 0
		.amdhsa_float_round_mode_16_64 0
		.amdhsa_float_denorm_mode_32 3
		.amdhsa_float_denorm_mode_16_64 3
		.amdhsa_dx10_clamp 1
		.amdhsa_ieee_mode 1
		.amdhsa_fp16_overflow 0
		.amdhsa_tg_split 0
		.amdhsa_exception_fp_ieee_invalid_op 0
		.amdhsa_exception_fp_denorm_src 0
		.amdhsa_exception_fp_ieee_div_zero 0
		.amdhsa_exception_fp_ieee_overflow 0
		.amdhsa_exception_fp_ieee_underflow 0
		.amdhsa_exception_fp_ieee_inexact 0
		.amdhsa_exception_int_div_zero 0
	.end_amdhsa_kernel
	.section	.text._ZN7rocprim17ROCPRIM_400000_NS6detail17trampoline_kernelINS0_14default_configENS1_27upper_bound_config_selectorIxlEEZNS1_14transform_implILb0ES3_S5_N6thrust23THRUST_200600_302600_NS17counting_iteratorIxNS8_11use_defaultESA_SA_EEPlZNS1_13binary_searchIS3_S5_PxSB_SC_NS1_21upper_bound_search_opENS8_6detail16wrapped_functionINS0_4lessIvEEbEEEE10hipError_tPvRmT1_T2_T3_mmT4_T5_P12ihipStream_tbEUlRKxE_EESL_SP_SQ_mSR_SU_bEUlT_E_NS1_11comp_targetILNS1_3genE2ELNS1_11target_archE906ELNS1_3gpuE6ELNS1_3repE0EEENS1_30default_config_static_selectorELNS0_4arch9wavefront6targetE1EEEvSO_,"axG",@progbits,_ZN7rocprim17ROCPRIM_400000_NS6detail17trampoline_kernelINS0_14default_configENS1_27upper_bound_config_selectorIxlEEZNS1_14transform_implILb0ES3_S5_N6thrust23THRUST_200600_302600_NS17counting_iteratorIxNS8_11use_defaultESA_SA_EEPlZNS1_13binary_searchIS3_S5_PxSB_SC_NS1_21upper_bound_search_opENS8_6detail16wrapped_functionINS0_4lessIvEEbEEEE10hipError_tPvRmT1_T2_T3_mmT4_T5_P12ihipStream_tbEUlRKxE_EESL_SP_SQ_mSR_SU_bEUlT_E_NS1_11comp_targetILNS1_3genE2ELNS1_11target_archE906ELNS1_3gpuE6ELNS1_3repE0EEENS1_30default_config_static_selectorELNS0_4arch9wavefront6targetE1EEEvSO_,comdat
.Lfunc_end143:
	.size	_ZN7rocprim17ROCPRIM_400000_NS6detail17trampoline_kernelINS0_14default_configENS1_27upper_bound_config_selectorIxlEEZNS1_14transform_implILb0ES3_S5_N6thrust23THRUST_200600_302600_NS17counting_iteratorIxNS8_11use_defaultESA_SA_EEPlZNS1_13binary_searchIS3_S5_PxSB_SC_NS1_21upper_bound_search_opENS8_6detail16wrapped_functionINS0_4lessIvEEbEEEE10hipError_tPvRmT1_T2_T3_mmT4_T5_P12ihipStream_tbEUlRKxE_EESL_SP_SQ_mSR_SU_bEUlT_E_NS1_11comp_targetILNS1_3genE2ELNS1_11target_archE906ELNS1_3gpuE6ELNS1_3repE0EEENS1_30default_config_static_selectorELNS0_4arch9wavefront6targetE1EEEvSO_, .Lfunc_end143-_ZN7rocprim17ROCPRIM_400000_NS6detail17trampoline_kernelINS0_14default_configENS1_27upper_bound_config_selectorIxlEEZNS1_14transform_implILb0ES3_S5_N6thrust23THRUST_200600_302600_NS17counting_iteratorIxNS8_11use_defaultESA_SA_EEPlZNS1_13binary_searchIS3_S5_PxSB_SC_NS1_21upper_bound_search_opENS8_6detail16wrapped_functionINS0_4lessIvEEbEEEE10hipError_tPvRmT1_T2_T3_mmT4_T5_P12ihipStream_tbEUlRKxE_EESL_SP_SQ_mSR_SU_bEUlT_E_NS1_11comp_targetILNS1_3genE2ELNS1_11target_archE906ELNS1_3gpuE6ELNS1_3repE0EEENS1_30default_config_static_selectorELNS0_4arch9wavefront6targetE1EEEvSO_
                                        ; -- End function
	.section	.AMDGPU.csdata,"",@progbits
; Kernel info:
; codeLenInByte = 0
; NumSgprs: 4
; NumVgprs: 0
; NumAgprs: 0
; TotalNumVgprs: 0
; ScratchSize: 0
; MemoryBound: 0
; FloatMode: 240
; IeeeMode: 1
; LDSByteSize: 0 bytes/workgroup (compile time only)
; SGPRBlocks: 0
; VGPRBlocks: 0
; NumSGPRsForWavesPerEU: 4
; NumVGPRsForWavesPerEU: 1
; AccumOffset: 4
; Occupancy: 8
; WaveLimiterHint : 0
; COMPUTE_PGM_RSRC2:SCRATCH_EN: 0
; COMPUTE_PGM_RSRC2:USER_SGPR: 6
; COMPUTE_PGM_RSRC2:TRAP_HANDLER: 0
; COMPUTE_PGM_RSRC2:TGID_X_EN: 1
; COMPUTE_PGM_RSRC2:TGID_Y_EN: 0
; COMPUTE_PGM_RSRC2:TGID_Z_EN: 0
; COMPUTE_PGM_RSRC2:TIDIG_COMP_CNT: 0
; COMPUTE_PGM_RSRC3_GFX90A:ACCUM_OFFSET: 0
; COMPUTE_PGM_RSRC3_GFX90A:TG_SPLIT: 0
	.section	.text._ZN7rocprim17ROCPRIM_400000_NS6detail17trampoline_kernelINS0_14default_configENS1_27upper_bound_config_selectorIxlEEZNS1_14transform_implILb0ES3_S5_N6thrust23THRUST_200600_302600_NS17counting_iteratorIxNS8_11use_defaultESA_SA_EEPlZNS1_13binary_searchIS3_S5_PxSB_SC_NS1_21upper_bound_search_opENS8_6detail16wrapped_functionINS0_4lessIvEEbEEEE10hipError_tPvRmT1_T2_T3_mmT4_T5_P12ihipStream_tbEUlRKxE_EESL_SP_SQ_mSR_SU_bEUlT_E_NS1_11comp_targetILNS1_3genE10ELNS1_11target_archE1201ELNS1_3gpuE5ELNS1_3repE0EEENS1_30default_config_static_selectorELNS0_4arch9wavefront6targetE1EEEvSO_,"axG",@progbits,_ZN7rocprim17ROCPRIM_400000_NS6detail17trampoline_kernelINS0_14default_configENS1_27upper_bound_config_selectorIxlEEZNS1_14transform_implILb0ES3_S5_N6thrust23THRUST_200600_302600_NS17counting_iteratorIxNS8_11use_defaultESA_SA_EEPlZNS1_13binary_searchIS3_S5_PxSB_SC_NS1_21upper_bound_search_opENS8_6detail16wrapped_functionINS0_4lessIvEEbEEEE10hipError_tPvRmT1_T2_T3_mmT4_T5_P12ihipStream_tbEUlRKxE_EESL_SP_SQ_mSR_SU_bEUlT_E_NS1_11comp_targetILNS1_3genE10ELNS1_11target_archE1201ELNS1_3gpuE5ELNS1_3repE0EEENS1_30default_config_static_selectorELNS0_4arch9wavefront6targetE1EEEvSO_,comdat
	.protected	_ZN7rocprim17ROCPRIM_400000_NS6detail17trampoline_kernelINS0_14default_configENS1_27upper_bound_config_selectorIxlEEZNS1_14transform_implILb0ES3_S5_N6thrust23THRUST_200600_302600_NS17counting_iteratorIxNS8_11use_defaultESA_SA_EEPlZNS1_13binary_searchIS3_S5_PxSB_SC_NS1_21upper_bound_search_opENS8_6detail16wrapped_functionINS0_4lessIvEEbEEEE10hipError_tPvRmT1_T2_T3_mmT4_T5_P12ihipStream_tbEUlRKxE_EESL_SP_SQ_mSR_SU_bEUlT_E_NS1_11comp_targetILNS1_3genE10ELNS1_11target_archE1201ELNS1_3gpuE5ELNS1_3repE0EEENS1_30default_config_static_selectorELNS0_4arch9wavefront6targetE1EEEvSO_ ; -- Begin function _ZN7rocprim17ROCPRIM_400000_NS6detail17trampoline_kernelINS0_14default_configENS1_27upper_bound_config_selectorIxlEEZNS1_14transform_implILb0ES3_S5_N6thrust23THRUST_200600_302600_NS17counting_iteratorIxNS8_11use_defaultESA_SA_EEPlZNS1_13binary_searchIS3_S5_PxSB_SC_NS1_21upper_bound_search_opENS8_6detail16wrapped_functionINS0_4lessIvEEbEEEE10hipError_tPvRmT1_T2_T3_mmT4_T5_P12ihipStream_tbEUlRKxE_EESL_SP_SQ_mSR_SU_bEUlT_E_NS1_11comp_targetILNS1_3genE10ELNS1_11target_archE1201ELNS1_3gpuE5ELNS1_3repE0EEENS1_30default_config_static_selectorELNS0_4arch9wavefront6targetE1EEEvSO_
	.globl	_ZN7rocprim17ROCPRIM_400000_NS6detail17trampoline_kernelINS0_14default_configENS1_27upper_bound_config_selectorIxlEEZNS1_14transform_implILb0ES3_S5_N6thrust23THRUST_200600_302600_NS17counting_iteratorIxNS8_11use_defaultESA_SA_EEPlZNS1_13binary_searchIS3_S5_PxSB_SC_NS1_21upper_bound_search_opENS8_6detail16wrapped_functionINS0_4lessIvEEbEEEE10hipError_tPvRmT1_T2_T3_mmT4_T5_P12ihipStream_tbEUlRKxE_EESL_SP_SQ_mSR_SU_bEUlT_E_NS1_11comp_targetILNS1_3genE10ELNS1_11target_archE1201ELNS1_3gpuE5ELNS1_3repE0EEENS1_30default_config_static_selectorELNS0_4arch9wavefront6targetE1EEEvSO_
	.p2align	8
	.type	_ZN7rocprim17ROCPRIM_400000_NS6detail17trampoline_kernelINS0_14default_configENS1_27upper_bound_config_selectorIxlEEZNS1_14transform_implILb0ES3_S5_N6thrust23THRUST_200600_302600_NS17counting_iteratorIxNS8_11use_defaultESA_SA_EEPlZNS1_13binary_searchIS3_S5_PxSB_SC_NS1_21upper_bound_search_opENS8_6detail16wrapped_functionINS0_4lessIvEEbEEEE10hipError_tPvRmT1_T2_T3_mmT4_T5_P12ihipStream_tbEUlRKxE_EESL_SP_SQ_mSR_SU_bEUlT_E_NS1_11comp_targetILNS1_3genE10ELNS1_11target_archE1201ELNS1_3gpuE5ELNS1_3repE0EEENS1_30default_config_static_selectorELNS0_4arch9wavefront6targetE1EEEvSO_,@function
_ZN7rocprim17ROCPRIM_400000_NS6detail17trampoline_kernelINS0_14default_configENS1_27upper_bound_config_selectorIxlEEZNS1_14transform_implILb0ES3_S5_N6thrust23THRUST_200600_302600_NS17counting_iteratorIxNS8_11use_defaultESA_SA_EEPlZNS1_13binary_searchIS3_S5_PxSB_SC_NS1_21upper_bound_search_opENS8_6detail16wrapped_functionINS0_4lessIvEEbEEEE10hipError_tPvRmT1_T2_T3_mmT4_T5_P12ihipStream_tbEUlRKxE_EESL_SP_SQ_mSR_SU_bEUlT_E_NS1_11comp_targetILNS1_3genE10ELNS1_11target_archE1201ELNS1_3gpuE5ELNS1_3repE0EEENS1_30default_config_static_selectorELNS0_4arch9wavefront6targetE1EEEvSO_: ; @_ZN7rocprim17ROCPRIM_400000_NS6detail17trampoline_kernelINS0_14default_configENS1_27upper_bound_config_selectorIxlEEZNS1_14transform_implILb0ES3_S5_N6thrust23THRUST_200600_302600_NS17counting_iteratorIxNS8_11use_defaultESA_SA_EEPlZNS1_13binary_searchIS3_S5_PxSB_SC_NS1_21upper_bound_search_opENS8_6detail16wrapped_functionINS0_4lessIvEEbEEEE10hipError_tPvRmT1_T2_T3_mmT4_T5_P12ihipStream_tbEUlRKxE_EESL_SP_SQ_mSR_SU_bEUlT_E_NS1_11comp_targetILNS1_3genE10ELNS1_11target_archE1201ELNS1_3gpuE5ELNS1_3repE0EEENS1_30default_config_static_selectorELNS0_4arch9wavefront6targetE1EEEvSO_
; %bb.0:
	.section	.rodata,"a",@progbits
	.p2align	6, 0x0
	.amdhsa_kernel _ZN7rocprim17ROCPRIM_400000_NS6detail17trampoline_kernelINS0_14default_configENS1_27upper_bound_config_selectorIxlEEZNS1_14transform_implILb0ES3_S5_N6thrust23THRUST_200600_302600_NS17counting_iteratorIxNS8_11use_defaultESA_SA_EEPlZNS1_13binary_searchIS3_S5_PxSB_SC_NS1_21upper_bound_search_opENS8_6detail16wrapped_functionINS0_4lessIvEEbEEEE10hipError_tPvRmT1_T2_T3_mmT4_T5_P12ihipStream_tbEUlRKxE_EESL_SP_SQ_mSR_SU_bEUlT_E_NS1_11comp_targetILNS1_3genE10ELNS1_11target_archE1201ELNS1_3gpuE5ELNS1_3repE0EEENS1_30default_config_static_selectorELNS0_4arch9wavefront6targetE1EEEvSO_
		.amdhsa_group_segment_fixed_size 0
		.amdhsa_private_segment_fixed_size 0
		.amdhsa_kernarg_size 56
		.amdhsa_user_sgpr_count 6
		.amdhsa_user_sgpr_private_segment_buffer 1
		.amdhsa_user_sgpr_dispatch_ptr 0
		.amdhsa_user_sgpr_queue_ptr 0
		.amdhsa_user_sgpr_kernarg_segment_ptr 1
		.amdhsa_user_sgpr_dispatch_id 0
		.amdhsa_user_sgpr_flat_scratch_init 0
		.amdhsa_user_sgpr_kernarg_preload_length 0
		.amdhsa_user_sgpr_kernarg_preload_offset 0
		.amdhsa_user_sgpr_private_segment_size 0
		.amdhsa_uses_dynamic_stack 0
		.amdhsa_system_sgpr_private_segment_wavefront_offset 0
		.amdhsa_system_sgpr_workgroup_id_x 1
		.amdhsa_system_sgpr_workgroup_id_y 0
		.amdhsa_system_sgpr_workgroup_id_z 0
		.amdhsa_system_sgpr_workgroup_info 0
		.amdhsa_system_vgpr_workitem_id 0
		.amdhsa_next_free_vgpr 1
		.amdhsa_next_free_sgpr 0
		.amdhsa_accum_offset 4
		.amdhsa_reserve_vcc 0
		.amdhsa_reserve_flat_scratch 0
		.amdhsa_float_round_mode_32 0
		.amdhsa_float_round_mode_16_64 0
		.amdhsa_float_denorm_mode_32 3
		.amdhsa_float_denorm_mode_16_64 3
		.amdhsa_dx10_clamp 1
		.amdhsa_ieee_mode 1
		.amdhsa_fp16_overflow 0
		.amdhsa_tg_split 0
		.amdhsa_exception_fp_ieee_invalid_op 0
		.amdhsa_exception_fp_denorm_src 0
		.amdhsa_exception_fp_ieee_div_zero 0
		.amdhsa_exception_fp_ieee_overflow 0
		.amdhsa_exception_fp_ieee_underflow 0
		.amdhsa_exception_fp_ieee_inexact 0
		.amdhsa_exception_int_div_zero 0
	.end_amdhsa_kernel
	.section	.text._ZN7rocprim17ROCPRIM_400000_NS6detail17trampoline_kernelINS0_14default_configENS1_27upper_bound_config_selectorIxlEEZNS1_14transform_implILb0ES3_S5_N6thrust23THRUST_200600_302600_NS17counting_iteratorIxNS8_11use_defaultESA_SA_EEPlZNS1_13binary_searchIS3_S5_PxSB_SC_NS1_21upper_bound_search_opENS8_6detail16wrapped_functionINS0_4lessIvEEbEEEE10hipError_tPvRmT1_T2_T3_mmT4_T5_P12ihipStream_tbEUlRKxE_EESL_SP_SQ_mSR_SU_bEUlT_E_NS1_11comp_targetILNS1_3genE10ELNS1_11target_archE1201ELNS1_3gpuE5ELNS1_3repE0EEENS1_30default_config_static_selectorELNS0_4arch9wavefront6targetE1EEEvSO_,"axG",@progbits,_ZN7rocprim17ROCPRIM_400000_NS6detail17trampoline_kernelINS0_14default_configENS1_27upper_bound_config_selectorIxlEEZNS1_14transform_implILb0ES3_S5_N6thrust23THRUST_200600_302600_NS17counting_iteratorIxNS8_11use_defaultESA_SA_EEPlZNS1_13binary_searchIS3_S5_PxSB_SC_NS1_21upper_bound_search_opENS8_6detail16wrapped_functionINS0_4lessIvEEbEEEE10hipError_tPvRmT1_T2_T3_mmT4_T5_P12ihipStream_tbEUlRKxE_EESL_SP_SQ_mSR_SU_bEUlT_E_NS1_11comp_targetILNS1_3genE10ELNS1_11target_archE1201ELNS1_3gpuE5ELNS1_3repE0EEENS1_30default_config_static_selectorELNS0_4arch9wavefront6targetE1EEEvSO_,comdat
.Lfunc_end144:
	.size	_ZN7rocprim17ROCPRIM_400000_NS6detail17trampoline_kernelINS0_14default_configENS1_27upper_bound_config_selectorIxlEEZNS1_14transform_implILb0ES3_S5_N6thrust23THRUST_200600_302600_NS17counting_iteratorIxNS8_11use_defaultESA_SA_EEPlZNS1_13binary_searchIS3_S5_PxSB_SC_NS1_21upper_bound_search_opENS8_6detail16wrapped_functionINS0_4lessIvEEbEEEE10hipError_tPvRmT1_T2_T3_mmT4_T5_P12ihipStream_tbEUlRKxE_EESL_SP_SQ_mSR_SU_bEUlT_E_NS1_11comp_targetILNS1_3genE10ELNS1_11target_archE1201ELNS1_3gpuE5ELNS1_3repE0EEENS1_30default_config_static_selectorELNS0_4arch9wavefront6targetE1EEEvSO_, .Lfunc_end144-_ZN7rocprim17ROCPRIM_400000_NS6detail17trampoline_kernelINS0_14default_configENS1_27upper_bound_config_selectorIxlEEZNS1_14transform_implILb0ES3_S5_N6thrust23THRUST_200600_302600_NS17counting_iteratorIxNS8_11use_defaultESA_SA_EEPlZNS1_13binary_searchIS3_S5_PxSB_SC_NS1_21upper_bound_search_opENS8_6detail16wrapped_functionINS0_4lessIvEEbEEEE10hipError_tPvRmT1_T2_T3_mmT4_T5_P12ihipStream_tbEUlRKxE_EESL_SP_SQ_mSR_SU_bEUlT_E_NS1_11comp_targetILNS1_3genE10ELNS1_11target_archE1201ELNS1_3gpuE5ELNS1_3repE0EEENS1_30default_config_static_selectorELNS0_4arch9wavefront6targetE1EEEvSO_
                                        ; -- End function
	.section	.AMDGPU.csdata,"",@progbits
; Kernel info:
; codeLenInByte = 0
; NumSgprs: 4
; NumVgprs: 0
; NumAgprs: 0
; TotalNumVgprs: 0
; ScratchSize: 0
; MemoryBound: 0
; FloatMode: 240
; IeeeMode: 1
; LDSByteSize: 0 bytes/workgroup (compile time only)
; SGPRBlocks: 0
; VGPRBlocks: 0
; NumSGPRsForWavesPerEU: 4
; NumVGPRsForWavesPerEU: 1
; AccumOffset: 4
; Occupancy: 8
; WaveLimiterHint : 0
; COMPUTE_PGM_RSRC2:SCRATCH_EN: 0
; COMPUTE_PGM_RSRC2:USER_SGPR: 6
; COMPUTE_PGM_RSRC2:TRAP_HANDLER: 0
; COMPUTE_PGM_RSRC2:TGID_X_EN: 1
; COMPUTE_PGM_RSRC2:TGID_Y_EN: 0
; COMPUTE_PGM_RSRC2:TGID_Z_EN: 0
; COMPUTE_PGM_RSRC2:TIDIG_COMP_CNT: 0
; COMPUTE_PGM_RSRC3_GFX90A:ACCUM_OFFSET: 0
; COMPUTE_PGM_RSRC3_GFX90A:TG_SPLIT: 0
	.section	.text._ZN7rocprim17ROCPRIM_400000_NS6detail17trampoline_kernelINS0_14default_configENS1_27upper_bound_config_selectorIxlEEZNS1_14transform_implILb0ES3_S5_N6thrust23THRUST_200600_302600_NS17counting_iteratorIxNS8_11use_defaultESA_SA_EEPlZNS1_13binary_searchIS3_S5_PxSB_SC_NS1_21upper_bound_search_opENS8_6detail16wrapped_functionINS0_4lessIvEEbEEEE10hipError_tPvRmT1_T2_T3_mmT4_T5_P12ihipStream_tbEUlRKxE_EESL_SP_SQ_mSR_SU_bEUlT_E_NS1_11comp_targetILNS1_3genE10ELNS1_11target_archE1200ELNS1_3gpuE4ELNS1_3repE0EEENS1_30default_config_static_selectorELNS0_4arch9wavefront6targetE1EEEvSO_,"axG",@progbits,_ZN7rocprim17ROCPRIM_400000_NS6detail17trampoline_kernelINS0_14default_configENS1_27upper_bound_config_selectorIxlEEZNS1_14transform_implILb0ES3_S5_N6thrust23THRUST_200600_302600_NS17counting_iteratorIxNS8_11use_defaultESA_SA_EEPlZNS1_13binary_searchIS3_S5_PxSB_SC_NS1_21upper_bound_search_opENS8_6detail16wrapped_functionINS0_4lessIvEEbEEEE10hipError_tPvRmT1_T2_T3_mmT4_T5_P12ihipStream_tbEUlRKxE_EESL_SP_SQ_mSR_SU_bEUlT_E_NS1_11comp_targetILNS1_3genE10ELNS1_11target_archE1200ELNS1_3gpuE4ELNS1_3repE0EEENS1_30default_config_static_selectorELNS0_4arch9wavefront6targetE1EEEvSO_,comdat
	.protected	_ZN7rocprim17ROCPRIM_400000_NS6detail17trampoline_kernelINS0_14default_configENS1_27upper_bound_config_selectorIxlEEZNS1_14transform_implILb0ES3_S5_N6thrust23THRUST_200600_302600_NS17counting_iteratorIxNS8_11use_defaultESA_SA_EEPlZNS1_13binary_searchIS3_S5_PxSB_SC_NS1_21upper_bound_search_opENS8_6detail16wrapped_functionINS0_4lessIvEEbEEEE10hipError_tPvRmT1_T2_T3_mmT4_T5_P12ihipStream_tbEUlRKxE_EESL_SP_SQ_mSR_SU_bEUlT_E_NS1_11comp_targetILNS1_3genE10ELNS1_11target_archE1200ELNS1_3gpuE4ELNS1_3repE0EEENS1_30default_config_static_selectorELNS0_4arch9wavefront6targetE1EEEvSO_ ; -- Begin function _ZN7rocprim17ROCPRIM_400000_NS6detail17trampoline_kernelINS0_14default_configENS1_27upper_bound_config_selectorIxlEEZNS1_14transform_implILb0ES3_S5_N6thrust23THRUST_200600_302600_NS17counting_iteratorIxNS8_11use_defaultESA_SA_EEPlZNS1_13binary_searchIS3_S5_PxSB_SC_NS1_21upper_bound_search_opENS8_6detail16wrapped_functionINS0_4lessIvEEbEEEE10hipError_tPvRmT1_T2_T3_mmT4_T5_P12ihipStream_tbEUlRKxE_EESL_SP_SQ_mSR_SU_bEUlT_E_NS1_11comp_targetILNS1_3genE10ELNS1_11target_archE1200ELNS1_3gpuE4ELNS1_3repE0EEENS1_30default_config_static_selectorELNS0_4arch9wavefront6targetE1EEEvSO_
	.globl	_ZN7rocprim17ROCPRIM_400000_NS6detail17trampoline_kernelINS0_14default_configENS1_27upper_bound_config_selectorIxlEEZNS1_14transform_implILb0ES3_S5_N6thrust23THRUST_200600_302600_NS17counting_iteratorIxNS8_11use_defaultESA_SA_EEPlZNS1_13binary_searchIS3_S5_PxSB_SC_NS1_21upper_bound_search_opENS8_6detail16wrapped_functionINS0_4lessIvEEbEEEE10hipError_tPvRmT1_T2_T3_mmT4_T5_P12ihipStream_tbEUlRKxE_EESL_SP_SQ_mSR_SU_bEUlT_E_NS1_11comp_targetILNS1_3genE10ELNS1_11target_archE1200ELNS1_3gpuE4ELNS1_3repE0EEENS1_30default_config_static_selectorELNS0_4arch9wavefront6targetE1EEEvSO_
	.p2align	8
	.type	_ZN7rocprim17ROCPRIM_400000_NS6detail17trampoline_kernelINS0_14default_configENS1_27upper_bound_config_selectorIxlEEZNS1_14transform_implILb0ES3_S5_N6thrust23THRUST_200600_302600_NS17counting_iteratorIxNS8_11use_defaultESA_SA_EEPlZNS1_13binary_searchIS3_S5_PxSB_SC_NS1_21upper_bound_search_opENS8_6detail16wrapped_functionINS0_4lessIvEEbEEEE10hipError_tPvRmT1_T2_T3_mmT4_T5_P12ihipStream_tbEUlRKxE_EESL_SP_SQ_mSR_SU_bEUlT_E_NS1_11comp_targetILNS1_3genE10ELNS1_11target_archE1200ELNS1_3gpuE4ELNS1_3repE0EEENS1_30default_config_static_selectorELNS0_4arch9wavefront6targetE1EEEvSO_,@function
_ZN7rocprim17ROCPRIM_400000_NS6detail17trampoline_kernelINS0_14default_configENS1_27upper_bound_config_selectorIxlEEZNS1_14transform_implILb0ES3_S5_N6thrust23THRUST_200600_302600_NS17counting_iteratorIxNS8_11use_defaultESA_SA_EEPlZNS1_13binary_searchIS3_S5_PxSB_SC_NS1_21upper_bound_search_opENS8_6detail16wrapped_functionINS0_4lessIvEEbEEEE10hipError_tPvRmT1_T2_T3_mmT4_T5_P12ihipStream_tbEUlRKxE_EESL_SP_SQ_mSR_SU_bEUlT_E_NS1_11comp_targetILNS1_3genE10ELNS1_11target_archE1200ELNS1_3gpuE4ELNS1_3repE0EEENS1_30default_config_static_selectorELNS0_4arch9wavefront6targetE1EEEvSO_: ; @_ZN7rocprim17ROCPRIM_400000_NS6detail17trampoline_kernelINS0_14default_configENS1_27upper_bound_config_selectorIxlEEZNS1_14transform_implILb0ES3_S5_N6thrust23THRUST_200600_302600_NS17counting_iteratorIxNS8_11use_defaultESA_SA_EEPlZNS1_13binary_searchIS3_S5_PxSB_SC_NS1_21upper_bound_search_opENS8_6detail16wrapped_functionINS0_4lessIvEEbEEEE10hipError_tPvRmT1_T2_T3_mmT4_T5_P12ihipStream_tbEUlRKxE_EESL_SP_SQ_mSR_SU_bEUlT_E_NS1_11comp_targetILNS1_3genE10ELNS1_11target_archE1200ELNS1_3gpuE4ELNS1_3repE0EEENS1_30default_config_static_selectorELNS0_4arch9wavefront6targetE1EEEvSO_
; %bb.0:
	.section	.rodata,"a",@progbits
	.p2align	6, 0x0
	.amdhsa_kernel _ZN7rocprim17ROCPRIM_400000_NS6detail17trampoline_kernelINS0_14default_configENS1_27upper_bound_config_selectorIxlEEZNS1_14transform_implILb0ES3_S5_N6thrust23THRUST_200600_302600_NS17counting_iteratorIxNS8_11use_defaultESA_SA_EEPlZNS1_13binary_searchIS3_S5_PxSB_SC_NS1_21upper_bound_search_opENS8_6detail16wrapped_functionINS0_4lessIvEEbEEEE10hipError_tPvRmT1_T2_T3_mmT4_T5_P12ihipStream_tbEUlRKxE_EESL_SP_SQ_mSR_SU_bEUlT_E_NS1_11comp_targetILNS1_3genE10ELNS1_11target_archE1200ELNS1_3gpuE4ELNS1_3repE0EEENS1_30default_config_static_selectorELNS0_4arch9wavefront6targetE1EEEvSO_
		.amdhsa_group_segment_fixed_size 0
		.amdhsa_private_segment_fixed_size 0
		.amdhsa_kernarg_size 56
		.amdhsa_user_sgpr_count 6
		.amdhsa_user_sgpr_private_segment_buffer 1
		.amdhsa_user_sgpr_dispatch_ptr 0
		.amdhsa_user_sgpr_queue_ptr 0
		.amdhsa_user_sgpr_kernarg_segment_ptr 1
		.amdhsa_user_sgpr_dispatch_id 0
		.amdhsa_user_sgpr_flat_scratch_init 0
		.amdhsa_user_sgpr_kernarg_preload_length 0
		.amdhsa_user_sgpr_kernarg_preload_offset 0
		.amdhsa_user_sgpr_private_segment_size 0
		.amdhsa_uses_dynamic_stack 0
		.amdhsa_system_sgpr_private_segment_wavefront_offset 0
		.amdhsa_system_sgpr_workgroup_id_x 1
		.amdhsa_system_sgpr_workgroup_id_y 0
		.amdhsa_system_sgpr_workgroup_id_z 0
		.amdhsa_system_sgpr_workgroup_info 0
		.amdhsa_system_vgpr_workitem_id 0
		.amdhsa_next_free_vgpr 1
		.amdhsa_next_free_sgpr 0
		.amdhsa_accum_offset 4
		.amdhsa_reserve_vcc 0
		.amdhsa_reserve_flat_scratch 0
		.amdhsa_float_round_mode_32 0
		.amdhsa_float_round_mode_16_64 0
		.amdhsa_float_denorm_mode_32 3
		.amdhsa_float_denorm_mode_16_64 3
		.amdhsa_dx10_clamp 1
		.amdhsa_ieee_mode 1
		.amdhsa_fp16_overflow 0
		.amdhsa_tg_split 0
		.amdhsa_exception_fp_ieee_invalid_op 0
		.amdhsa_exception_fp_denorm_src 0
		.amdhsa_exception_fp_ieee_div_zero 0
		.amdhsa_exception_fp_ieee_overflow 0
		.amdhsa_exception_fp_ieee_underflow 0
		.amdhsa_exception_fp_ieee_inexact 0
		.amdhsa_exception_int_div_zero 0
	.end_amdhsa_kernel
	.section	.text._ZN7rocprim17ROCPRIM_400000_NS6detail17trampoline_kernelINS0_14default_configENS1_27upper_bound_config_selectorIxlEEZNS1_14transform_implILb0ES3_S5_N6thrust23THRUST_200600_302600_NS17counting_iteratorIxNS8_11use_defaultESA_SA_EEPlZNS1_13binary_searchIS3_S5_PxSB_SC_NS1_21upper_bound_search_opENS8_6detail16wrapped_functionINS0_4lessIvEEbEEEE10hipError_tPvRmT1_T2_T3_mmT4_T5_P12ihipStream_tbEUlRKxE_EESL_SP_SQ_mSR_SU_bEUlT_E_NS1_11comp_targetILNS1_3genE10ELNS1_11target_archE1200ELNS1_3gpuE4ELNS1_3repE0EEENS1_30default_config_static_selectorELNS0_4arch9wavefront6targetE1EEEvSO_,"axG",@progbits,_ZN7rocprim17ROCPRIM_400000_NS6detail17trampoline_kernelINS0_14default_configENS1_27upper_bound_config_selectorIxlEEZNS1_14transform_implILb0ES3_S5_N6thrust23THRUST_200600_302600_NS17counting_iteratorIxNS8_11use_defaultESA_SA_EEPlZNS1_13binary_searchIS3_S5_PxSB_SC_NS1_21upper_bound_search_opENS8_6detail16wrapped_functionINS0_4lessIvEEbEEEE10hipError_tPvRmT1_T2_T3_mmT4_T5_P12ihipStream_tbEUlRKxE_EESL_SP_SQ_mSR_SU_bEUlT_E_NS1_11comp_targetILNS1_3genE10ELNS1_11target_archE1200ELNS1_3gpuE4ELNS1_3repE0EEENS1_30default_config_static_selectorELNS0_4arch9wavefront6targetE1EEEvSO_,comdat
.Lfunc_end145:
	.size	_ZN7rocprim17ROCPRIM_400000_NS6detail17trampoline_kernelINS0_14default_configENS1_27upper_bound_config_selectorIxlEEZNS1_14transform_implILb0ES3_S5_N6thrust23THRUST_200600_302600_NS17counting_iteratorIxNS8_11use_defaultESA_SA_EEPlZNS1_13binary_searchIS3_S5_PxSB_SC_NS1_21upper_bound_search_opENS8_6detail16wrapped_functionINS0_4lessIvEEbEEEE10hipError_tPvRmT1_T2_T3_mmT4_T5_P12ihipStream_tbEUlRKxE_EESL_SP_SQ_mSR_SU_bEUlT_E_NS1_11comp_targetILNS1_3genE10ELNS1_11target_archE1200ELNS1_3gpuE4ELNS1_3repE0EEENS1_30default_config_static_selectorELNS0_4arch9wavefront6targetE1EEEvSO_, .Lfunc_end145-_ZN7rocprim17ROCPRIM_400000_NS6detail17trampoline_kernelINS0_14default_configENS1_27upper_bound_config_selectorIxlEEZNS1_14transform_implILb0ES3_S5_N6thrust23THRUST_200600_302600_NS17counting_iteratorIxNS8_11use_defaultESA_SA_EEPlZNS1_13binary_searchIS3_S5_PxSB_SC_NS1_21upper_bound_search_opENS8_6detail16wrapped_functionINS0_4lessIvEEbEEEE10hipError_tPvRmT1_T2_T3_mmT4_T5_P12ihipStream_tbEUlRKxE_EESL_SP_SQ_mSR_SU_bEUlT_E_NS1_11comp_targetILNS1_3genE10ELNS1_11target_archE1200ELNS1_3gpuE4ELNS1_3repE0EEENS1_30default_config_static_selectorELNS0_4arch9wavefront6targetE1EEEvSO_
                                        ; -- End function
	.section	.AMDGPU.csdata,"",@progbits
; Kernel info:
; codeLenInByte = 0
; NumSgprs: 4
; NumVgprs: 0
; NumAgprs: 0
; TotalNumVgprs: 0
; ScratchSize: 0
; MemoryBound: 0
; FloatMode: 240
; IeeeMode: 1
; LDSByteSize: 0 bytes/workgroup (compile time only)
; SGPRBlocks: 0
; VGPRBlocks: 0
; NumSGPRsForWavesPerEU: 4
; NumVGPRsForWavesPerEU: 1
; AccumOffset: 4
; Occupancy: 8
; WaveLimiterHint : 0
; COMPUTE_PGM_RSRC2:SCRATCH_EN: 0
; COMPUTE_PGM_RSRC2:USER_SGPR: 6
; COMPUTE_PGM_RSRC2:TRAP_HANDLER: 0
; COMPUTE_PGM_RSRC2:TGID_X_EN: 1
; COMPUTE_PGM_RSRC2:TGID_Y_EN: 0
; COMPUTE_PGM_RSRC2:TGID_Z_EN: 0
; COMPUTE_PGM_RSRC2:TIDIG_COMP_CNT: 0
; COMPUTE_PGM_RSRC3_GFX90A:ACCUM_OFFSET: 0
; COMPUTE_PGM_RSRC3_GFX90A:TG_SPLIT: 0
	.section	.text._ZN7rocprim17ROCPRIM_400000_NS6detail17trampoline_kernelINS0_14default_configENS1_27upper_bound_config_selectorIxlEEZNS1_14transform_implILb0ES3_S5_N6thrust23THRUST_200600_302600_NS17counting_iteratorIxNS8_11use_defaultESA_SA_EEPlZNS1_13binary_searchIS3_S5_PxSB_SC_NS1_21upper_bound_search_opENS8_6detail16wrapped_functionINS0_4lessIvEEbEEEE10hipError_tPvRmT1_T2_T3_mmT4_T5_P12ihipStream_tbEUlRKxE_EESL_SP_SQ_mSR_SU_bEUlT_E_NS1_11comp_targetILNS1_3genE9ELNS1_11target_archE1100ELNS1_3gpuE3ELNS1_3repE0EEENS1_30default_config_static_selectorELNS0_4arch9wavefront6targetE1EEEvSO_,"axG",@progbits,_ZN7rocprim17ROCPRIM_400000_NS6detail17trampoline_kernelINS0_14default_configENS1_27upper_bound_config_selectorIxlEEZNS1_14transform_implILb0ES3_S5_N6thrust23THRUST_200600_302600_NS17counting_iteratorIxNS8_11use_defaultESA_SA_EEPlZNS1_13binary_searchIS3_S5_PxSB_SC_NS1_21upper_bound_search_opENS8_6detail16wrapped_functionINS0_4lessIvEEbEEEE10hipError_tPvRmT1_T2_T3_mmT4_T5_P12ihipStream_tbEUlRKxE_EESL_SP_SQ_mSR_SU_bEUlT_E_NS1_11comp_targetILNS1_3genE9ELNS1_11target_archE1100ELNS1_3gpuE3ELNS1_3repE0EEENS1_30default_config_static_selectorELNS0_4arch9wavefront6targetE1EEEvSO_,comdat
	.protected	_ZN7rocprim17ROCPRIM_400000_NS6detail17trampoline_kernelINS0_14default_configENS1_27upper_bound_config_selectorIxlEEZNS1_14transform_implILb0ES3_S5_N6thrust23THRUST_200600_302600_NS17counting_iteratorIxNS8_11use_defaultESA_SA_EEPlZNS1_13binary_searchIS3_S5_PxSB_SC_NS1_21upper_bound_search_opENS8_6detail16wrapped_functionINS0_4lessIvEEbEEEE10hipError_tPvRmT1_T2_T3_mmT4_T5_P12ihipStream_tbEUlRKxE_EESL_SP_SQ_mSR_SU_bEUlT_E_NS1_11comp_targetILNS1_3genE9ELNS1_11target_archE1100ELNS1_3gpuE3ELNS1_3repE0EEENS1_30default_config_static_selectorELNS0_4arch9wavefront6targetE1EEEvSO_ ; -- Begin function _ZN7rocprim17ROCPRIM_400000_NS6detail17trampoline_kernelINS0_14default_configENS1_27upper_bound_config_selectorIxlEEZNS1_14transform_implILb0ES3_S5_N6thrust23THRUST_200600_302600_NS17counting_iteratorIxNS8_11use_defaultESA_SA_EEPlZNS1_13binary_searchIS3_S5_PxSB_SC_NS1_21upper_bound_search_opENS8_6detail16wrapped_functionINS0_4lessIvEEbEEEE10hipError_tPvRmT1_T2_T3_mmT4_T5_P12ihipStream_tbEUlRKxE_EESL_SP_SQ_mSR_SU_bEUlT_E_NS1_11comp_targetILNS1_3genE9ELNS1_11target_archE1100ELNS1_3gpuE3ELNS1_3repE0EEENS1_30default_config_static_selectorELNS0_4arch9wavefront6targetE1EEEvSO_
	.globl	_ZN7rocprim17ROCPRIM_400000_NS6detail17trampoline_kernelINS0_14default_configENS1_27upper_bound_config_selectorIxlEEZNS1_14transform_implILb0ES3_S5_N6thrust23THRUST_200600_302600_NS17counting_iteratorIxNS8_11use_defaultESA_SA_EEPlZNS1_13binary_searchIS3_S5_PxSB_SC_NS1_21upper_bound_search_opENS8_6detail16wrapped_functionINS0_4lessIvEEbEEEE10hipError_tPvRmT1_T2_T3_mmT4_T5_P12ihipStream_tbEUlRKxE_EESL_SP_SQ_mSR_SU_bEUlT_E_NS1_11comp_targetILNS1_3genE9ELNS1_11target_archE1100ELNS1_3gpuE3ELNS1_3repE0EEENS1_30default_config_static_selectorELNS0_4arch9wavefront6targetE1EEEvSO_
	.p2align	8
	.type	_ZN7rocprim17ROCPRIM_400000_NS6detail17trampoline_kernelINS0_14default_configENS1_27upper_bound_config_selectorIxlEEZNS1_14transform_implILb0ES3_S5_N6thrust23THRUST_200600_302600_NS17counting_iteratorIxNS8_11use_defaultESA_SA_EEPlZNS1_13binary_searchIS3_S5_PxSB_SC_NS1_21upper_bound_search_opENS8_6detail16wrapped_functionINS0_4lessIvEEbEEEE10hipError_tPvRmT1_T2_T3_mmT4_T5_P12ihipStream_tbEUlRKxE_EESL_SP_SQ_mSR_SU_bEUlT_E_NS1_11comp_targetILNS1_3genE9ELNS1_11target_archE1100ELNS1_3gpuE3ELNS1_3repE0EEENS1_30default_config_static_selectorELNS0_4arch9wavefront6targetE1EEEvSO_,@function
_ZN7rocprim17ROCPRIM_400000_NS6detail17trampoline_kernelINS0_14default_configENS1_27upper_bound_config_selectorIxlEEZNS1_14transform_implILb0ES3_S5_N6thrust23THRUST_200600_302600_NS17counting_iteratorIxNS8_11use_defaultESA_SA_EEPlZNS1_13binary_searchIS3_S5_PxSB_SC_NS1_21upper_bound_search_opENS8_6detail16wrapped_functionINS0_4lessIvEEbEEEE10hipError_tPvRmT1_T2_T3_mmT4_T5_P12ihipStream_tbEUlRKxE_EESL_SP_SQ_mSR_SU_bEUlT_E_NS1_11comp_targetILNS1_3genE9ELNS1_11target_archE1100ELNS1_3gpuE3ELNS1_3repE0EEENS1_30default_config_static_selectorELNS0_4arch9wavefront6targetE1EEEvSO_: ; @_ZN7rocprim17ROCPRIM_400000_NS6detail17trampoline_kernelINS0_14default_configENS1_27upper_bound_config_selectorIxlEEZNS1_14transform_implILb0ES3_S5_N6thrust23THRUST_200600_302600_NS17counting_iteratorIxNS8_11use_defaultESA_SA_EEPlZNS1_13binary_searchIS3_S5_PxSB_SC_NS1_21upper_bound_search_opENS8_6detail16wrapped_functionINS0_4lessIvEEbEEEE10hipError_tPvRmT1_T2_T3_mmT4_T5_P12ihipStream_tbEUlRKxE_EESL_SP_SQ_mSR_SU_bEUlT_E_NS1_11comp_targetILNS1_3genE9ELNS1_11target_archE1100ELNS1_3gpuE3ELNS1_3repE0EEENS1_30default_config_static_selectorELNS0_4arch9wavefront6targetE1EEEvSO_
; %bb.0:
	.section	.rodata,"a",@progbits
	.p2align	6, 0x0
	.amdhsa_kernel _ZN7rocprim17ROCPRIM_400000_NS6detail17trampoline_kernelINS0_14default_configENS1_27upper_bound_config_selectorIxlEEZNS1_14transform_implILb0ES3_S5_N6thrust23THRUST_200600_302600_NS17counting_iteratorIxNS8_11use_defaultESA_SA_EEPlZNS1_13binary_searchIS3_S5_PxSB_SC_NS1_21upper_bound_search_opENS8_6detail16wrapped_functionINS0_4lessIvEEbEEEE10hipError_tPvRmT1_T2_T3_mmT4_T5_P12ihipStream_tbEUlRKxE_EESL_SP_SQ_mSR_SU_bEUlT_E_NS1_11comp_targetILNS1_3genE9ELNS1_11target_archE1100ELNS1_3gpuE3ELNS1_3repE0EEENS1_30default_config_static_selectorELNS0_4arch9wavefront6targetE1EEEvSO_
		.amdhsa_group_segment_fixed_size 0
		.amdhsa_private_segment_fixed_size 0
		.amdhsa_kernarg_size 56
		.amdhsa_user_sgpr_count 6
		.amdhsa_user_sgpr_private_segment_buffer 1
		.amdhsa_user_sgpr_dispatch_ptr 0
		.amdhsa_user_sgpr_queue_ptr 0
		.amdhsa_user_sgpr_kernarg_segment_ptr 1
		.amdhsa_user_sgpr_dispatch_id 0
		.amdhsa_user_sgpr_flat_scratch_init 0
		.amdhsa_user_sgpr_kernarg_preload_length 0
		.amdhsa_user_sgpr_kernarg_preload_offset 0
		.amdhsa_user_sgpr_private_segment_size 0
		.amdhsa_uses_dynamic_stack 0
		.amdhsa_system_sgpr_private_segment_wavefront_offset 0
		.amdhsa_system_sgpr_workgroup_id_x 1
		.amdhsa_system_sgpr_workgroup_id_y 0
		.amdhsa_system_sgpr_workgroup_id_z 0
		.amdhsa_system_sgpr_workgroup_info 0
		.amdhsa_system_vgpr_workitem_id 0
		.amdhsa_next_free_vgpr 1
		.amdhsa_next_free_sgpr 0
		.amdhsa_accum_offset 4
		.amdhsa_reserve_vcc 0
		.amdhsa_reserve_flat_scratch 0
		.amdhsa_float_round_mode_32 0
		.amdhsa_float_round_mode_16_64 0
		.amdhsa_float_denorm_mode_32 3
		.amdhsa_float_denorm_mode_16_64 3
		.amdhsa_dx10_clamp 1
		.amdhsa_ieee_mode 1
		.amdhsa_fp16_overflow 0
		.amdhsa_tg_split 0
		.amdhsa_exception_fp_ieee_invalid_op 0
		.amdhsa_exception_fp_denorm_src 0
		.amdhsa_exception_fp_ieee_div_zero 0
		.amdhsa_exception_fp_ieee_overflow 0
		.amdhsa_exception_fp_ieee_underflow 0
		.amdhsa_exception_fp_ieee_inexact 0
		.amdhsa_exception_int_div_zero 0
	.end_amdhsa_kernel
	.section	.text._ZN7rocprim17ROCPRIM_400000_NS6detail17trampoline_kernelINS0_14default_configENS1_27upper_bound_config_selectorIxlEEZNS1_14transform_implILb0ES3_S5_N6thrust23THRUST_200600_302600_NS17counting_iteratorIxNS8_11use_defaultESA_SA_EEPlZNS1_13binary_searchIS3_S5_PxSB_SC_NS1_21upper_bound_search_opENS8_6detail16wrapped_functionINS0_4lessIvEEbEEEE10hipError_tPvRmT1_T2_T3_mmT4_T5_P12ihipStream_tbEUlRKxE_EESL_SP_SQ_mSR_SU_bEUlT_E_NS1_11comp_targetILNS1_3genE9ELNS1_11target_archE1100ELNS1_3gpuE3ELNS1_3repE0EEENS1_30default_config_static_selectorELNS0_4arch9wavefront6targetE1EEEvSO_,"axG",@progbits,_ZN7rocprim17ROCPRIM_400000_NS6detail17trampoline_kernelINS0_14default_configENS1_27upper_bound_config_selectorIxlEEZNS1_14transform_implILb0ES3_S5_N6thrust23THRUST_200600_302600_NS17counting_iteratorIxNS8_11use_defaultESA_SA_EEPlZNS1_13binary_searchIS3_S5_PxSB_SC_NS1_21upper_bound_search_opENS8_6detail16wrapped_functionINS0_4lessIvEEbEEEE10hipError_tPvRmT1_T2_T3_mmT4_T5_P12ihipStream_tbEUlRKxE_EESL_SP_SQ_mSR_SU_bEUlT_E_NS1_11comp_targetILNS1_3genE9ELNS1_11target_archE1100ELNS1_3gpuE3ELNS1_3repE0EEENS1_30default_config_static_selectorELNS0_4arch9wavefront6targetE1EEEvSO_,comdat
.Lfunc_end146:
	.size	_ZN7rocprim17ROCPRIM_400000_NS6detail17trampoline_kernelINS0_14default_configENS1_27upper_bound_config_selectorIxlEEZNS1_14transform_implILb0ES3_S5_N6thrust23THRUST_200600_302600_NS17counting_iteratorIxNS8_11use_defaultESA_SA_EEPlZNS1_13binary_searchIS3_S5_PxSB_SC_NS1_21upper_bound_search_opENS8_6detail16wrapped_functionINS0_4lessIvEEbEEEE10hipError_tPvRmT1_T2_T3_mmT4_T5_P12ihipStream_tbEUlRKxE_EESL_SP_SQ_mSR_SU_bEUlT_E_NS1_11comp_targetILNS1_3genE9ELNS1_11target_archE1100ELNS1_3gpuE3ELNS1_3repE0EEENS1_30default_config_static_selectorELNS0_4arch9wavefront6targetE1EEEvSO_, .Lfunc_end146-_ZN7rocprim17ROCPRIM_400000_NS6detail17trampoline_kernelINS0_14default_configENS1_27upper_bound_config_selectorIxlEEZNS1_14transform_implILb0ES3_S5_N6thrust23THRUST_200600_302600_NS17counting_iteratorIxNS8_11use_defaultESA_SA_EEPlZNS1_13binary_searchIS3_S5_PxSB_SC_NS1_21upper_bound_search_opENS8_6detail16wrapped_functionINS0_4lessIvEEbEEEE10hipError_tPvRmT1_T2_T3_mmT4_T5_P12ihipStream_tbEUlRKxE_EESL_SP_SQ_mSR_SU_bEUlT_E_NS1_11comp_targetILNS1_3genE9ELNS1_11target_archE1100ELNS1_3gpuE3ELNS1_3repE0EEENS1_30default_config_static_selectorELNS0_4arch9wavefront6targetE1EEEvSO_
                                        ; -- End function
	.section	.AMDGPU.csdata,"",@progbits
; Kernel info:
; codeLenInByte = 0
; NumSgprs: 4
; NumVgprs: 0
; NumAgprs: 0
; TotalNumVgprs: 0
; ScratchSize: 0
; MemoryBound: 0
; FloatMode: 240
; IeeeMode: 1
; LDSByteSize: 0 bytes/workgroup (compile time only)
; SGPRBlocks: 0
; VGPRBlocks: 0
; NumSGPRsForWavesPerEU: 4
; NumVGPRsForWavesPerEU: 1
; AccumOffset: 4
; Occupancy: 8
; WaveLimiterHint : 0
; COMPUTE_PGM_RSRC2:SCRATCH_EN: 0
; COMPUTE_PGM_RSRC2:USER_SGPR: 6
; COMPUTE_PGM_RSRC2:TRAP_HANDLER: 0
; COMPUTE_PGM_RSRC2:TGID_X_EN: 1
; COMPUTE_PGM_RSRC2:TGID_Y_EN: 0
; COMPUTE_PGM_RSRC2:TGID_Z_EN: 0
; COMPUTE_PGM_RSRC2:TIDIG_COMP_CNT: 0
; COMPUTE_PGM_RSRC3_GFX90A:ACCUM_OFFSET: 0
; COMPUTE_PGM_RSRC3_GFX90A:TG_SPLIT: 0
	.section	.text._ZN7rocprim17ROCPRIM_400000_NS6detail17trampoline_kernelINS0_14default_configENS1_27upper_bound_config_selectorIxlEEZNS1_14transform_implILb0ES3_S5_N6thrust23THRUST_200600_302600_NS17counting_iteratorIxNS8_11use_defaultESA_SA_EEPlZNS1_13binary_searchIS3_S5_PxSB_SC_NS1_21upper_bound_search_opENS8_6detail16wrapped_functionINS0_4lessIvEEbEEEE10hipError_tPvRmT1_T2_T3_mmT4_T5_P12ihipStream_tbEUlRKxE_EESL_SP_SQ_mSR_SU_bEUlT_E_NS1_11comp_targetILNS1_3genE8ELNS1_11target_archE1030ELNS1_3gpuE2ELNS1_3repE0EEENS1_30default_config_static_selectorELNS0_4arch9wavefront6targetE1EEEvSO_,"axG",@progbits,_ZN7rocprim17ROCPRIM_400000_NS6detail17trampoline_kernelINS0_14default_configENS1_27upper_bound_config_selectorIxlEEZNS1_14transform_implILb0ES3_S5_N6thrust23THRUST_200600_302600_NS17counting_iteratorIxNS8_11use_defaultESA_SA_EEPlZNS1_13binary_searchIS3_S5_PxSB_SC_NS1_21upper_bound_search_opENS8_6detail16wrapped_functionINS0_4lessIvEEbEEEE10hipError_tPvRmT1_T2_T3_mmT4_T5_P12ihipStream_tbEUlRKxE_EESL_SP_SQ_mSR_SU_bEUlT_E_NS1_11comp_targetILNS1_3genE8ELNS1_11target_archE1030ELNS1_3gpuE2ELNS1_3repE0EEENS1_30default_config_static_selectorELNS0_4arch9wavefront6targetE1EEEvSO_,comdat
	.protected	_ZN7rocprim17ROCPRIM_400000_NS6detail17trampoline_kernelINS0_14default_configENS1_27upper_bound_config_selectorIxlEEZNS1_14transform_implILb0ES3_S5_N6thrust23THRUST_200600_302600_NS17counting_iteratorIxNS8_11use_defaultESA_SA_EEPlZNS1_13binary_searchIS3_S5_PxSB_SC_NS1_21upper_bound_search_opENS8_6detail16wrapped_functionINS0_4lessIvEEbEEEE10hipError_tPvRmT1_T2_T3_mmT4_T5_P12ihipStream_tbEUlRKxE_EESL_SP_SQ_mSR_SU_bEUlT_E_NS1_11comp_targetILNS1_3genE8ELNS1_11target_archE1030ELNS1_3gpuE2ELNS1_3repE0EEENS1_30default_config_static_selectorELNS0_4arch9wavefront6targetE1EEEvSO_ ; -- Begin function _ZN7rocprim17ROCPRIM_400000_NS6detail17trampoline_kernelINS0_14default_configENS1_27upper_bound_config_selectorIxlEEZNS1_14transform_implILb0ES3_S5_N6thrust23THRUST_200600_302600_NS17counting_iteratorIxNS8_11use_defaultESA_SA_EEPlZNS1_13binary_searchIS3_S5_PxSB_SC_NS1_21upper_bound_search_opENS8_6detail16wrapped_functionINS0_4lessIvEEbEEEE10hipError_tPvRmT1_T2_T3_mmT4_T5_P12ihipStream_tbEUlRKxE_EESL_SP_SQ_mSR_SU_bEUlT_E_NS1_11comp_targetILNS1_3genE8ELNS1_11target_archE1030ELNS1_3gpuE2ELNS1_3repE0EEENS1_30default_config_static_selectorELNS0_4arch9wavefront6targetE1EEEvSO_
	.globl	_ZN7rocprim17ROCPRIM_400000_NS6detail17trampoline_kernelINS0_14default_configENS1_27upper_bound_config_selectorIxlEEZNS1_14transform_implILb0ES3_S5_N6thrust23THRUST_200600_302600_NS17counting_iteratorIxNS8_11use_defaultESA_SA_EEPlZNS1_13binary_searchIS3_S5_PxSB_SC_NS1_21upper_bound_search_opENS8_6detail16wrapped_functionINS0_4lessIvEEbEEEE10hipError_tPvRmT1_T2_T3_mmT4_T5_P12ihipStream_tbEUlRKxE_EESL_SP_SQ_mSR_SU_bEUlT_E_NS1_11comp_targetILNS1_3genE8ELNS1_11target_archE1030ELNS1_3gpuE2ELNS1_3repE0EEENS1_30default_config_static_selectorELNS0_4arch9wavefront6targetE1EEEvSO_
	.p2align	8
	.type	_ZN7rocprim17ROCPRIM_400000_NS6detail17trampoline_kernelINS0_14default_configENS1_27upper_bound_config_selectorIxlEEZNS1_14transform_implILb0ES3_S5_N6thrust23THRUST_200600_302600_NS17counting_iteratorIxNS8_11use_defaultESA_SA_EEPlZNS1_13binary_searchIS3_S5_PxSB_SC_NS1_21upper_bound_search_opENS8_6detail16wrapped_functionINS0_4lessIvEEbEEEE10hipError_tPvRmT1_T2_T3_mmT4_T5_P12ihipStream_tbEUlRKxE_EESL_SP_SQ_mSR_SU_bEUlT_E_NS1_11comp_targetILNS1_3genE8ELNS1_11target_archE1030ELNS1_3gpuE2ELNS1_3repE0EEENS1_30default_config_static_selectorELNS0_4arch9wavefront6targetE1EEEvSO_,@function
_ZN7rocprim17ROCPRIM_400000_NS6detail17trampoline_kernelINS0_14default_configENS1_27upper_bound_config_selectorIxlEEZNS1_14transform_implILb0ES3_S5_N6thrust23THRUST_200600_302600_NS17counting_iteratorIxNS8_11use_defaultESA_SA_EEPlZNS1_13binary_searchIS3_S5_PxSB_SC_NS1_21upper_bound_search_opENS8_6detail16wrapped_functionINS0_4lessIvEEbEEEE10hipError_tPvRmT1_T2_T3_mmT4_T5_P12ihipStream_tbEUlRKxE_EESL_SP_SQ_mSR_SU_bEUlT_E_NS1_11comp_targetILNS1_3genE8ELNS1_11target_archE1030ELNS1_3gpuE2ELNS1_3repE0EEENS1_30default_config_static_selectorELNS0_4arch9wavefront6targetE1EEEvSO_: ; @_ZN7rocprim17ROCPRIM_400000_NS6detail17trampoline_kernelINS0_14default_configENS1_27upper_bound_config_selectorIxlEEZNS1_14transform_implILb0ES3_S5_N6thrust23THRUST_200600_302600_NS17counting_iteratorIxNS8_11use_defaultESA_SA_EEPlZNS1_13binary_searchIS3_S5_PxSB_SC_NS1_21upper_bound_search_opENS8_6detail16wrapped_functionINS0_4lessIvEEbEEEE10hipError_tPvRmT1_T2_T3_mmT4_T5_P12ihipStream_tbEUlRKxE_EESL_SP_SQ_mSR_SU_bEUlT_E_NS1_11comp_targetILNS1_3genE8ELNS1_11target_archE1030ELNS1_3gpuE2ELNS1_3repE0EEENS1_30default_config_static_selectorELNS0_4arch9wavefront6targetE1EEEvSO_
; %bb.0:
	.section	.rodata,"a",@progbits
	.p2align	6, 0x0
	.amdhsa_kernel _ZN7rocprim17ROCPRIM_400000_NS6detail17trampoline_kernelINS0_14default_configENS1_27upper_bound_config_selectorIxlEEZNS1_14transform_implILb0ES3_S5_N6thrust23THRUST_200600_302600_NS17counting_iteratorIxNS8_11use_defaultESA_SA_EEPlZNS1_13binary_searchIS3_S5_PxSB_SC_NS1_21upper_bound_search_opENS8_6detail16wrapped_functionINS0_4lessIvEEbEEEE10hipError_tPvRmT1_T2_T3_mmT4_T5_P12ihipStream_tbEUlRKxE_EESL_SP_SQ_mSR_SU_bEUlT_E_NS1_11comp_targetILNS1_3genE8ELNS1_11target_archE1030ELNS1_3gpuE2ELNS1_3repE0EEENS1_30default_config_static_selectorELNS0_4arch9wavefront6targetE1EEEvSO_
		.amdhsa_group_segment_fixed_size 0
		.amdhsa_private_segment_fixed_size 0
		.amdhsa_kernarg_size 56
		.amdhsa_user_sgpr_count 6
		.amdhsa_user_sgpr_private_segment_buffer 1
		.amdhsa_user_sgpr_dispatch_ptr 0
		.amdhsa_user_sgpr_queue_ptr 0
		.amdhsa_user_sgpr_kernarg_segment_ptr 1
		.amdhsa_user_sgpr_dispatch_id 0
		.amdhsa_user_sgpr_flat_scratch_init 0
		.amdhsa_user_sgpr_kernarg_preload_length 0
		.amdhsa_user_sgpr_kernarg_preload_offset 0
		.amdhsa_user_sgpr_private_segment_size 0
		.amdhsa_uses_dynamic_stack 0
		.amdhsa_system_sgpr_private_segment_wavefront_offset 0
		.amdhsa_system_sgpr_workgroup_id_x 1
		.amdhsa_system_sgpr_workgroup_id_y 0
		.amdhsa_system_sgpr_workgroup_id_z 0
		.amdhsa_system_sgpr_workgroup_info 0
		.amdhsa_system_vgpr_workitem_id 0
		.amdhsa_next_free_vgpr 1
		.amdhsa_next_free_sgpr 0
		.amdhsa_accum_offset 4
		.amdhsa_reserve_vcc 0
		.amdhsa_reserve_flat_scratch 0
		.amdhsa_float_round_mode_32 0
		.amdhsa_float_round_mode_16_64 0
		.amdhsa_float_denorm_mode_32 3
		.amdhsa_float_denorm_mode_16_64 3
		.amdhsa_dx10_clamp 1
		.amdhsa_ieee_mode 1
		.amdhsa_fp16_overflow 0
		.amdhsa_tg_split 0
		.amdhsa_exception_fp_ieee_invalid_op 0
		.amdhsa_exception_fp_denorm_src 0
		.amdhsa_exception_fp_ieee_div_zero 0
		.amdhsa_exception_fp_ieee_overflow 0
		.amdhsa_exception_fp_ieee_underflow 0
		.amdhsa_exception_fp_ieee_inexact 0
		.amdhsa_exception_int_div_zero 0
	.end_amdhsa_kernel
	.section	.text._ZN7rocprim17ROCPRIM_400000_NS6detail17trampoline_kernelINS0_14default_configENS1_27upper_bound_config_selectorIxlEEZNS1_14transform_implILb0ES3_S5_N6thrust23THRUST_200600_302600_NS17counting_iteratorIxNS8_11use_defaultESA_SA_EEPlZNS1_13binary_searchIS3_S5_PxSB_SC_NS1_21upper_bound_search_opENS8_6detail16wrapped_functionINS0_4lessIvEEbEEEE10hipError_tPvRmT1_T2_T3_mmT4_T5_P12ihipStream_tbEUlRKxE_EESL_SP_SQ_mSR_SU_bEUlT_E_NS1_11comp_targetILNS1_3genE8ELNS1_11target_archE1030ELNS1_3gpuE2ELNS1_3repE0EEENS1_30default_config_static_selectorELNS0_4arch9wavefront6targetE1EEEvSO_,"axG",@progbits,_ZN7rocprim17ROCPRIM_400000_NS6detail17trampoline_kernelINS0_14default_configENS1_27upper_bound_config_selectorIxlEEZNS1_14transform_implILb0ES3_S5_N6thrust23THRUST_200600_302600_NS17counting_iteratorIxNS8_11use_defaultESA_SA_EEPlZNS1_13binary_searchIS3_S5_PxSB_SC_NS1_21upper_bound_search_opENS8_6detail16wrapped_functionINS0_4lessIvEEbEEEE10hipError_tPvRmT1_T2_T3_mmT4_T5_P12ihipStream_tbEUlRKxE_EESL_SP_SQ_mSR_SU_bEUlT_E_NS1_11comp_targetILNS1_3genE8ELNS1_11target_archE1030ELNS1_3gpuE2ELNS1_3repE0EEENS1_30default_config_static_selectorELNS0_4arch9wavefront6targetE1EEEvSO_,comdat
.Lfunc_end147:
	.size	_ZN7rocprim17ROCPRIM_400000_NS6detail17trampoline_kernelINS0_14default_configENS1_27upper_bound_config_selectorIxlEEZNS1_14transform_implILb0ES3_S5_N6thrust23THRUST_200600_302600_NS17counting_iteratorIxNS8_11use_defaultESA_SA_EEPlZNS1_13binary_searchIS3_S5_PxSB_SC_NS1_21upper_bound_search_opENS8_6detail16wrapped_functionINS0_4lessIvEEbEEEE10hipError_tPvRmT1_T2_T3_mmT4_T5_P12ihipStream_tbEUlRKxE_EESL_SP_SQ_mSR_SU_bEUlT_E_NS1_11comp_targetILNS1_3genE8ELNS1_11target_archE1030ELNS1_3gpuE2ELNS1_3repE0EEENS1_30default_config_static_selectorELNS0_4arch9wavefront6targetE1EEEvSO_, .Lfunc_end147-_ZN7rocprim17ROCPRIM_400000_NS6detail17trampoline_kernelINS0_14default_configENS1_27upper_bound_config_selectorIxlEEZNS1_14transform_implILb0ES3_S5_N6thrust23THRUST_200600_302600_NS17counting_iteratorIxNS8_11use_defaultESA_SA_EEPlZNS1_13binary_searchIS3_S5_PxSB_SC_NS1_21upper_bound_search_opENS8_6detail16wrapped_functionINS0_4lessIvEEbEEEE10hipError_tPvRmT1_T2_T3_mmT4_T5_P12ihipStream_tbEUlRKxE_EESL_SP_SQ_mSR_SU_bEUlT_E_NS1_11comp_targetILNS1_3genE8ELNS1_11target_archE1030ELNS1_3gpuE2ELNS1_3repE0EEENS1_30default_config_static_selectorELNS0_4arch9wavefront6targetE1EEEvSO_
                                        ; -- End function
	.section	.AMDGPU.csdata,"",@progbits
; Kernel info:
; codeLenInByte = 0
; NumSgprs: 4
; NumVgprs: 0
; NumAgprs: 0
; TotalNumVgprs: 0
; ScratchSize: 0
; MemoryBound: 0
; FloatMode: 240
; IeeeMode: 1
; LDSByteSize: 0 bytes/workgroup (compile time only)
; SGPRBlocks: 0
; VGPRBlocks: 0
; NumSGPRsForWavesPerEU: 4
; NumVGPRsForWavesPerEU: 1
; AccumOffset: 4
; Occupancy: 8
; WaveLimiterHint : 0
; COMPUTE_PGM_RSRC2:SCRATCH_EN: 0
; COMPUTE_PGM_RSRC2:USER_SGPR: 6
; COMPUTE_PGM_RSRC2:TRAP_HANDLER: 0
; COMPUTE_PGM_RSRC2:TGID_X_EN: 1
; COMPUTE_PGM_RSRC2:TGID_Y_EN: 0
; COMPUTE_PGM_RSRC2:TGID_Z_EN: 0
; COMPUTE_PGM_RSRC2:TIDIG_COMP_CNT: 0
; COMPUTE_PGM_RSRC3_GFX90A:ACCUM_OFFSET: 0
; COMPUTE_PGM_RSRC3_GFX90A:TG_SPLIT: 0
	.section	.text._Z18upper_bound_kernelIiEvmPT_Pl,"axG",@progbits,_Z18upper_bound_kernelIiEvmPT_Pl,comdat
	.protected	_Z18upper_bound_kernelIiEvmPT_Pl ; -- Begin function _Z18upper_bound_kernelIiEvmPT_Pl
	.globl	_Z18upper_bound_kernelIiEvmPT_Pl
	.p2align	8
	.type	_Z18upper_bound_kernelIiEvmPT_Pl,@function
_Z18upper_bound_kernelIiEvmPT_Pl:       ; @_Z18upper_bound_kernelIiEvmPT_Pl
; %bb.0:
	s_load_dwordx4 s[8:11], s[4:5], 0x0
	s_load_dwordx2 s[6:7], s[4:5], 0x10
	s_mov_b64 s[2:3], 0
	s_waitcnt lgkmcnt(0)
	v_cmp_lt_i64_e64 s[0:1], s[8:9], 1
	s_and_b64 s[0:1], exec, s[0:1]
	s_mov_b64 vcc, s[0:1]
	s_cbranch_vccnz .LBB148_3
; %bb.1:
	s_mov_b64 s[4:5], s[8:9]
.LBB148_2:                              ; =>This Inner Loop Header: Depth=1
	s_sub_u32 s12, s4, s2
	s_subb_u32 s13, s5, s3
	s_lshr_b32 s14, s13, 31
	s_add_u32 s12, s12, s14
	s_addc_u32 s13, s13, 0
	s_ashr_i64 s[12:13], s[12:13], 1
	s_add_u32 s12, s12, s2
	s_addc_u32 s13, s13, s3
	s_lshl_b64 s[14:15], s[12:13], 2
	s_add_u32 s14, s10, s14
	s_addc_u32 s15, s11, s15
	s_load_dword s14, s[14:15], 0x0
	s_add_u32 s15, s12, 1
	s_addc_u32 s16, s13, 0
	s_waitcnt lgkmcnt(0)
	s_cmp_gt_i32 s14, 0
	s_cselect_b32 s5, s13, s5
	s_cselect_b32 s4, s12, s4
	;; [unrolled: 1-line block ×4, first 2 shown]
	v_pk_mov_b32 v[0:1], s[4:5], s[4:5] op_sel:[0,1]
	v_cmp_lt_i64_e32 vcc, s[2:3], v[0:1]
	s_cbranch_vccnz .LBB148_2
.LBB148_3:
	v_cmp_gt_i64_e64 s[4:5], s[8:9], 0
	v_cndmask_b32_e64 v3, 0, 1, s[4:5]
	v_mov_b32_e32 v2, 0
	v_pk_mov_b32 v[0:1], s[2:3], s[2:3] op_sel:[0,1]
	v_cmp_ne_u32_e64 s[2:3], 1, v3
	s_andn2_b64 vcc, exec, s[4:5]
	s_mov_b64 s[4:5], 0
	global_store_dwordx2 v2, v[0:1], s[6:7]
	s_cbranch_vccnz .LBB148_6
; %bb.4:
	s_mov_b64 s[12:13], s[8:9]
.LBB148_5:                              ; =>This Inner Loop Header: Depth=1
	s_sub_u32 s14, s12, s4
	s_subb_u32 s15, s13, s5
	s_lshr_b32 s16, s15, 31
	s_add_u32 s14, s14, s16
	s_addc_u32 s15, s15, 0
	s_ashr_i64 s[14:15], s[14:15], 1
	s_add_u32 s14, s14, s4
	s_addc_u32 s15, s15, s5
	s_lshl_b64 s[16:17], s[14:15], 2
	s_add_u32 s16, s10, s16
	s_addc_u32 s17, s11, s17
	s_load_dword s16, s[16:17], 0x0
	s_add_u32 s17, s14, 1
	s_addc_u32 s18, s15, 0
	s_waitcnt lgkmcnt(0)
	s_cmp_gt_i32 s16, 1
	s_cselect_b32 s13, s15, s13
	s_cselect_b32 s12, s14, s12
	;; [unrolled: 1-line block ×4, first 2 shown]
	v_pk_mov_b32 v[0:1], s[12:13], s[12:13] op_sel:[0,1]
	v_cmp_lt_i64_e32 vcc, s[4:5], v[0:1]
	s_cbranch_vccnz .LBB148_5
.LBB148_6:
	v_mov_b32_e32 v2, 0
	v_pk_mov_b32 v[0:1], s[4:5], s[4:5] op_sel:[0,1]
	s_and_b64 vcc, exec, s[2:3]
	s_mov_b64 s[4:5], 0
	global_store_dwordx2 v2, v[0:1], s[6:7] offset:8
	s_cbranch_vccnz .LBB148_9
; %bb.7:
	s_mov_b64 s[12:13], s[8:9]
.LBB148_8:                              ; =>This Inner Loop Header: Depth=1
	s_sub_u32 s14, s12, s4
	s_subb_u32 s15, s13, s5
	s_lshr_b32 s16, s15, 31
	s_add_u32 s14, s14, s16
	s_addc_u32 s15, s15, 0
	s_ashr_i64 s[14:15], s[14:15], 1
	s_add_u32 s14, s14, s4
	s_addc_u32 s15, s15, s5
	s_lshl_b64 s[16:17], s[14:15], 2
	s_add_u32 s16, s10, s16
	s_addc_u32 s17, s11, s17
	s_load_dword s16, s[16:17], 0x0
	s_add_u32 s17, s14, 1
	s_addc_u32 s18, s15, 0
	s_waitcnt lgkmcnt(0)
	s_cmp_gt_i32 s16, 2
	s_cselect_b32 s13, s15, s13
	s_cselect_b32 s12, s14, s12
	;; [unrolled: 1-line block ×4, first 2 shown]
	v_pk_mov_b32 v[0:1], s[12:13], s[12:13] op_sel:[0,1]
	v_cmp_lt_i64_e32 vcc, s[4:5], v[0:1]
	s_cbranch_vccnz .LBB148_8
.LBB148_9:
	v_mov_b32_e32 v2, 0
	v_pk_mov_b32 v[0:1], s[4:5], s[4:5] op_sel:[0,1]
	s_and_b64 vcc, exec, s[2:3]
	s_mov_b64 s[4:5], 0
	global_store_dwordx2 v2, v[0:1], s[6:7] offset:16
	s_cbranch_vccnz .LBB148_12
; %bb.10:
	s_mov_b64 s[12:13], s[8:9]
.LBB148_11:                             ; =>This Inner Loop Header: Depth=1
	s_sub_u32 s14, s12, s4
	s_subb_u32 s15, s13, s5
	s_lshr_b32 s16, s15, 31
	s_add_u32 s14, s14, s16
	s_addc_u32 s15, s15, 0
	s_ashr_i64 s[14:15], s[14:15], 1
	s_add_u32 s14, s14, s4
	s_addc_u32 s15, s15, s5
	s_lshl_b64 s[16:17], s[14:15], 2
	s_add_u32 s16, s10, s16
	s_addc_u32 s17, s11, s17
	s_load_dword s16, s[16:17], 0x0
	s_add_u32 s17, s14, 1
	s_addc_u32 s18, s15, 0
	s_waitcnt lgkmcnt(0)
	s_cmp_gt_i32 s16, 3
	s_cselect_b32 s13, s15, s13
	s_cselect_b32 s12, s14, s12
	s_cselect_b32 s5, s5, s18
	s_cselect_b32 s4, s4, s17
	v_pk_mov_b32 v[0:1], s[12:13], s[12:13] op_sel:[0,1]
	v_cmp_lt_i64_e32 vcc, s[4:5], v[0:1]
	s_cbranch_vccnz .LBB148_11
.LBB148_12:
	v_mov_b32_e32 v2, 0
	v_pk_mov_b32 v[0:1], s[4:5], s[4:5] op_sel:[0,1]
	s_and_b64 vcc, exec, s[2:3]
	s_mov_b64 s[4:5], 0
	global_store_dwordx2 v2, v[0:1], s[6:7] offset:24
	s_cbranch_vccnz .LBB148_15
; %bb.13:
	s_mov_b64 s[12:13], s[8:9]
.LBB148_14:                             ; =>This Inner Loop Header: Depth=1
	s_sub_u32 s14, s12, s4
	s_subb_u32 s15, s13, s5
	s_lshr_b32 s16, s15, 31
	s_add_u32 s14, s14, s16
	s_addc_u32 s15, s15, 0
	s_ashr_i64 s[14:15], s[14:15], 1
	s_add_u32 s14, s14, s4
	s_addc_u32 s15, s15, s5
	s_lshl_b64 s[16:17], s[14:15], 2
	s_add_u32 s16, s10, s16
	s_addc_u32 s17, s11, s17
	s_load_dword s16, s[16:17], 0x0
	s_add_u32 s17, s14, 1
	s_addc_u32 s18, s15, 0
	s_waitcnt lgkmcnt(0)
	s_cmp_gt_i32 s16, 4
	s_cselect_b32 s13, s15, s13
	s_cselect_b32 s12, s14, s12
	s_cselect_b32 s5, s5, s18
	s_cselect_b32 s4, s4, s17
	v_pk_mov_b32 v[0:1], s[12:13], s[12:13] op_sel:[0,1]
	v_cmp_lt_i64_e32 vcc, s[4:5], v[0:1]
	s_cbranch_vccnz .LBB148_14
.LBB148_15:
	;; [unrolled: 33-line block ×5, first 2 shown]
	v_mov_b32_e32 v0, 0
	v_pk_mov_b32 v[2:3], s[2:3], s[2:3] op_sel:[0,1]
	s_mov_b64 vcc, s[0:1]
	global_store_dwordx2 v0, v[2:3], s[6:7] offset:56
	s_cbranch_vccz .LBB148_26
; %bb.25:
	v_mov_b32_e32 v1, v0
	global_store_dwordx2 v0, v[0:1], s[6:7] offset:64
	s_mov_b64 s[0:1], 0
	s_cbranch_execz .LBB148_27
	s_branch .LBB148_31
.LBB148_26:
                                        ; implicit-def: $sgpr0_sgpr1
.LBB148_27:
	s_mov_b64 s[0:1], 0
	s_mov_b64 s[2:3], s[8:9]
.LBB148_28:                             ; =>This Inner Loop Header: Depth=1
	s_sub_u32 s4, s2, s0
	s_subb_u32 s5, s3, s1
	s_lshr_b32 s12, s5, 31
	s_add_u32 s4, s4, s12
	s_addc_u32 s5, s5, 0
	s_ashr_i64 s[4:5], s[4:5], 1
	s_add_u32 s4, s4, s0
	s_addc_u32 s5, s5, s1
	s_lshl_b64 s[12:13], s[4:5], 2
	s_add_u32 s12, s10, s12
	s_addc_u32 s13, s11, s13
	s_load_dword s12, s[12:13], 0x0
	s_add_u32 s13, s4, 1
	s_addc_u32 s14, s5, 0
	s_waitcnt lgkmcnt(0)
	s_cmp_gt_i32 s12, 8
	s_cselect_b32 s3, s5, s3
	s_cselect_b32 s2, s4, s2
	;; [unrolled: 1-line block ×4, first 2 shown]
	v_pk_mov_b32 v[0:1], s[2:3], s[2:3] op_sel:[0,1]
	v_cmp_lt_i64_e32 vcc, s[0:1], v[0:1]
	s_cbranch_vccnz .LBB148_28
; %bb.29:
	v_mov_b32_e32 v2, 0
	v_pk_mov_b32 v[0:1], s[0:1], s[0:1] op_sel:[0,1]
	s_mov_b64 s[0:1], 0
	global_store_dwordx2 v2, v[0:1], s[6:7] offset:64
.LBB148_30:                             ; =>This Inner Loop Header: Depth=1
	s_sub_u32 s2, s8, s0
	s_subb_u32 s3, s9, s1
	s_lshr_b32 s4, s3, 31
	s_add_u32 s2, s2, s4
	s_addc_u32 s3, s3, 0
	s_ashr_i64 s[2:3], s[2:3], 1
	s_add_u32 s2, s2, s0
	s_addc_u32 s3, s3, s1
	s_lshl_b64 s[4:5], s[2:3], 2
	s_add_u32 s4, s10, s4
	s_addc_u32 s5, s11, s5
	s_load_dword s4, s[4:5], 0x0
	s_add_u32 s5, s2, 1
	s_addc_u32 s12, s3, 0
	s_waitcnt lgkmcnt(0)
	s_cmp_gt_i32 s4, 9
	s_cselect_b32 s9, s3, s9
	s_cselect_b32 s8, s2, s8
	;; [unrolled: 1-line block ×4, first 2 shown]
	v_pk_mov_b32 v[0:1], s[8:9], s[8:9] op_sel:[0,1]
	v_cmp_ge_i64_e32 vcc, s[0:1], v[0:1]
	s_cbranch_vccz .LBB148_30
.LBB148_31:
	v_mov_b32_e32 v2, 0
	v_pk_mov_b32 v[0:1], s[0:1], s[0:1] op_sel:[0,1]
	global_store_dwordx2 v2, v[0:1], s[6:7] offset:72
	s_endpgm
	.section	.rodata,"a",@progbits
	.p2align	6, 0x0
	.amdhsa_kernel _Z18upper_bound_kernelIiEvmPT_Pl
		.amdhsa_group_segment_fixed_size 0
		.amdhsa_private_segment_fixed_size 0
		.amdhsa_kernarg_size 24
		.amdhsa_user_sgpr_count 6
		.amdhsa_user_sgpr_private_segment_buffer 1
		.amdhsa_user_sgpr_dispatch_ptr 0
		.amdhsa_user_sgpr_queue_ptr 0
		.amdhsa_user_sgpr_kernarg_segment_ptr 1
		.amdhsa_user_sgpr_dispatch_id 0
		.amdhsa_user_sgpr_flat_scratch_init 0
		.amdhsa_user_sgpr_kernarg_preload_length 0
		.amdhsa_user_sgpr_kernarg_preload_offset 0
		.amdhsa_user_sgpr_private_segment_size 0
		.amdhsa_uses_dynamic_stack 0
		.amdhsa_system_sgpr_private_segment_wavefront_offset 0
		.amdhsa_system_sgpr_workgroup_id_x 1
		.amdhsa_system_sgpr_workgroup_id_y 0
		.amdhsa_system_sgpr_workgroup_id_z 0
		.amdhsa_system_sgpr_workgroup_info 0
		.amdhsa_system_vgpr_workitem_id 0
		.amdhsa_next_free_vgpr 4
		.amdhsa_next_free_sgpr 19
		.amdhsa_accum_offset 4
		.amdhsa_reserve_vcc 1
		.amdhsa_reserve_flat_scratch 0
		.amdhsa_float_round_mode_32 0
		.amdhsa_float_round_mode_16_64 0
		.amdhsa_float_denorm_mode_32 3
		.amdhsa_float_denorm_mode_16_64 3
		.amdhsa_dx10_clamp 1
		.amdhsa_ieee_mode 1
		.amdhsa_fp16_overflow 0
		.amdhsa_tg_split 0
		.amdhsa_exception_fp_ieee_invalid_op 0
		.amdhsa_exception_fp_denorm_src 0
		.amdhsa_exception_fp_ieee_div_zero 0
		.amdhsa_exception_fp_ieee_overflow 0
		.amdhsa_exception_fp_ieee_underflow 0
		.amdhsa_exception_fp_ieee_inexact 0
		.amdhsa_exception_int_div_zero 0
	.end_amdhsa_kernel
	.section	.text._Z18upper_bound_kernelIiEvmPT_Pl,"axG",@progbits,_Z18upper_bound_kernelIiEvmPT_Pl,comdat
.Lfunc_end148:
	.size	_Z18upper_bound_kernelIiEvmPT_Pl, .Lfunc_end148-_Z18upper_bound_kernelIiEvmPT_Pl
                                        ; -- End function
	.section	.AMDGPU.csdata,"",@progbits
; Kernel info:
; codeLenInByte = 1432
; NumSgprs: 23
; NumVgprs: 4
; NumAgprs: 0
; TotalNumVgprs: 4
; ScratchSize: 0
; MemoryBound: 0
; FloatMode: 240
; IeeeMode: 1
; LDSByteSize: 0 bytes/workgroup (compile time only)
; SGPRBlocks: 2
; VGPRBlocks: 0
; NumSGPRsForWavesPerEU: 23
; NumVGPRsForWavesPerEU: 4
; AccumOffset: 4
; Occupancy: 8
; WaveLimiterHint : 0
; COMPUTE_PGM_RSRC2:SCRATCH_EN: 0
; COMPUTE_PGM_RSRC2:USER_SGPR: 6
; COMPUTE_PGM_RSRC2:TRAP_HANDLER: 0
; COMPUTE_PGM_RSRC2:TGID_X_EN: 1
; COMPUTE_PGM_RSRC2:TGID_Y_EN: 0
; COMPUTE_PGM_RSRC2:TGID_Z_EN: 0
; COMPUTE_PGM_RSRC2:TIDIG_COMP_CNT: 0
; COMPUTE_PGM_RSRC3_GFX90A:ACCUM_OFFSET: 0
; COMPUTE_PGM_RSRC3_GFX90A:TG_SPLIT: 0
	.section	.text._ZN7rocprim17ROCPRIM_400000_NS6detail17trampoline_kernelINS0_14default_configENS1_27upper_bound_config_selectorIilEEZNS1_14transform_implILb0ES3_S5_N6thrust23THRUST_200600_302600_NS17counting_iteratorIiNS8_11use_defaultESA_SA_EEPlZNS1_13binary_searchIS3_S5_PiSB_SC_NS1_21upper_bound_search_opENS8_6detail16wrapped_functionINS0_4lessIvEEbEEEE10hipError_tPvRmT1_T2_T3_mmT4_T5_P12ihipStream_tbEUlRKiE_EESL_SP_SQ_mSR_SU_bEUlT_E_NS1_11comp_targetILNS1_3genE0ELNS1_11target_archE4294967295ELNS1_3gpuE0ELNS1_3repE0EEENS1_30default_config_static_selectorELNS0_4arch9wavefront6targetE1EEEvSO_,"axG",@progbits,_ZN7rocprim17ROCPRIM_400000_NS6detail17trampoline_kernelINS0_14default_configENS1_27upper_bound_config_selectorIilEEZNS1_14transform_implILb0ES3_S5_N6thrust23THRUST_200600_302600_NS17counting_iteratorIiNS8_11use_defaultESA_SA_EEPlZNS1_13binary_searchIS3_S5_PiSB_SC_NS1_21upper_bound_search_opENS8_6detail16wrapped_functionINS0_4lessIvEEbEEEE10hipError_tPvRmT1_T2_T3_mmT4_T5_P12ihipStream_tbEUlRKiE_EESL_SP_SQ_mSR_SU_bEUlT_E_NS1_11comp_targetILNS1_3genE0ELNS1_11target_archE4294967295ELNS1_3gpuE0ELNS1_3repE0EEENS1_30default_config_static_selectorELNS0_4arch9wavefront6targetE1EEEvSO_,comdat
	.protected	_ZN7rocprim17ROCPRIM_400000_NS6detail17trampoline_kernelINS0_14default_configENS1_27upper_bound_config_selectorIilEEZNS1_14transform_implILb0ES3_S5_N6thrust23THRUST_200600_302600_NS17counting_iteratorIiNS8_11use_defaultESA_SA_EEPlZNS1_13binary_searchIS3_S5_PiSB_SC_NS1_21upper_bound_search_opENS8_6detail16wrapped_functionINS0_4lessIvEEbEEEE10hipError_tPvRmT1_T2_T3_mmT4_T5_P12ihipStream_tbEUlRKiE_EESL_SP_SQ_mSR_SU_bEUlT_E_NS1_11comp_targetILNS1_3genE0ELNS1_11target_archE4294967295ELNS1_3gpuE0ELNS1_3repE0EEENS1_30default_config_static_selectorELNS0_4arch9wavefront6targetE1EEEvSO_ ; -- Begin function _ZN7rocprim17ROCPRIM_400000_NS6detail17trampoline_kernelINS0_14default_configENS1_27upper_bound_config_selectorIilEEZNS1_14transform_implILb0ES3_S5_N6thrust23THRUST_200600_302600_NS17counting_iteratorIiNS8_11use_defaultESA_SA_EEPlZNS1_13binary_searchIS3_S5_PiSB_SC_NS1_21upper_bound_search_opENS8_6detail16wrapped_functionINS0_4lessIvEEbEEEE10hipError_tPvRmT1_T2_T3_mmT4_T5_P12ihipStream_tbEUlRKiE_EESL_SP_SQ_mSR_SU_bEUlT_E_NS1_11comp_targetILNS1_3genE0ELNS1_11target_archE4294967295ELNS1_3gpuE0ELNS1_3repE0EEENS1_30default_config_static_selectorELNS0_4arch9wavefront6targetE1EEEvSO_
	.globl	_ZN7rocprim17ROCPRIM_400000_NS6detail17trampoline_kernelINS0_14default_configENS1_27upper_bound_config_selectorIilEEZNS1_14transform_implILb0ES3_S5_N6thrust23THRUST_200600_302600_NS17counting_iteratorIiNS8_11use_defaultESA_SA_EEPlZNS1_13binary_searchIS3_S5_PiSB_SC_NS1_21upper_bound_search_opENS8_6detail16wrapped_functionINS0_4lessIvEEbEEEE10hipError_tPvRmT1_T2_T3_mmT4_T5_P12ihipStream_tbEUlRKiE_EESL_SP_SQ_mSR_SU_bEUlT_E_NS1_11comp_targetILNS1_3genE0ELNS1_11target_archE4294967295ELNS1_3gpuE0ELNS1_3repE0EEENS1_30default_config_static_selectorELNS0_4arch9wavefront6targetE1EEEvSO_
	.p2align	8
	.type	_ZN7rocprim17ROCPRIM_400000_NS6detail17trampoline_kernelINS0_14default_configENS1_27upper_bound_config_selectorIilEEZNS1_14transform_implILb0ES3_S5_N6thrust23THRUST_200600_302600_NS17counting_iteratorIiNS8_11use_defaultESA_SA_EEPlZNS1_13binary_searchIS3_S5_PiSB_SC_NS1_21upper_bound_search_opENS8_6detail16wrapped_functionINS0_4lessIvEEbEEEE10hipError_tPvRmT1_T2_T3_mmT4_T5_P12ihipStream_tbEUlRKiE_EESL_SP_SQ_mSR_SU_bEUlT_E_NS1_11comp_targetILNS1_3genE0ELNS1_11target_archE4294967295ELNS1_3gpuE0ELNS1_3repE0EEENS1_30default_config_static_selectorELNS0_4arch9wavefront6targetE1EEEvSO_,@function
_ZN7rocprim17ROCPRIM_400000_NS6detail17trampoline_kernelINS0_14default_configENS1_27upper_bound_config_selectorIilEEZNS1_14transform_implILb0ES3_S5_N6thrust23THRUST_200600_302600_NS17counting_iteratorIiNS8_11use_defaultESA_SA_EEPlZNS1_13binary_searchIS3_S5_PiSB_SC_NS1_21upper_bound_search_opENS8_6detail16wrapped_functionINS0_4lessIvEEbEEEE10hipError_tPvRmT1_T2_T3_mmT4_T5_P12ihipStream_tbEUlRKiE_EESL_SP_SQ_mSR_SU_bEUlT_E_NS1_11comp_targetILNS1_3genE0ELNS1_11target_archE4294967295ELNS1_3gpuE0ELNS1_3repE0EEENS1_30default_config_static_selectorELNS0_4arch9wavefront6targetE1EEEvSO_: ; @_ZN7rocprim17ROCPRIM_400000_NS6detail17trampoline_kernelINS0_14default_configENS1_27upper_bound_config_selectorIilEEZNS1_14transform_implILb0ES3_S5_N6thrust23THRUST_200600_302600_NS17counting_iteratorIiNS8_11use_defaultESA_SA_EEPlZNS1_13binary_searchIS3_S5_PiSB_SC_NS1_21upper_bound_search_opENS8_6detail16wrapped_functionINS0_4lessIvEEbEEEE10hipError_tPvRmT1_T2_T3_mmT4_T5_P12ihipStream_tbEUlRKiE_EESL_SP_SQ_mSR_SU_bEUlT_E_NS1_11comp_targetILNS1_3genE0ELNS1_11target_archE4294967295ELNS1_3gpuE0ELNS1_3repE0EEENS1_30default_config_static_selectorELNS0_4arch9wavefront6targetE1EEEvSO_
; %bb.0:
	.section	.rodata,"a",@progbits
	.p2align	6, 0x0
	.amdhsa_kernel _ZN7rocprim17ROCPRIM_400000_NS6detail17trampoline_kernelINS0_14default_configENS1_27upper_bound_config_selectorIilEEZNS1_14transform_implILb0ES3_S5_N6thrust23THRUST_200600_302600_NS17counting_iteratorIiNS8_11use_defaultESA_SA_EEPlZNS1_13binary_searchIS3_S5_PiSB_SC_NS1_21upper_bound_search_opENS8_6detail16wrapped_functionINS0_4lessIvEEbEEEE10hipError_tPvRmT1_T2_T3_mmT4_T5_P12ihipStream_tbEUlRKiE_EESL_SP_SQ_mSR_SU_bEUlT_E_NS1_11comp_targetILNS1_3genE0ELNS1_11target_archE4294967295ELNS1_3gpuE0ELNS1_3repE0EEENS1_30default_config_static_selectorELNS0_4arch9wavefront6targetE1EEEvSO_
		.amdhsa_group_segment_fixed_size 0
		.amdhsa_private_segment_fixed_size 0
		.amdhsa_kernarg_size 56
		.amdhsa_user_sgpr_count 6
		.amdhsa_user_sgpr_private_segment_buffer 1
		.amdhsa_user_sgpr_dispatch_ptr 0
		.amdhsa_user_sgpr_queue_ptr 0
		.amdhsa_user_sgpr_kernarg_segment_ptr 1
		.amdhsa_user_sgpr_dispatch_id 0
		.amdhsa_user_sgpr_flat_scratch_init 0
		.amdhsa_user_sgpr_kernarg_preload_length 0
		.amdhsa_user_sgpr_kernarg_preload_offset 0
		.amdhsa_user_sgpr_private_segment_size 0
		.amdhsa_uses_dynamic_stack 0
		.amdhsa_system_sgpr_private_segment_wavefront_offset 0
		.amdhsa_system_sgpr_workgroup_id_x 1
		.amdhsa_system_sgpr_workgroup_id_y 0
		.amdhsa_system_sgpr_workgroup_id_z 0
		.amdhsa_system_sgpr_workgroup_info 0
		.amdhsa_system_vgpr_workitem_id 0
		.amdhsa_next_free_vgpr 1
		.amdhsa_next_free_sgpr 0
		.amdhsa_accum_offset 4
		.amdhsa_reserve_vcc 0
		.amdhsa_reserve_flat_scratch 0
		.amdhsa_float_round_mode_32 0
		.amdhsa_float_round_mode_16_64 0
		.amdhsa_float_denorm_mode_32 3
		.amdhsa_float_denorm_mode_16_64 3
		.amdhsa_dx10_clamp 1
		.amdhsa_ieee_mode 1
		.amdhsa_fp16_overflow 0
		.amdhsa_tg_split 0
		.amdhsa_exception_fp_ieee_invalid_op 0
		.amdhsa_exception_fp_denorm_src 0
		.amdhsa_exception_fp_ieee_div_zero 0
		.amdhsa_exception_fp_ieee_overflow 0
		.amdhsa_exception_fp_ieee_underflow 0
		.amdhsa_exception_fp_ieee_inexact 0
		.amdhsa_exception_int_div_zero 0
	.end_amdhsa_kernel
	.section	.text._ZN7rocprim17ROCPRIM_400000_NS6detail17trampoline_kernelINS0_14default_configENS1_27upper_bound_config_selectorIilEEZNS1_14transform_implILb0ES3_S5_N6thrust23THRUST_200600_302600_NS17counting_iteratorIiNS8_11use_defaultESA_SA_EEPlZNS1_13binary_searchIS3_S5_PiSB_SC_NS1_21upper_bound_search_opENS8_6detail16wrapped_functionINS0_4lessIvEEbEEEE10hipError_tPvRmT1_T2_T3_mmT4_T5_P12ihipStream_tbEUlRKiE_EESL_SP_SQ_mSR_SU_bEUlT_E_NS1_11comp_targetILNS1_3genE0ELNS1_11target_archE4294967295ELNS1_3gpuE0ELNS1_3repE0EEENS1_30default_config_static_selectorELNS0_4arch9wavefront6targetE1EEEvSO_,"axG",@progbits,_ZN7rocprim17ROCPRIM_400000_NS6detail17trampoline_kernelINS0_14default_configENS1_27upper_bound_config_selectorIilEEZNS1_14transform_implILb0ES3_S5_N6thrust23THRUST_200600_302600_NS17counting_iteratorIiNS8_11use_defaultESA_SA_EEPlZNS1_13binary_searchIS3_S5_PiSB_SC_NS1_21upper_bound_search_opENS8_6detail16wrapped_functionINS0_4lessIvEEbEEEE10hipError_tPvRmT1_T2_T3_mmT4_T5_P12ihipStream_tbEUlRKiE_EESL_SP_SQ_mSR_SU_bEUlT_E_NS1_11comp_targetILNS1_3genE0ELNS1_11target_archE4294967295ELNS1_3gpuE0ELNS1_3repE0EEENS1_30default_config_static_selectorELNS0_4arch9wavefront6targetE1EEEvSO_,comdat
.Lfunc_end149:
	.size	_ZN7rocprim17ROCPRIM_400000_NS6detail17trampoline_kernelINS0_14default_configENS1_27upper_bound_config_selectorIilEEZNS1_14transform_implILb0ES3_S5_N6thrust23THRUST_200600_302600_NS17counting_iteratorIiNS8_11use_defaultESA_SA_EEPlZNS1_13binary_searchIS3_S5_PiSB_SC_NS1_21upper_bound_search_opENS8_6detail16wrapped_functionINS0_4lessIvEEbEEEE10hipError_tPvRmT1_T2_T3_mmT4_T5_P12ihipStream_tbEUlRKiE_EESL_SP_SQ_mSR_SU_bEUlT_E_NS1_11comp_targetILNS1_3genE0ELNS1_11target_archE4294967295ELNS1_3gpuE0ELNS1_3repE0EEENS1_30default_config_static_selectorELNS0_4arch9wavefront6targetE1EEEvSO_, .Lfunc_end149-_ZN7rocprim17ROCPRIM_400000_NS6detail17trampoline_kernelINS0_14default_configENS1_27upper_bound_config_selectorIilEEZNS1_14transform_implILb0ES3_S5_N6thrust23THRUST_200600_302600_NS17counting_iteratorIiNS8_11use_defaultESA_SA_EEPlZNS1_13binary_searchIS3_S5_PiSB_SC_NS1_21upper_bound_search_opENS8_6detail16wrapped_functionINS0_4lessIvEEbEEEE10hipError_tPvRmT1_T2_T3_mmT4_T5_P12ihipStream_tbEUlRKiE_EESL_SP_SQ_mSR_SU_bEUlT_E_NS1_11comp_targetILNS1_3genE0ELNS1_11target_archE4294967295ELNS1_3gpuE0ELNS1_3repE0EEENS1_30default_config_static_selectorELNS0_4arch9wavefront6targetE1EEEvSO_
                                        ; -- End function
	.section	.AMDGPU.csdata,"",@progbits
; Kernel info:
; codeLenInByte = 0
; NumSgprs: 4
; NumVgprs: 0
; NumAgprs: 0
; TotalNumVgprs: 0
; ScratchSize: 0
; MemoryBound: 0
; FloatMode: 240
; IeeeMode: 1
; LDSByteSize: 0 bytes/workgroup (compile time only)
; SGPRBlocks: 0
; VGPRBlocks: 0
; NumSGPRsForWavesPerEU: 4
; NumVGPRsForWavesPerEU: 1
; AccumOffset: 4
; Occupancy: 8
; WaveLimiterHint : 0
; COMPUTE_PGM_RSRC2:SCRATCH_EN: 0
; COMPUTE_PGM_RSRC2:USER_SGPR: 6
; COMPUTE_PGM_RSRC2:TRAP_HANDLER: 0
; COMPUTE_PGM_RSRC2:TGID_X_EN: 1
; COMPUTE_PGM_RSRC2:TGID_Y_EN: 0
; COMPUTE_PGM_RSRC2:TGID_Z_EN: 0
; COMPUTE_PGM_RSRC2:TIDIG_COMP_CNT: 0
; COMPUTE_PGM_RSRC3_GFX90A:ACCUM_OFFSET: 0
; COMPUTE_PGM_RSRC3_GFX90A:TG_SPLIT: 0
	.section	.text._ZN7rocprim17ROCPRIM_400000_NS6detail17trampoline_kernelINS0_14default_configENS1_27upper_bound_config_selectorIilEEZNS1_14transform_implILb0ES3_S5_N6thrust23THRUST_200600_302600_NS17counting_iteratorIiNS8_11use_defaultESA_SA_EEPlZNS1_13binary_searchIS3_S5_PiSB_SC_NS1_21upper_bound_search_opENS8_6detail16wrapped_functionINS0_4lessIvEEbEEEE10hipError_tPvRmT1_T2_T3_mmT4_T5_P12ihipStream_tbEUlRKiE_EESL_SP_SQ_mSR_SU_bEUlT_E_NS1_11comp_targetILNS1_3genE5ELNS1_11target_archE942ELNS1_3gpuE9ELNS1_3repE0EEENS1_30default_config_static_selectorELNS0_4arch9wavefront6targetE1EEEvSO_,"axG",@progbits,_ZN7rocprim17ROCPRIM_400000_NS6detail17trampoline_kernelINS0_14default_configENS1_27upper_bound_config_selectorIilEEZNS1_14transform_implILb0ES3_S5_N6thrust23THRUST_200600_302600_NS17counting_iteratorIiNS8_11use_defaultESA_SA_EEPlZNS1_13binary_searchIS3_S5_PiSB_SC_NS1_21upper_bound_search_opENS8_6detail16wrapped_functionINS0_4lessIvEEbEEEE10hipError_tPvRmT1_T2_T3_mmT4_T5_P12ihipStream_tbEUlRKiE_EESL_SP_SQ_mSR_SU_bEUlT_E_NS1_11comp_targetILNS1_3genE5ELNS1_11target_archE942ELNS1_3gpuE9ELNS1_3repE0EEENS1_30default_config_static_selectorELNS0_4arch9wavefront6targetE1EEEvSO_,comdat
	.protected	_ZN7rocprim17ROCPRIM_400000_NS6detail17trampoline_kernelINS0_14default_configENS1_27upper_bound_config_selectorIilEEZNS1_14transform_implILb0ES3_S5_N6thrust23THRUST_200600_302600_NS17counting_iteratorIiNS8_11use_defaultESA_SA_EEPlZNS1_13binary_searchIS3_S5_PiSB_SC_NS1_21upper_bound_search_opENS8_6detail16wrapped_functionINS0_4lessIvEEbEEEE10hipError_tPvRmT1_T2_T3_mmT4_T5_P12ihipStream_tbEUlRKiE_EESL_SP_SQ_mSR_SU_bEUlT_E_NS1_11comp_targetILNS1_3genE5ELNS1_11target_archE942ELNS1_3gpuE9ELNS1_3repE0EEENS1_30default_config_static_selectorELNS0_4arch9wavefront6targetE1EEEvSO_ ; -- Begin function _ZN7rocprim17ROCPRIM_400000_NS6detail17trampoline_kernelINS0_14default_configENS1_27upper_bound_config_selectorIilEEZNS1_14transform_implILb0ES3_S5_N6thrust23THRUST_200600_302600_NS17counting_iteratorIiNS8_11use_defaultESA_SA_EEPlZNS1_13binary_searchIS3_S5_PiSB_SC_NS1_21upper_bound_search_opENS8_6detail16wrapped_functionINS0_4lessIvEEbEEEE10hipError_tPvRmT1_T2_T3_mmT4_T5_P12ihipStream_tbEUlRKiE_EESL_SP_SQ_mSR_SU_bEUlT_E_NS1_11comp_targetILNS1_3genE5ELNS1_11target_archE942ELNS1_3gpuE9ELNS1_3repE0EEENS1_30default_config_static_selectorELNS0_4arch9wavefront6targetE1EEEvSO_
	.globl	_ZN7rocprim17ROCPRIM_400000_NS6detail17trampoline_kernelINS0_14default_configENS1_27upper_bound_config_selectorIilEEZNS1_14transform_implILb0ES3_S5_N6thrust23THRUST_200600_302600_NS17counting_iteratorIiNS8_11use_defaultESA_SA_EEPlZNS1_13binary_searchIS3_S5_PiSB_SC_NS1_21upper_bound_search_opENS8_6detail16wrapped_functionINS0_4lessIvEEbEEEE10hipError_tPvRmT1_T2_T3_mmT4_T5_P12ihipStream_tbEUlRKiE_EESL_SP_SQ_mSR_SU_bEUlT_E_NS1_11comp_targetILNS1_3genE5ELNS1_11target_archE942ELNS1_3gpuE9ELNS1_3repE0EEENS1_30default_config_static_selectorELNS0_4arch9wavefront6targetE1EEEvSO_
	.p2align	8
	.type	_ZN7rocprim17ROCPRIM_400000_NS6detail17trampoline_kernelINS0_14default_configENS1_27upper_bound_config_selectorIilEEZNS1_14transform_implILb0ES3_S5_N6thrust23THRUST_200600_302600_NS17counting_iteratorIiNS8_11use_defaultESA_SA_EEPlZNS1_13binary_searchIS3_S5_PiSB_SC_NS1_21upper_bound_search_opENS8_6detail16wrapped_functionINS0_4lessIvEEbEEEE10hipError_tPvRmT1_T2_T3_mmT4_T5_P12ihipStream_tbEUlRKiE_EESL_SP_SQ_mSR_SU_bEUlT_E_NS1_11comp_targetILNS1_3genE5ELNS1_11target_archE942ELNS1_3gpuE9ELNS1_3repE0EEENS1_30default_config_static_selectorELNS0_4arch9wavefront6targetE1EEEvSO_,@function
_ZN7rocprim17ROCPRIM_400000_NS6detail17trampoline_kernelINS0_14default_configENS1_27upper_bound_config_selectorIilEEZNS1_14transform_implILb0ES3_S5_N6thrust23THRUST_200600_302600_NS17counting_iteratorIiNS8_11use_defaultESA_SA_EEPlZNS1_13binary_searchIS3_S5_PiSB_SC_NS1_21upper_bound_search_opENS8_6detail16wrapped_functionINS0_4lessIvEEbEEEE10hipError_tPvRmT1_T2_T3_mmT4_T5_P12ihipStream_tbEUlRKiE_EESL_SP_SQ_mSR_SU_bEUlT_E_NS1_11comp_targetILNS1_3genE5ELNS1_11target_archE942ELNS1_3gpuE9ELNS1_3repE0EEENS1_30default_config_static_selectorELNS0_4arch9wavefront6targetE1EEEvSO_: ; @_ZN7rocprim17ROCPRIM_400000_NS6detail17trampoline_kernelINS0_14default_configENS1_27upper_bound_config_selectorIilEEZNS1_14transform_implILb0ES3_S5_N6thrust23THRUST_200600_302600_NS17counting_iteratorIiNS8_11use_defaultESA_SA_EEPlZNS1_13binary_searchIS3_S5_PiSB_SC_NS1_21upper_bound_search_opENS8_6detail16wrapped_functionINS0_4lessIvEEbEEEE10hipError_tPvRmT1_T2_T3_mmT4_T5_P12ihipStream_tbEUlRKiE_EESL_SP_SQ_mSR_SU_bEUlT_E_NS1_11comp_targetILNS1_3genE5ELNS1_11target_archE942ELNS1_3gpuE9ELNS1_3repE0EEENS1_30default_config_static_selectorELNS0_4arch9wavefront6targetE1EEEvSO_
; %bb.0:
	.section	.rodata,"a",@progbits
	.p2align	6, 0x0
	.amdhsa_kernel _ZN7rocprim17ROCPRIM_400000_NS6detail17trampoline_kernelINS0_14default_configENS1_27upper_bound_config_selectorIilEEZNS1_14transform_implILb0ES3_S5_N6thrust23THRUST_200600_302600_NS17counting_iteratorIiNS8_11use_defaultESA_SA_EEPlZNS1_13binary_searchIS3_S5_PiSB_SC_NS1_21upper_bound_search_opENS8_6detail16wrapped_functionINS0_4lessIvEEbEEEE10hipError_tPvRmT1_T2_T3_mmT4_T5_P12ihipStream_tbEUlRKiE_EESL_SP_SQ_mSR_SU_bEUlT_E_NS1_11comp_targetILNS1_3genE5ELNS1_11target_archE942ELNS1_3gpuE9ELNS1_3repE0EEENS1_30default_config_static_selectorELNS0_4arch9wavefront6targetE1EEEvSO_
		.amdhsa_group_segment_fixed_size 0
		.amdhsa_private_segment_fixed_size 0
		.amdhsa_kernarg_size 56
		.amdhsa_user_sgpr_count 6
		.amdhsa_user_sgpr_private_segment_buffer 1
		.amdhsa_user_sgpr_dispatch_ptr 0
		.amdhsa_user_sgpr_queue_ptr 0
		.amdhsa_user_sgpr_kernarg_segment_ptr 1
		.amdhsa_user_sgpr_dispatch_id 0
		.amdhsa_user_sgpr_flat_scratch_init 0
		.amdhsa_user_sgpr_kernarg_preload_length 0
		.amdhsa_user_sgpr_kernarg_preload_offset 0
		.amdhsa_user_sgpr_private_segment_size 0
		.amdhsa_uses_dynamic_stack 0
		.amdhsa_system_sgpr_private_segment_wavefront_offset 0
		.amdhsa_system_sgpr_workgroup_id_x 1
		.amdhsa_system_sgpr_workgroup_id_y 0
		.amdhsa_system_sgpr_workgroup_id_z 0
		.amdhsa_system_sgpr_workgroup_info 0
		.amdhsa_system_vgpr_workitem_id 0
		.amdhsa_next_free_vgpr 1
		.amdhsa_next_free_sgpr 0
		.amdhsa_accum_offset 4
		.amdhsa_reserve_vcc 0
		.amdhsa_reserve_flat_scratch 0
		.amdhsa_float_round_mode_32 0
		.amdhsa_float_round_mode_16_64 0
		.amdhsa_float_denorm_mode_32 3
		.amdhsa_float_denorm_mode_16_64 3
		.amdhsa_dx10_clamp 1
		.amdhsa_ieee_mode 1
		.amdhsa_fp16_overflow 0
		.amdhsa_tg_split 0
		.amdhsa_exception_fp_ieee_invalid_op 0
		.amdhsa_exception_fp_denorm_src 0
		.amdhsa_exception_fp_ieee_div_zero 0
		.amdhsa_exception_fp_ieee_overflow 0
		.amdhsa_exception_fp_ieee_underflow 0
		.amdhsa_exception_fp_ieee_inexact 0
		.amdhsa_exception_int_div_zero 0
	.end_amdhsa_kernel
	.section	.text._ZN7rocprim17ROCPRIM_400000_NS6detail17trampoline_kernelINS0_14default_configENS1_27upper_bound_config_selectorIilEEZNS1_14transform_implILb0ES3_S5_N6thrust23THRUST_200600_302600_NS17counting_iteratorIiNS8_11use_defaultESA_SA_EEPlZNS1_13binary_searchIS3_S5_PiSB_SC_NS1_21upper_bound_search_opENS8_6detail16wrapped_functionINS0_4lessIvEEbEEEE10hipError_tPvRmT1_T2_T3_mmT4_T5_P12ihipStream_tbEUlRKiE_EESL_SP_SQ_mSR_SU_bEUlT_E_NS1_11comp_targetILNS1_3genE5ELNS1_11target_archE942ELNS1_3gpuE9ELNS1_3repE0EEENS1_30default_config_static_selectorELNS0_4arch9wavefront6targetE1EEEvSO_,"axG",@progbits,_ZN7rocprim17ROCPRIM_400000_NS6detail17trampoline_kernelINS0_14default_configENS1_27upper_bound_config_selectorIilEEZNS1_14transform_implILb0ES3_S5_N6thrust23THRUST_200600_302600_NS17counting_iteratorIiNS8_11use_defaultESA_SA_EEPlZNS1_13binary_searchIS3_S5_PiSB_SC_NS1_21upper_bound_search_opENS8_6detail16wrapped_functionINS0_4lessIvEEbEEEE10hipError_tPvRmT1_T2_T3_mmT4_T5_P12ihipStream_tbEUlRKiE_EESL_SP_SQ_mSR_SU_bEUlT_E_NS1_11comp_targetILNS1_3genE5ELNS1_11target_archE942ELNS1_3gpuE9ELNS1_3repE0EEENS1_30default_config_static_selectorELNS0_4arch9wavefront6targetE1EEEvSO_,comdat
.Lfunc_end150:
	.size	_ZN7rocprim17ROCPRIM_400000_NS6detail17trampoline_kernelINS0_14default_configENS1_27upper_bound_config_selectorIilEEZNS1_14transform_implILb0ES3_S5_N6thrust23THRUST_200600_302600_NS17counting_iteratorIiNS8_11use_defaultESA_SA_EEPlZNS1_13binary_searchIS3_S5_PiSB_SC_NS1_21upper_bound_search_opENS8_6detail16wrapped_functionINS0_4lessIvEEbEEEE10hipError_tPvRmT1_T2_T3_mmT4_T5_P12ihipStream_tbEUlRKiE_EESL_SP_SQ_mSR_SU_bEUlT_E_NS1_11comp_targetILNS1_3genE5ELNS1_11target_archE942ELNS1_3gpuE9ELNS1_3repE0EEENS1_30default_config_static_selectorELNS0_4arch9wavefront6targetE1EEEvSO_, .Lfunc_end150-_ZN7rocprim17ROCPRIM_400000_NS6detail17trampoline_kernelINS0_14default_configENS1_27upper_bound_config_selectorIilEEZNS1_14transform_implILb0ES3_S5_N6thrust23THRUST_200600_302600_NS17counting_iteratorIiNS8_11use_defaultESA_SA_EEPlZNS1_13binary_searchIS3_S5_PiSB_SC_NS1_21upper_bound_search_opENS8_6detail16wrapped_functionINS0_4lessIvEEbEEEE10hipError_tPvRmT1_T2_T3_mmT4_T5_P12ihipStream_tbEUlRKiE_EESL_SP_SQ_mSR_SU_bEUlT_E_NS1_11comp_targetILNS1_3genE5ELNS1_11target_archE942ELNS1_3gpuE9ELNS1_3repE0EEENS1_30default_config_static_selectorELNS0_4arch9wavefront6targetE1EEEvSO_
                                        ; -- End function
	.section	.AMDGPU.csdata,"",@progbits
; Kernel info:
; codeLenInByte = 0
; NumSgprs: 4
; NumVgprs: 0
; NumAgprs: 0
; TotalNumVgprs: 0
; ScratchSize: 0
; MemoryBound: 0
; FloatMode: 240
; IeeeMode: 1
; LDSByteSize: 0 bytes/workgroup (compile time only)
; SGPRBlocks: 0
; VGPRBlocks: 0
; NumSGPRsForWavesPerEU: 4
; NumVGPRsForWavesPerEU: 1
; AccumOffset: 4
; Occupancy: 8
; WaveLimiterHint : 0
; COMPUTE_PGM_RSRC2:SCRATCH_EN: 0
; COMPUTE_PGM_RSRC2:USER_SGPR: 6
; COMPUTE_PGM_RSRC2:TRAP_HANDLER: 0
; COMPUTE_PGM_RSRC2:TGID_X_EN: 1
; COMPUTE_PGM_RSRC2:TGID_Y_EN: 0
; COMPUTE_PGM_RSRC2:TGID_Z_EN: 0
; COMPUTE_PGM_RSRC2:TIDIG_COMP_CNT: 0
; COMPUTE_PGM_RSRC3_GFX90A:ACCUM_OFFSET: 0
; COMPUTE_PGM_RSRC3_GFX90A:TG_SPLIT: 0
	.section	.text._ZN7rocprim17ROCPRIM_400000_NS6detail17trampoline_kernelINS0_14default_configENS1_27upper_bound_config_selectorIilEEZNS1_14transform_implILb0ES3_S5_N6thrust23THRUST_200600_302600_NS17counting_iteratorIiNS8_11use_defaultESA_SA_EEPlZNS1_13binary_searchIS3_S5_PiSB_SC_NS1_21upper_bound_search_opENS8_6detail16wrapped_functionINS0_4lessIvEEbEEEE10hipError_tPvRmT1_T2_T3_mmT4_T5_P12ihipStream_tbEUlRKiE_EESL_SP_SQ_mSR_SU_bEUlT_E_NS1_11comp_targetILNS1_3genE4ELNS1_11target_archE910ELNS1_3gpuE8ELNS1_3repE0EEENS1_30default_config_static_selectorELNS0_4arch9wavefront6targetE1EEEvSO_,"axG",@progbits,_ZN7rocprim17ROCPRIM_400000_NS6detail17trampoline_kernelINS0_14default_configENS1_27upper_bound_config_selectorIilEEZNS1_14transform_implILb0ES3_S5_N6thrust23THRUST_200600_302600_NS17counting_iteratorIiNS8_11use_defaultESA_SA_EEPlZNS1_13binary_searchIS3_S5_PiSB_SC_NS1_21upper_bound_search_opENS8_6detail16wrapped_functionINS0_4lessIvEEbEEEE10hipError_tPvRmT1_T2_T3_mmT4_T5_P12ihipStream_tbEUlRKiE_EESL_SP_SQ_mSR_SU_bEUlT_E_NS1_11comp_targetILNS1_3genE4ELNS1_11target_archE910ELNS1_3gpuE8ELNS1_3repE0EEENS1_30default_config_static_selectorELNS0_4arch9wavefront6targetE1EEEvSO_,comdat
	.protected	_ZN7rocprim17ROCPRIM_400000_NS6detail17trampoline_kernelINS0_14default_configENS1_27upper_bound_config_selectorIilEEZNS1_14transform_implILb0ES3_S5_N6thrust23THRUST_200600_302600_NS17counting_iteratorIiNS8_11use_defaultESA_SA_EEPlZNS1_13binary_searchIS3_S5_PiSB_SC_NS1_21upper_bound_search_opENS8_6detail16wrapped_functionINS0_4lessIvEEbEEEE10hipError_tPvRmT1_T2_T3_mmT4_T5_P12ihipStream_tbEUlRKiE_EESL_SP_SQ_mSR_SU_bEUlT_E_NS1_11comp_targetILNS1_3genE4ELNS1_11target_archE910ELNS1_3gpuE8ELNS1_3repE0EEENS1_30default_config_static_selectorELNS0_4arch9wavefront6targetE1EEEvSO_ ; -- Begin function _ZN7rocprim17ROCPRIM_400000_NS6detail17trampoline_kernelINS0_14default_configENS1_27upper_bound_config_selectorIilEEZNS1_14transform_implILb0ES3_S5_N6thrust23THRUST_200600_302600_NS17counting_iteratorIiNS8_11use_defaultESA_SA_EEPlZNS1_13binary_searchIS3_S5_PiSB_SC_NS1_21upper_bound_search_opENS8_6detail16wrapped_functionINS0_4lessIvEEbEEEE10hipError_tPvRmT1_T2_T3_mmT4_T5_P12ihipStream_tbEUlRKiE_EESL_SP_SQ_mSR_SU_bEUlT_E_NS1_11comp_targetILNS1_3genE4ELNS1_11target_archE910ELNS1_3gpuE8ELNS1_3repE0EEENS1_30default_config_static_selectorELNS0_4arch9wavefront6targetE1EEEvSO_
	.globl	_ZN7rocprim17ROCPRIM_400000_NS6detail17trampoline_kernelINS0_14default_configENS1_27upper_bound_config_selectorIilEEZNS1_14transform_implILb0ES3_S5_N6thrust23THRUST_200600_302600_NS17counting_iteratorIiNS8_11use_defaultESA_SA_EEPlZNS1_13binary_searchIS3_S5_PiSB_SC_NS1_21upper_bound_search_opENS8_6detail16wrapped_functionINS0_4lessIvEEbEEEE10hipError_tPvRmT1_T2_T3_mmT4_T5_P12ihipStream_tbEUlRKiE_EESL_SP_SQ_mSR_SU_bEUlT_E_NS1_11comp_targetILNS1_3genE4ELNS1_11target_archE910ELNS1_3gpuE8ELNS1_3repE0EEENS1_30default_config_static_selectorELNS0_4arch9wavefront6targetE1EEEvSO_
	.p2align	8
	.type	_ZN7rocprim17ROCPRIM_400000_NS6detail17trampoline_kernelINS0_14default_configENS1_27upper_bound_config_selectorIilEEZNS1_14transform_implILb0ES3_S5_N6thrust23THRUST_200600_302600_NS17counting_iteratorIiNS8_11use_defaultESA_SA_EEPlZNS1_13binary_searchIS3_S5_PiSB_SC_NS1_21upper_bound_search_opENS8_6detail16wrapped_functionINS0_4lessIvEEbEEEE10hipError_tPvRmT1_T2_T3_mmT4_T5_P12ihipStream_tbEUlRKiE_EESL_SP_SQ_mSR_SU_bEUlT_E_NS1_11comp_targetILNS1_3genE4ELNS1_11target_archE910ELNS1_3gpuE8ELNS1_3repE0EEENS1_30default_config_static_selectorELNS0_4arch9wavefront6targetE1EEEvSO_,@function
_ZN7rocprim17ROCPRIM_400000_NS6detail17trampoline_kernelINS0_14default_configENS1_27upper_bound_config_selectorIilEEZNS1_14transform_implILb0ES3_S5_N6thrust23THRUST_200600_302600_NS17counting_iteratorIiNS8_11use_defaultESA_SA_EEPlZNS1_13binary_searchIS3_S5_PiSB_SC_NS1_21upper_bound_search_opENS8_6detail16wrapped_functionINS0_4lessIvEEbEEEE10hipError_tPvRmT1_T2_T3_mmT4_T5_P12ihipStream_tbEUlRKiE_EESL_SP_SQ_mSR_SU_bEUlT_E_NS1_11comp_targetILNS1_3genE4ELNS1_11target_archE910ELNS1_3gpuE8ELNS1_3repE0EEENS1_30default_config_static_selectorELNS0_4arch9wavefront6targetE1EEEvSO_: ; @_ZN7rocprim17ROCPRIM_400000_NS6detail17trampoline_kernelINS0_14default_configENS1_27upper_bound_config_selectorIilEEZNS1_14transform_implILb0ES3_S5_N6thrust23THRUST_200600_302600_NS17counting_iteratorIiNS8_11use_defaultESA_SA_EEPlZNS1_13binary_searchIS3_S5_PiSB_SC_NS1_21upper_bound_search_opENS8_6detail16wrapped_functionINS0_4lessIvEEbEEEE10hipError_tPvRmT1_T2_T3_mmT4_T5_P12ihipStream_tbEUlRKiE_EESL_SP_SQ_mSR_SU_bEUlT_E_NS1_11comp_targetILNS1_3genE4ELNS1_11target_archE910ELNS1_3gpuE8ELNS1_3repE0EEENS1_30default_config_static_selectorELNS0_4arch9wavefront6targetE1EEEvSO_
; %bb.0:
	s_load_dword s16, s[4:5], 0x0
	s_load_dwordx2 s[8:9], s[4:5], 0x8
	s_load_dword s7, s[4:5], 0x38
	s_load_dwordx4 s[0:3], s[4:5], 0x18
	s_load_dwordx2 s[12:13], s[4:5], 0x28
	s_lshl_b32 s10, s6, 8
	s_waitcnt lgkmcnt(0)
	s_add_i32 s16, s16, s8
	s_add_i32 s7, s7, -1
	s_cmp_lg_u32 s6, s7
	s_mov_b32 s11, 0
	s_cbranch_scc0 .LBB151_6
; %bb.1:
	s_mov_b64 s[14:15], 0
	s_cmp_eq_u64 s[12:13], 0
	v_pk_mov_b32 v[2:3], 0, 0
	s_cbranch_scc1 .LBB151_5
; %bb.2:
	s_add_i32 s6, s16, s10
	v_add_u32_e32 v1, s6, v0
	s_mov_b64 s[6:7], 0
	v_pk_mov_b32 v[2:3], 0, 0
	v_pk_mov_b32 v[4:5], s[12:13], s[12:13] op_sel:[0,1]
	v_mov_b32_e32 v6, s3
.LBB151_3:                              ; =>This Inner Loop Header: Depth=1
	v_sub_co_u32_e32 v8, vcc, v4, v2
	v_subb_co_u32_e32 v9, vcc, v5, v3, vcc
	v_lshrrev_b64 v[10:11], 1, v[8:9]
	v_add_co_u32_e32 v7, vcc, v10, v2
	v_lshrrev_b64 v[8:9], 6, v[8:9]
	v_addc_co_u32_e32 v10, vcc, v11, v3, vcc
	v_add_co_u32_e32 v8, vcc, v7, v8
	v_addc_co_u32_e32 v9, vcc, v10, v9, vcc
	v_lshlrev_b64 v[10:11], 2, v[8:9]
	v_add_co_u32_e32 v10, vcc, s2, v10
	v_addc_co_u32_e32 v11, vcc, v6, v11, vcc
	global_load_dword v7, v[10:11], off
	v_add_co_u32_e32 v10, vcc, 1, v8
	v_addc_co_u32_e32 v11, vcc, 0, v9, vcc
	s_waitcnt vmcnt(0)
	v_cmp_gt_i32_e32 vcc, v7, v1
	v_cndmask_b32_e32 v5, v5, v9, vcc
	v_cndmask_b32_e32 v4, v4, v8, vcc
	;; [unrolled: 1-line block ×4, first 2 shown]
	v_cmp_ge_u64_e32 vcc, v[2:3], v[4:5]
	s_or_b64 s[6:7], vcc, s[6:7]
	s_andn2_b64 exec, exec, s[6:7]
	s_cbranch_execnz .LBB151_3
; %bb.4:
	s_or_b64 exec, exec, s[6:7]
.LBB151_5:
	s_mov_b64 s[6:7], -1
	s_andn2_b64 vcc, exec, s[14:15]
	s_cbranch_vccz .LBB151_7
	s_branch .LBB151_13
.LBB151_6:
	s_mov_b64 s[6:7], 0
                                        ; implicit-def: $vgpr2_vgpr3
.LBB151_7:
	s_load_dword s4, s[4:5], 0x10
                                        ; implicit-def: $vgpr2_vgpr3
	s_waitcnt lgkmcnt(0)
	s_sub_i32 s4, s4, s10
	v_cmp_gt_u32_e64 s[6:7], s4, v0
	s_and_saveexec_b64 s[4:5], s[6:7]
	s_cbranch_execz .LBB151_12
; %bb.8:
	s_mov_b64 s[14:15], 0
	s_cmp_eq_u64 s[12:13], 0
	v_pk_mov_b32 v[2:3], 0, 0
	s_cbranch_scc1 .LBB151_12
; %bb.9:
	s_add_i32 s16, s16, s10
	v_add_u32_e32 v1, s16, v0
	v_pk_mov_b32 v[2:3], 0, 0
	v_pk_mov_b32 v[4:5], s[12:13], s[12:13] op_sel:[0,1]
	v_mov_b32_e32 v6, s3
.LBB151_10:                             ; =>This Inner Loop Header: Depth=1
	v_sub_co_u32_e32 v8, vcc, v4, v2
	v_subb_co_u32_e32 v9, vcc, v5, v3, vcc
	v_lshrrev_b64 v[10:11], 1, v[8:9]
	v_add_co_u32_e32 v7, vcc, v10, v2
	v_lshrrev_b64 v[8:9], 6, v[8:9]
	v_addc_co_u32_e32 v10, vcc, v11, v3, vcc
	v_add_co_u32_e32 v8, vcc, v7, v8
	v_addc_co_u32_e32 v9, vcc, v10, v9, vcc
	v_lshlrev_b64 v[10:11], 2, v[8:9]
	v_add_co_u32_e32 v10, vcc, s2, v10
	v_addc_co_u32_e32 v11, vcc, v6, v11, vcc
	global_load_dword v7, v[10:11], off
	v_add_co_u32_e32 v10, vcc, 1, v8
	v_addc_co_u32_e32 v11, vcc, 0, v9, vcc
	s_waitcnt vmcnt(0)
	v_cmp_gt_i32_e32 vcc, v7, v1
	v_cndmask_b32_e32 v5, v5, v9, vcc
	v_cndmask_b32_e32 v4, v4, v8, vcc
	;; [unrolled: 1-line block ×4, first 2 shown]
	v_cmp_ge_u64_e32 vcc, v[2:3], v[4:5]
	s_or_b64 s[14:15], vcc, s[14:15]
	s_andn2_b64 exec, exec, s[14:15]
	s_cbranch_execnz .LBB151_10
; %bb.11:
	s_or_b64 exec, exec, s[14:15]
.LBB151_12:
	s_or_b64 exec, exec, s[4:5]
.LBB151_13:
	s_and_saveexec_b64 s[2:3], s[6:7]
	s_cbranch_execnz .LBB151_15
; %bb.14:
	s_endpgm
.LBB151_15:
	s_lshl_b64 s[2:3], s[8:9], 3
	s_add_u32 s2, s0, s2
	s_addc_u32 s3, s1, s3
	s_lshl_b64 s[0:1], s[10:11], 3
	s_add_u32 s0, s2, s0
	s_addc_u32 s1, s3, s1
	v_lshlrev_b32_e32 v0, 3, v0
	global_store_dwordx2 v0, v[2:3], s[0:1]
	s_endpgm
	.section	.rodata,"a",@progbits
	.p2align	6, 0x0
	.amdhsa_kernel _ZN7rocprim17ROCPRIM_400000_NS6detail17trampoline_kernelINS0_14default_configENS1_27upper_bound_config_selectorIilEEZNS1_14transform_implILb0ES3_S5_N6thrust23THRUST_200600_302600_NS17counting_iteratorIiNS8_11use_defaultESA_SA_EEPlZNS1_13binary_searchIS3_S5_PiSB_SC_NS1_21upper_bound_search_opENS8_6detail16wrapped_functionINS0_4lessIvEEbEEEE10hipError_tPvRmT1_T2_T3_mmT4_T5_P12ihipStream_tbEUlRKiE_EESL_SP_SQ_mSR_SU_bEUlT_E_NS1_11comp_targetILNS1_3genE4ELNS1_11target_archE910ELNS1_3gpuE8ELNS1_3repE0EEENS1_30default_config_static_selectorELNS0_4arch9wavefront6targetE1EEEvSO_
		.amdhsa_group_segment_fixed_size 0
		.amdhsa_private_segment_fixed_size 0
		.amdhsa_kernarg_size 312
		.amdhsa_user_sgpr_count 6
		.amdhsa_user_sgpr_private_segment_buffer 1
		.amdhsa_user_sgpr_dispatch_ptr 0
		.amdhsa_user_sgpr_queue_ptr 0
		.amdhsa_user_sgpr_kernarg_segment_ptr 1
		.amdhsa_user_sgpr_dispatch_id 0
		.amdhsa_user_sgpr_flat_scratch_init 0
		.amdhsa_user_sgpr_kernarg_preload_length 0
		.amdhsa_user_sgpr_kernarg_preload_offset 0
		.amdhsa_user_sgpr_private_segment_size 0
		.amdhsa_uses_dynamic_stack 0
		.amdhsa_system_sgpr_private_segment_wavefront_offset 0
		.amdhsa_system_sgpr_workgroup_id_x 1
		.amdhsa_system_sgpr_workgroup_id_y 0
		.amdhsa_system_sgpr_workgroup_id_z 0
		.amdhsa_system_sgpr_workgroup_info 0
		.amdhsa_system_vgpr_workitem_id 0
		.amdhsa_next_free_vgpr 12
		.amdhsa_next_free_sgpr 17
		.amdhsa_accum_offset 12
		.amdhsa_reserve_vcc 1
		.amdhsa_reserve_flat_scratch 0
		.amdhsa_float_round_mode_32 0
		.amdhsa_float_round_mode_16_64 0
		.amdhsa_float_denorm_mode_32 3
		.amdhsa_float_denorm_mode_16_64 3
		.amdhsa_dx10_clamp 1
		.amdhsa_ieee_mode 1
		.amdhsa_fp16_overflow 0
		.amdhsa_tg_split 0
		.amdhsa_exception_fp_ieee_invalid_op 0
		.amdhsa_exception_fp_denorm_src 0
		.amdhsa_exception_fp_ieee_div_zero 0
		.amdhsa_exception_fp_ieee_overflow 0
		.amdhsa_exception_fp_ieee_underflow 0
		.amdhsa_exception_fp_ieee_inexact 0
		.amdhsa_exception_int_div_zero 0
	.end_amdhsa_kernel
	.section	.text._ZN7rocprim17ROCPRIM_400000_NS6detail17trampoline_kernelINS0_14default_configENS1_27upper_bound_config_selectorIilEEZNS1_14transform_implILb0ES3_S5_N6thrust23THRUST_200600_302600_NS17counting_iteratorIiNS8_11use_defaultESA_SA_EEPlZNS1_13binary_searchIS3_S5_PiSB_SC_NS1_21upper_bound_search_opENS8_6detail16wrapped_functionINS0_4lessIvEEbEEEE10hipError_tPvRmT1_T2_T3_mmT4_T5_P12ihipStream_tbEUlRKiE_EESL_SP_SQ_mSR_SU_bEUlT_E_NS1_11comp_targetILNS1_3genE4ELNS1_11target_archE910ELNS1_3gpuE8ELNS1_3repE0EEENS1_30default_config_static_selectorELNS0_4arch9wavefront6targetE1EEEvSO_,"axG",@progbits,_ZN7rocprim17ROCPRIM_400000_NS6detail17trampoline_kernelINS0_14default_configENS1_27upper_bound_config_selectorIilEEZNS1_14transform_implILb0ES3_S5_N6thrust23THRUST_200600_302600_NS17counting_iteratorIiNS8_11use_defaultESA_SA_EEPlZNS1_13binary_searchIS3_S5_PiSB_SC_NS1_21upper_bound_search_opENS8_6detail16wrapped_functionINS0_4lessIvEEbEEEE10hipError_tPvRmT1_T2_T3_mmT4_T5_P12ihipStream_tbEUlRKiE_EESL_SP_SQ_mSR_SU_bEUlT_E_NS1_11comp_targetILNS1_3genE4ELNS1_11target_archE910ELNS1_3gpuE8ELNS1_3repE0EEENS1_30default_config_static_selectorELNS0_4arch9wavefront6targetE1EEEvSO_,comdat
.Lfunc_end151:
	.size	_ZN7rocprim17ROCPRIM_400000_NS6detail17trampoline_kernelINS0_14default_configENS1_27upper_bound_config_selectorIilEEZNS1_14transform_implILb0ES3_S5_N6thrust23THRUST_200600_302600_NS17counting_iteratorIiNS8_11use_defaultESA_SA_EEPlZNS1_13binary_searchIS3_S5_PiSB_SC_NS1_21upper_bound_search_opENS8_6detail16wrapped_functionINS0_4lessIvEEbEEEE10hipError_tPvRmT1_T2_T3_mmT4_T5_P12ihipStream_tbEUlRKiE_EESL_SP_SQ_mSR_SU_bEUlT_E_NS1_11comp_targetILNS1_3genE4ELNS1_11target_archE910ELNS1_3gpuE8ELNS1_3repE0EEENS1_30default_config_static_selectorELNS0_4arch9wavefront6targetE1EEEvSO_, .Lfunc_end151-_ZN7rocprim17ROCPRIM_400000_NS6detail17trampoline_kernelINS0_14default_configENS1_27upper_bound_config_selectorIilEEZNS1_14transform_implILb0ES3_S5_N6thrust23THRUST_200600_302600_NS17counting_iteratorIiNS8_11use_defaultESA_SA_EEPlZNS1_13binary_searchIS3_S5_PiSB_SC_NS1_21upper_bound_search_opENS8_6detail16wrapped_functionINS0_4lessIvEEbEEEE10hipError_tPvRmT1_T2_T3_mmT4_T5_P12ihipStream_tbEUlRKiE_EESL_SP_SQ_mSR_SU_bEUlT_E_NS1_11comp_targetILNS1_3genE4ELNS1_11target_archE910ELNS1_3gpuE8ELNS1_3repE0EEENS1_30default_config_static_selectorELNS0_4arch9wavefront6targetE1EEEvSO_
                                        ; -- End function
	.section	.AMDGPU.csdata,"",@progbits
; Kernel info:
; codeLenInByte = 508
; NumSgprs: 21
; NumVgprs: 12
; NumAgprs: 0
; TotalNumVgprs: 12
; ScratchSize: 0
; MemoryBound: 0
; FloatMode: 240
; IeeeMode: 1
; LDSByteSize: 0 bytes/workgroup (compile time only)
; SGPRBlocks: 2
; VGPRBlocks: 1
; NumSGPRsForWavesPerEU: 21
; NumVGPRsForWavesPerEU: 12
; AccumOffset: 12
; Occupancy: 8
; WaveLimiterHint : 0
; COMPUTE_PGM_RSRC2:SCRATCH_EN: 0
; COMPUTE_PGM_RSRC2:USER_SGPR: 6
; COMPUTE_PGM_RSRC2:TRAP_HANDLER: 0
; COMPUTE_PGM_RSRC2:TGID_X_EN: 1
; COMPUTE_PGM_RSRC2:TGID_Y_EN: 0
; COMPUTE_PGM_RSRC2:TGID_Z_EN: 0
; COMPUTE_PGM_RSRC2:TIDIG_COMP_CNT: 0
; COMPUTE_PGM_RSRC3_GFX90A:ACCUM_OFFSET: 2
; COMPUTE_PGM_RSRC3_GFX90A:TG_SPLIT: 0
	.section	.text._ZN7rocprim17ROCPRIM_400000_NS6detail17trampoline_kernelINS0_14default_configENS1_27upper_bound_config_selectorIilEEZNS1_14transform_implILb0ES3_S5_N6thrust23THRUST_200600_302600_NS17counting_iteratorIiNS8_11use_defaultESA_SA_EEPlZNS1_13binary_searchIS3_S5_PiSB_SC_NS1_21upper_bound_search_opENS8_6detail16wrapped_functionINS0_4lessIvEEbEEEE10hipError_tPvRmT1_T2_T3_mmT4_T5_P12ihipStream_tbEUlRKiE_EESL_SP_SQ_mSR_SU_bEUlT_E_NS1_11comp_targetILNS1_3genE3ELNS1_11target_archE908ELNS1_3gpuE7ELNS1_3repE0EEENS1_30default_config_static_selectorELNS0_4arch9wavefront6targetE1EEEvSO_,"axG",@progbits,_ZN7rocprim17ROCPRIM_400000_NS6detail17trampoline_kernelINS0_14default_configENS1_27upper_bound_config_selectorIilEEZNS1_14transform_implILb0ES3_S5_N6thrust23THRUST_200600_302600_NS17counting_iteratorIiNS8_11use_defaultESA_SA_EEPlZNS1_13binary_searchIS3_S5_PiSB_SC_NS1_21upper_bound_search_opENS8_6detail16wrapped_functionINS0_4lessIvEEbEEEE10hipError_tPvRmT1_T2_T3_mmT4_T5_P12ihipStream_tbEUlRKiE_EESL_SP_SQ_mSR_SU_bEUlT_E_NS1_11comp_targetILNS1_3genE3ELNS1_11target_archE908ELNS1_3gpuE7ELNS1_3repE0EEENS1_30default_config_static_selectorELNS0_4arch9wavefront6targetE1EEEvSO_,comdat
	.protected	_ZN7rocprim17ROCPRIM_400000_NS6detail17trampoline_kernelINS0_14default_configENS1_27upper_bound_config_selectorIilEEZNS1_14transform_implILb0ES3_S5_N6thrust23THRUST_200600_302600_NS17counting_iteratorIiNS8_11use_defaultESA_SA_EEPlZNS1_13binary_searchIS3_S5_PiSB_SC_NS1_21upper_bound_search_opENS8_6detail16wrapped_functionINS0_4lessIvEEbEEEE10hipError_tPvRmT1_T2_T3_mmT4_T5_P12ihipStream_tbEUlRKiE_EESL_SP_SQ_mSR_SU_bEUlT_E_NS1_11comp_targetILNS1_3genE3ELNS1_11target_archE908ELNS1_3gpuE7ELNS1_3repE0EEENS1_30default_config_static_selectorELNS0_4arch9wavefront6targetE1EEEvSO_ ; -- Begin function _ZN7rocprim17ROCPRIM_400000_NS6detail17trampoline_kernelINS0_14default_configENS1_27upper_bound_config_selectorIilEEZNS1_14transform_implILb0ES3_S5_N6thrust23THRUST_200600_302600_NS17counting_iteratorIiNS8_11use_defaultESA_SA_EEPlZNS1_13binary_searchIS3_S5_PiSB_SC_NS1_21upper_bound_search_opENS8_6detail16wrapped_functionINS0_4lessIvEEbEEEE10hipError_tPvRmT1_T2_T3_mmT4_T5_P12ihipStream_tbEUlRKiE_EESL_SP_SQ_mSR_SU_bEUlT_E_NS1_11comp_targetILNS1_3genE3ELNS1_11target_archE908ELNS1_3gpuE7ELNS1_3repE0EEENS1_30default_config_static_selectorELNS0_4arch9wavefront6targetE1EEEvSO_
	.globl	_ZN7rocprim17ROCPRIM_400000_NS6detail17trampoline_kernelINS0_14default_configENS1_27upper_bound_config_selectorIilEEZNS1_14transform_implILb0ES3_S5_N6thrust23THRUST_200600_302600_NS17counting_iteratorIiNS8_11use_defaultESA_SA_EEPlZNS1_13binary_searchIS3_S5_PiSB_SC_NS1_21upper_bound_search_opENS8_6detail16wrapped_functionINS0_4lessIvEEbEEEE10hipError_tPvRmT1_T2_T3_mmT4_T5_P12ihipStream_tbEUlRKiE_EESL_SP_SQ_mSR_SU_bEUlT_E_NS1_11comp_targetILNS1_3genE3ELNS1_11target_archE908ELNS1_3gpuE7ELNS1_3repE0EEENS1_30default_config_static_selectorELNS0_4arch9wavefront6targetE1EEEvSO_
	.p2align	8
	.type	_ZN7rocprim17ROCPRIM_400000_NS6detail17trampoline_kernelINS0_14default_configENS1_27upper_bound_config_selectorIilEEZNS1_14transform_implILb0ES3_S5_N6thrust23THRUST_200600_302600_NS17counting_iteratorIiNS8_11use_defaultESA_SA_EEPlZNS1_13binary_searchIS3_S5_PiSB_SC_NS1_21upper_bound_search_opENS8_6detail16wrapped_functionINS0_4lessIvEEbEEEE10hipError_tPvRmT1_T2_T3_mmT4_T5_P12ihipStream_tbEUlRKiE_EESL_SP_SQ_mSR_SU_bEUlT_E_NS1_11comp_targetILNS1_3genE3ELNS1_11target_archE908ELNS1_3gpuE7ELNS1_3repE0EEENS1_30default_config_static_selectorELNS0_4arch9wavefront6targetE1EEEvSO_,@function
_ZN7rocprim17ROCPRIM_400000_NS6detail17trampoline_kernelINS0_14default_configENS1_27upper_bound_config_selectorIilEEZNS1_14transform_implILb0ES3_S5_N6thrust23THRUST_200600_302600_NS17counting_iteratorIiNS8_11use_defaultESA_SA_EEPlZNS1_13binary_searchIS3_S5_PiSB_SC_NS1_21upper_bound_search_opENS8_6detail16wrapped_functionINS0_4lessIvEEbEEEE10hipError_tPvRmT1_T2_T3_mmT4_T5_P12ihipStream_tbEUlRKiE_EESL_SP_SQ_mSR_SU_bEUlT_E_NS1_11comp_targetILNS1_3genE3ELNS1_11target_archE908ELNS1_3gpuE7ELNS1_3repE0EEENS1_30default_config_static_selectorELNS0_4arch9wavefront6targetE1EEEvSO_: ; @_ZN7rocprim17ROCPRIM_400000_NS6detail17trampoline_kernelINS0_14default_configENS1_27upper_bound_config_selectorIilEEZNS1_14transform_implILb0ES3_S5_N6thrust23THRUST_200600_302600_NS17counting_iteratorIiNS8_11use_defaultESA_SA_EEPlZNS1_13binary_searchIS3_S5_PiSB_SC_NS1_21upper_bound_search_opENS8_6detail16wrapped_functionINS0_4lessIvEEbEEEE10hipError_tPvRmT1_T2_T3_mmT4_T5_P12ihipStream_tbEUlRKiE_EESL_SP_SQ_mSR_SU_bEUlT_E_NS1_11comp_targetILNS1_3genE3ELNS1_11target_archE908ELNS1_3gpuE7ELNS1_3repE0EEENS1_30default_config_static_selectorELNS0_4arch9wavefront6targetE1EEEvSO_
; %bb.0:
	.section	.rodata,"a",@progbits
	.p2align	6, 0x0
	.amdhsa_kernel _ZN7rocprim17ROCPRIM_400000_NS6detail17trampoline_kernelINS0_14default_configENS1_27upper_bound_config_selectorIilEEZNS1_14transform_implILb0ES3_S5_N6thrust23THRUST_200600_302600_NS17counting_iteratorIiNS8_11use_defaultESA_SA_EEPlZNS1_13binary_searchIS3_S5_PiSB_SC_NS1_21upper_bound_search_opENS8_6detail16wrapped_functionINS0_4lessIvEEbEEEE10hipError_tPvRmT1_T2_T3_mmT4_T5_P12ihipStream_tbEUlRKiE_EESL_SP_SQ_mSR_SU_bEUlT_E_NS1_11comp_targetILNS1_3genE3ELNS1_11target_archE908ELNS1_3gpuE7ELNS1_3repE0EEENS1_30default_config_static_selectorELNS0_4arch9wavefront6targetE1EEEvSO_
		.amdhsa_group_segment_fixed_size 0
		.amdhsa_private_segment_fixed_size 0
		.amdhsa_kernarg_size 56
		.amdhsa_user_sgpr_count 6
		.amdhsa_user_sgpr_private_segment_buffer 1
		.amdhsa_user_sgpr_dispatch_ptr 0
		.amdhsa_user_sgpr_queue_ptr 0
		.amdhsa_user_sgpr_kernarg_segment_ptr 1
		.amdhsa_user_sgpr_dispatch_id 0
		.amdhsa_user_sgpr_flat_scratch_init 0
		.amdhsa_user_sgpr_kernarg_preload_length 0
		.amdhsa_user_sgpr_kernarg_preload_offset 0
		.amdhsa_user_sgpr_private_segment_size 0
		.amdhsa_uses_dynamic_stack 0
		.amdhsa_system_sgpr_private_segment_wavefront_offset 0
		.amdhsa_system_sgpr_workgroup_id_x 1
		.amdhsa_system_sgpr_workgroup_id_y 0
		.amdhsa_system_sgpr_workgroup_id_z 0
		.amdhsa_system_sgpr_workgroup_info 0
		.amdhsa_system_vgpr_workitem_id 0
		.amdhsa_next_free_vgpr 1
		.amdhsa_next_free_sgpr 0
		.amdhsa_accum_offset 4
		.amdhsa_reserve_vcc 0
		.amdhsa_reserve_flat_scratch 0
		.amdhsa_float_round_mode_32 0
		.amdhsa_float_round_mode_16_64 0
		.amdhsa_float_denorm_mode_32 3
		.amdhsa_float_denorm_mode_16_64 3
		.amdhsa_dx10_clamp 1
		.amdhsa_ieee_mode 1
		.amdhsa_fp16_overflow 0
		.amdhsa_tg_split 0
		.amdhsa_exception_fp_ieee_invalid_op 0
		.amdhsa_exception_fp_denorm_src 0
		.amdhsa_exception_fp_ieee_div_zero 0
		.amdhsa_exception_fp_ieee_overflow 0
		.amdhsa_exception_fp_ieee_underflow 0
		.amdhsa_exception_fp_ieee_inexact 0
		.amdhsa_exception_int_div_zero 0
	.end_amdhsa_kernel
	.section	.text._ZN7rocprim17ROCPRIM_400000_NS6detail17trampoline_kernelINS0_14default_configENS1_27upper_bound_config_selectorIilEEZNS1_14transform_implILb0ES3_S5_N6thrust23THRUST_200600_302600_NS17counting_iteratorIiNS8_11use_defaultESA_SA_EEPlZNS1_13binary_searchIS3_S5_PiSB_SC_NS1_21upper_bound_search_opENS8_6detail16wrapped_functionINS0_4lessIvEEbEEEE10hipError_tPvRmT1_T2_T3_mmT4_T5_P12ihipStream_tbEUlRKiE_EESL_SP_SQ_mSR_SU_bEUlT_E_NS1_11comp_targetILNS1_3genE3ELNS1_11target_archE908ELNS1_3gpuE7ELNS1_3repE0EEENS1_30default_config_static_selectorELNS0_4arch9wavefront6targetE1EEEvSO_,"axG",@progbits,_ZN7rocprim17ROCPRIM_400000_NS6detail17trampoline_kernelINS0_14default_configENS1_27upper_bound_config_selectorIilEEZNS1_14transform_implILb0ES3_S5_N6thrust23THRUST_200600_302600_NS17counting_iteratorIiNS8_11use_defaultESA_SA_EEPlZNS1_13binary_searchIS3_S5_PiSB_SC_NS1_21upper_bound_search_opENS8_6detail16wrapped_functionINS0_4lessIvEEbEEEE10hipError_tPvRmT1_T2_T3_mmT4_T5_P12ihipStream_tbEUlRKiE_EESL_SP_SQ_mSR_SU_bEUlT_E_NS1_11comp_targetILNS1_3genE3ELNS1_11target_archE908ELNS1_3gpuE7ELNS1_3repE0EEENS1_30default_config_static_selectorELNS0_4arch9wavefront6targetE1EEEvSO_,comdat
.Lfunc_end152:
	.size	_ZN7rocprim17ROCPRIM_400000_NS6detail17trampoline_kernelINS0_14default_configENS1_27upper_bound_config_selectorIilEEZNS1_14transform_implILb0ES3_S5_N6thrust23THRUST_200600_302600_NS17counting_iteratorIiNS8_11use_defaultESA_SA_EEPlZNS1_13binary_searchIS3_S5_PiSB_SC_NS1_21upper_bound_search_opENS8_6detail16wrapped_functionINS0_4lessIvEEbEEEE10hipError_tPvRmT1_T2_T3_mmT4_T5_P12ihipStream_tbEUlRKiE_EESL_SP_SQ_mSR_SU_bEUlT_E_NS1_11comp_targetILNS1_3genE3ELNS1_11target_archE908ELNS1_3gpuE7ELNS1_3repE0EEENS1_30default_config_static_selectorELNS0_4arch9wavefront6targetE1EEEvSO_, .Lfunc_end152-_ZN7rocprim17ROCPRIM_400000_NS6detail17trampoline_kernelINS0_14default_configENS1_27upper_bound_config_selectorIilEEZNS1_14transform_implILb0ES3_S5_N6thrust23THRUST_200600_302600_NS17counting_iteratorIiNS8_11use_defaultESA_SA_EEPlZNS1_13binary_searchIS3_S5_PiSB_SC_NS1_21upper_bound_search_opENS8_6detail16wrapped_functionINS0_4lessIvEEbEEEE10hipError_tPvRmT1_T2_T3_mmT4_T5_P12ihipStream_tbEUlRKiE_EESL_SP_SQ_mSR_SU_bEUlT_E_NS1_11comp_targetILNS1_3genE3ELNS1_11target_archE908ELNS1_3gpuE7ELNS1_3repE0EEENS1_30default_config_static_selectorELNS0_4arch9wavefront6targetE1EEEvSO_
                                        ; -- End function
	.section	.AMDGPU.csdata,"",@progbits
; Kernel info:
; codeLenInByte = 0
; NumSgprs: 4
; NumVgprs: 0
; NumAgprs: 0
; TotalNumVgprs: 0
; ScratchSize: 0
; MemoryBound: 0
; FloatMode: 240
; IeeeMode: 1
; LDSByteSize: 0 bytes/workgroup (compile time only)
; SGPRBlocks: 0
; VGPRBlocks: 0
; NumSGPRsForWavesPerEU: 4
; NumVGPRsForWavesPerEU: 1
; AccumOffset: 4
; Occupancy: 8
; WaveLimiterHint : 0
; COMPUTE_PGM_RSRC2:SCRATCH_EN: 0
; COMPUTE_PGM_RSRC2:USER_SGPR: 6
; COMPUTE_PGM_RSRC2:TRAP_HANDLER: 0
; COMPUTE_PGM_RSRC2:TGID_X_EN: 1
; COMPUTE_PGM_RSRC2:TGID_Y_EN: 0
; COMPUTE_PGM_RSRC2:TGID_Z_EN: 0
; COMPUTE_PGM_RSRC2:TIDIG_COMP_CNT: 0
; COMPUTE_PGM_RSRC3_GFX90A:ACCUM_OFFSET: 0
; COMPUTE_PGM_RSRC3_GFX90A:TG_SPLIT: 0
	.section	.text._ZN7rocprim17ROCPRIM_400000_NS6detail17trampoline_kernelINS0_14default_configENS1_27upper_bound_config_selectorIilEEZNS1_14transform_implILb0ES3_S5_N6thrust23THRUST_200600_302600_NS17counting_iteratorIiNS8_11use_defaultESA_SA_EEPlZNS1_13binary_searchIS3_S5_PiSB_SC_NS1_21upper_bound_search_opENS8_6detail16wrapped_functionINS0_4lessIvEEbEEEE10hipError_tPvRmT1_T2_T3_mmT4_T5_P12ihipStream_tbEUlRKiE_EESL_SP_SQ_mSR_SU_bEUlT_E_NS1_11comp_targetILNS1_3genE2ELNS1_11target_archE906ELNS1_3gpuE6ELNS1_3repE0EEENS1_30default_config_static_selectorELNS0_4arch9wavefront6targetE1EEEvSO_,"axG",@progbits,_ZN7rocprim17ROCPRIM_400000_NS6detail17trampoline_kernelINS0_14default_configENS1_27upper_bound_config_selectorIilEEZNS1_14transform_implILb0ES3_S5_N6thrust23THRUST_200600_302600_NS17counting_iteratorIiNS8_11use_defaultESA_SA_EEPlZNS1_13binary_searchIS3_S5_PiSB_SC_NS1_21upper_bound_search_opENS8_6detail16wrapped_functionINS0_4lessIvEEbEEEE10hipError_tPvRmT1_T2_T3_mmT4_T5_P12ihipStream_tbEUlRKiE_EESL_SP_SQ_mSR_SU_bEUlT_E_NS1_11comp_targetILNS1_3genE2ELNS1_11target_archE906ELNS1_3gpuE6ELNS1_3repE0EEENS1_30default_config_static_selectorELNS0_4arch9wavefront6targetE1EEEvSO_,comdat
	.protected	_ZN7rocprim17ROCPRIM_400000_NS6detail17trampoline_kernelINS0_14default_configENS1_27upper_bound_config_selectorIilEEZNS1_14transform_implILb0ES3_S5_N6thrust23THRUST_200600_302600_NS17counting_iteratorIiNS8_11use_defaultESA_SA_EEPlZNS1_13binary_searchIS3_S5_PiSB_SC_NS1_21upper_bound_search_opENS8_6detail16wrapped_functionINS0_4lessIvEEbEEEE10hipError_tPvRmT1_T2_T3_mmT4_T5_P12ihipStream_tbEUlRKiE_EESL_SP_SQ_mSR_SU_bEUlT_E_NS1_11comp_targetILNS1_3genE2ELNS1_11target_archE906ELNS1_3gpuE6ELNS1_3repE0EEENS1_30default_config_static_selectorELNS0_4arch9wavefront6targetE1EEEvSO_ ; -- Begin function _ZN7rocprim17ROCPRIM_400000_NS6detail17trampoline_kernelINS0_14default_configENS1_27upper_bound_config_selectorIilEEZNS1_14transform_implILb0ES3_S5_N6thrust23THRUST_200600_302600_NS17counting_iteratorIiNS8_11use_defaultESA_SA_EEPlZNS1_13binary_searchIS3_S5_PiSB_SC_NS1_21upper_bound_search_opENS8_6detail16wrapped_functionINS0_4lessIvEEbEEEE10hipError_tPvRmT1_T2_T3_mmT4_T5_P12ihipStream_tbEUlRKiE_EESL_SP_SQ_mSR_SU_bEUlT_E_NS1_11comp_targetILNS1_3genE2ELNS1_11target_archE906ELNS1_3gpuE6ELNS1_3repE0EEENS1_30default_config_static_selectorELNS0_4arch9wavefront6targetE1EEEvSO_
	.globl	_ZN7rocprim17ROCPRIM_400000_NS6detail17trampoline_kernelINS0_14default_configENS1_27upper_bound_config_selectorIilEEZNS1_14transform_implILb0ES3_S5_N6thrust23THRUST_200600_302600_NS17counting_iteratorIiNS8_11use_defaultESA_SA_EEPlZNS1_13binary_searchIS3_S5_PiSB_SC_NS1_21upper_bound_search_opENS8_6detail16wrapped_functionINS0_4lessIvEEbEEEE10hipError_tPvRmT1_T2_T3_mmT4_T5_P12ihipStream_tbEUlRKiE_EESL_SP_SQ_mSR_SU_bEUlT_E_NS1_11comp_targetILNS1_3genE2ELNS1_11target_archE906ELNS1_3gpuE6ELNS1_3repE0EEENS1_30default_config_static_selectorELNS0_4arch9wavefront6targetE1EEEvSO_
	.p2align	8
	.type	_ZN7rocprim17ROCPRIM_400000_NS6detail17trampoline_kernelINS0_14default_configENS1_27upper_bound_config_selectorIilEEZNS1_14transform_implILb0ES3_S5_N6thrust23THRUST_200600_302600_NS17counting_iteratorIiNS8_11use_defaultESA_SA_EEPlZNS1_13binary_searchIS3_S5_PiSB_SC_NS1_21upper_bound_search_opENS8_6detail16wrapped_functionINS0_4lessIvEEbEEEE10hipError_tPvRmT1_T2_T3_mmT4_T5_P12ihipStream_tbEUlRKiE_EESL_SP_SQ_mSR_SU_bEUlT_E_NS1_11comp_targetILNS1_3genE2ELNS1_11target_archE906ELNS1_3gpuE6ELNS1_3repE0EEENS1_30default_config_static_selectorELNS0_4arch9wavefront6targetE1EEEvSO_,@function
_ZN7rocprim17ROCPRIM_400000_NS6detail17trampoline_kernelINS0_14default_configENS1_27upper_bound_config_selectorIilEEZNS1_14transform_implILb0ES3_S5_N6thrust23THRUST_200600_302600_NS17counting_iteratorIiNS8_11use_defaultESA_SA_EEPlZNS1_13binary_searchIS3_S5_PiSB_SC_NS1_21upper_bound_search_opENS8_6detail16wrapped_functionINS0_4lessIvEEbEEEE10hipError_tPvRmT1_T2_T3_mmT4_T5_P12ihipStream_tbEUlRKiE_EESL_SP_SQ_mSR_SU_bEUlT_E_NS1_11comp_targetILNS1_3genE2ELNS1_11target_archE906ELNS1_3gpuE6ELNS1_3repE0EEENS1_30default_config_static_selectorELNS0_4arch9wavefront6targetE1EEEvSO_: ; @_ZN7rocprim17ROCPRIM_400000_NS6detail17trampoline_kernelINS0_14default_configENS1_27upper_bound_config_selectorIilEEZNS1_14transform_implILb0ES3_S5_N6thrust23THRUST_200600_302600_NS17counting_iteratorIiNS8_11use_defaultESA_SA_EEPlZNS1_13binary_searchIS3_S5_PiSB_SC_NS1_21upper_bound_search_opENS8_6detail16wrapped_functionINS0_4lessIvEEbEEEE10hipError_tPvRmT1_T2_T3_mmT4_T5_P12ihipStream_tbEUlRKiE_EESL_SP_SQ_mSR_SU_bEUlT_E_NS1_11comp_targetILNS1_3genE2ELNS1_11target_archE906ELNS1_3gpuE6ELNS1_3repE0EEENS1_30default_config_static_selectorELNS0_4arch9wavefront6targetE1EEEvSO_
; %bb.0:
	.section	.rodata,"a",@progbits
	.p2align	6, 0x0
	.amdhsa_kernel _ZN7rocprim17ROCPRIM_400000_NS6detail17trampoline_kernelINS0_14default_configENS1_27upper_bound_config_selectorIilEEZNS1_14transform_implILb0ES3_S5_N6thrust23THRUST_200600_302600_NS17counting_iteratorIiNS8_11use_defaultESA_SA_EEPlZNS1_13binary_searchIS3_S5_PiSB_SC_NS1_21upper_bound_search_opENS8_6detail16wrapped_functionINS0_4lessIvEEbEEEE10hipError_tPvRmT1_T2_T3_mmT4_T5_P12ihipStream_tbEUlRKiE_EESL_SP_SQ_mSR_SU_bEUlT_E_NS1_11comp_targetILNS1_3genE2ELNS1_11target_archE906ELNS1_3gpuE6ELNS1_3repE0EEENS1_30default_config_static_selectorELNS0_4arch9wavefront6targetE1EEEvSO_
		.amdhsa_group_segment_fixed_size 0
		.amdhsa_private_segment_fixed_size 0
		.amdhsa_kernarg_size 56
		.amdhsa_user_sgpr_count 6
		.amdhsa_user_sgpr_private_segment_buffer 1
		.amdhsa_user_sgpr_dispatch_ptr 0
		.amdhsa_user_sgpr_queue_ptr 0
		.amdhsa_user_sgpr_kernarg_segment_ptr 1
		.amdhsa_user_sgpr_dispatch_id 0
		.amdhsa_user_sgpr_flat_scratch_init 0
		.amdhsa_user_sgpr_kernarg_preload_length 0
		.amdhsa_user_sgpr_kernarg_preload_offset 0
		.amdhsa_user_sgpr_private_segment_size 0
		.amdhsa_uses_dynamic_stack 0
		.amdhsa_system_sgpr_private_segment_wavefront_offset 0
		.amdhsa_system_sgpr_workgroup_id_x 1
		.amdhsa_system_sgpr_workgroup_id_y 0
		.amdhsa_system_sgpr_workgroup_id_z 0
		.amdhsa_system_sgpr_workgroup_info 0
		.amdhsa_system_vgpr_workitem_id 0
		.amdhsa_next_free_vgpr 1
		.amdhsa_next_free_sgpr 0
		.amdhsa_accum_offset 4
		.amdhsa_reserve_vcc 0
		.amdhsa_reserve_flat_scratch 0
		.amdhsa_float_round_mode_32 0
		.amdhsa_float_round_mode_16_64 0
		.amdhsa_float_denorm_mode_32 3
		.amdhsa_float_denorm_mode_16_64 3
		.amdhsa_dx10_clamp 1
		.amdhsa_ieee_mode 1
		.amdhsa_fp16_overflow 0
		.amdhsa_tg_split 0
		.amdhsa_exception_fp_ieee_invalid_op 0
		.amdhsa_exception_fp_denorm_src 0
		.amdhsa_exception_fp_ieee_div_zero 0
		.amdhsa_exception_fp_ieee_overflow 0
		.amdhsa_exception_fp_ieee_underflow 0
		.amdhsa_exception_fp_ieee_inexact 0
		.amdhsa_exception_int_div_zero 0
	.end_amdhsa_kernel
	.section	.text._ZN7rocprim17ROCPRIM_400000_NS6detail17trampoline_kernelINS0_14default_configENS1_27upper_bound_config_selectorIilEEZNS1_14transform_implILb0ES3_S5_N6thrust23THRUST_200600_302600_NS17counting_iteratorIiNS8_11use_defaultESA_SA_EEPlZNS1_13binary_searchIS3_S5_PiSB_SC_NS1_21upper_bound_search_opENS8_6detail16wrapped_functionINS0_4lessIvEEbEEEE10hipError_tPvRmT1_T2_T3_mmT4_T5_P12ihipStream_tbEUlRKiE_EESL_SP_SQ_mSR_SU_bEUlT_E_NS1_11comp_targetILNS1_3genE2ELNS1_11target_archE906ELNS1_3gpuE6ELNS1_3repE0EEENS1_30default_config_static_selectorELNS0_4arch9wavefront6targetE1EEEvSO_,"axG",@progbits,_ZN7rocprim17ROCPRIM_400000_NS6detail17trampoline_kernelINS0_14default_configENS1_27upper_bound_config_selectorIilEEZNS1_14transform_implILb0ES3_S5_N6thrust23THRUST_200600_302600_NS17counting_iteratorIiNS8_11use_defaultESA_SA_EEPlZNS1_13binary_searchIS3_S5_PiSB_SC_NS1_21upper_bound_search_opENS8_6detail16wrapped_functionINS0_4lessIvEEbEEEE10hipError_tPvRmT1_T2_T3_mmT4_T5_P12ihipStream_tbEUlRKiE_EESL_SP_SQ_mSR_SU_bEUlT_E_NS1_11comp_targetILNS1_3genE2ELNS1_11target_archE906ELNS1_3gpuE6ELNS1_3repE0EEENS1_30default_config_static_selectorELNS0_4arch9wavefront6targetE1EEEvSO_,comdat
.Lfunc_end153:
	.size	_ZN7rocprim17ROCPRIM_400000_NS6detail17trampoline_kernelINS0_14default_configENS1_27upper_bound_config_selectorIilEEZNS1_14transform_implILb0ES3_S5_N6thrust23THRUST_200600_302600_NS17counting_iteratorIiNS8_11use_defaultESA_SA_EEPlZNS1_13binary_searchIS3_S5_PiSB_SC_NS1_21upper_bound_search_opENS8_6detail16wrapped_functionINS0_4lessIvEEbEEEE10hipError_tPvRmT1_T2_T3_mmT4_T5_P12ihipStream_tbEUlRKiE_EESL_SP_SQ_mSR_SU_bEUlT_E_NS1_11comp_targetILNS1_3genE2ELNS1_11target_archE906ELNS1_3gpuE6ELNS1_3repE0EEENS1_30default_config_static_selectorELNS0_4arch9wavefront6targetE1EEEvSO_, .Lfunc_end153-_ZN7rocprim17ROCPRIM_400000_NS6detail17trampoline_kernelINS0_14default_configENS1_27upper_bound_config_selectorIilEEZNS1_14transform_implILb0ES3_S5_N6thrust23THRUST_200600_302600_NS17counting_iteratorIiNS8_11use_defaultESA_SA_EEPlZNS1_13binary_searchIS3_S5_PiSB_SC_NS1_21upper_bound_search_opENS8_6detail16wrapped_functionINS0_4lessIvEEbEEEE10hipError_tPvRmT1_T2_T3_mmT4_T5_P12ihipStream_tbEUlRKiE_EESL_SP_SQ_mSR_SU_bEUlT_E_NS1_11comp_targetILNS1_3genE2ELNS1_11target_archE906ELNS1_3gpuE6ELNS1_3repE0EEENS1_30default_config_static_selectorELNS0_4arch9wavefront6targetE1EEEvSO_
                                        ; -- End function
	.section	.AMDGPU.csdata,"",@progbits
; Kernel info:
; codeLenInByte = 0
; NumSgprs: 4
; NumVgprs: 0
; NumAgprs: 0
; TotalNumVgprs: 0
; ScratchSize: 0
; MemoryBound: 0
; FloatMode: 240
; IeeeMode: 1
; LDSByteSize: 0 bytes/workgroup (compile time only)
; SGPRBlocks: 0
; VGPRBlocks: 0
; NumSGPRsForWavesPerEU: 4
; NumVGPRsForWavesPerEU: 1
; AccumOffset: 4
; Occupancy: 8
; WaveLimiterHint : 0
; COMPUTE_PGM_RSRC2:SCRATCH_EN: 0
; COMPUTE_PGM_RSRC2:USER_SGPR: 6
; COMPUTE_PGM_RSRC2:TRAP_HANDLER: 0
; COMPUTE_PGM_RSRC2:TGID_X_EN: 1
; COMPUTE_PGM_RSRC2:TGID_Y_EN: 0
; COMPUTE_PGM_RSRC2:TGID_Z_EN: 0
; COMPUTE_PGM_RSRC2:TIDIG_COMP_CNT: 0
; COMPUTE_PGM_RSRC3_GFX90A:ACCUM_OFFSET: 0
; COMPUTE_PGM_RSRC3_GFX90A:TG_SPLIT: 0
	.section	.text._ZN7rocprim17ROCPRIM_400000_NS6detail17trampoline_kernelINS0_14default_configENS1_27upper_bound_config_selectorIilEEZNS1_14transform_implILb0ES3_S5_N6thrust23THRUST_200600_302600_NS17counting_iteratorIiNS8_11use_defaultESA_SA_EEPlZNS1_13binary_searchIS3_S5_PiSB_SC_NS1_21upper_bound_search_opENS8_6detail16wrapped_functionINS0_4lessIvEEbEEEE10hipError_tPvRmT1_T2_T3_mmT4_T5_P12ihipStream_tbEUlRKiE_EESL_SP_SQ_mSR_SU_bEUlT_E_NS1_11comp_targetILNS1_3genE10ELNS1_11target_archE1201ELNS1_3gpuE5ELNS1_3repE0EEENS1_30default_config_static_selectorELNS0_4arch9wavefront6targetE1EEEvSO_,"axG",@progbits,_ZN7rocprim17ROCPRIM_400000_NS6detail17trampoline_kernelINS0_14default_configENS1_27upper_bound_config_selectorIilEEZNS1_14transform_implILb0ES3_S5_N6thrust23THRUST_200600_302600_NS17counting_iteratorIiNS8_11use_defaultESA_SA_EEPlZNS1_13binary_searchIS3_S5_PiSB_SC_NS1_21upper_bound_search_opENS8_6detail16wrapped_functionINS0_4lessIvEEbEEEE10hipError_tPvRmT1_T2_T3_mmT4_T5_P12ihipStream_tbEUlRKiE_EESL_SP_SQ_mSR_SU_bEUlT_E_NS1_11comp_targetILNS1_3genE10ELNS1_11target_archE1201ELNS1_3gpuE5ELNS1_3repE0EEENS1_30default_config_static_selectorELNS0_4arch9wavefront6targetE1EEEvSO_,comdat
	.protected	_ZN7rocprim17ROCPRIM_400000_NS6detail17trampoline_kernelINS0_14default_configENS1_27upper_bound_config_selectorIilEEZNS1_14transform_implILb0ES3_S5_N6thrust23THRUST_200600_302600_NS17counting_iteratorIiNS8_11use_defaultESA_SA_EEPlZNS1_13binary_searchIS3_S5_PiSB_SC_NS1_21upper_bound_search_opENS8_6detail16wrapped_functionINS0_4lessIvEEbEEEE10hipError_tPvRmT1_T2_T3_mmT4_T5_P12ihipStream_tbEUlRKiE_EESL_SP_SQ_mSR_SU_bEUlT_E_NS1_11comp_targetILNS1_3genE10ELNS1_11target_archE1201ELNS1_3gpuE5ELNS1_3repE0EEENS1_30default_config_static_selectorELNS0_4arch9wavefront6targetE1EEEvSO_ ; -- Begin function _ZN7rocprim17ROCPRIM_400000_NS6detail17trampoline_kernelINS0_14default_configENS1_27upper_bound_config_selectorIilEEZNS1_14transform_implILb0ES3_S5_N6thrust23THRUST_200600_302600_NS17counting_iteratorIiNS8_11use_defaultESA_SA_EEPlZNS1_13binary_searchIS3_S5_PiSB_SC_NS1_21upper_bound_search_opENS8_6detail16wrapped_functionINS0_4lessIvEEbEEEE10hipError_tPvRmT1_T2_T3_mmT4_T5_P12ihipStream_tbEUlRKiE_EESL_SP_SQ_mSR_SU_bEUlT_E_NS1_11comp_targetILNS1_3genE10ELNS1_11target_archE1201ELNS1_3gpuE5ELNS1_3repE0EEENS1_30default_config_static_selectorELNS0_4arch9wavefront6targetE1EEEvSO_
	.globl	_ZN7rocprim17ROCPRIM_400000_NS6detail17trampoline_kernelINS0_14default_configENS1_27upper_bound_config_selectorIilEEZNS1_14transform_implILb0ES3_S5_N6thrust23THRUST_200600_302600_NS17counting_iteratorIiNS8_11use_defaultESA_SA_EEPlZNS1_13binary_searchIS3_S5_PiSB_SC_NS1_21upper_bound_search_opENS8_6detail16wrapped_functionINS0_4lessIvEEbEEEE10hipError_tPvRmT1_T2_T3_mmT4_T5_P12ihipStream_tbEUlRKiE_EESL_SP_SQ_mSR_SU_bEUlT_E_NS1_11comp_targetILNS1_3genE10ELNS1_11target_archE1201ELNS1_3gpuE5ELNS1_3repE0EEENS1_30default_config_static_selectorELNS0_4arch9wavefront6targetE1EEEvSO_
	.p2align	8
	.type	_ZN7rocprim17ROCPRIM_400000_NS6detail17trampoline_kernelINS0_14default_configENS1_27upper_bound_config_selectorIilEEZNS1_14transform_implILb0ES3_S5_N6thrust23THRUST_200600_302600_NS17counting_iteratorIiNS8_11use_defaultESA_SA_EEPlZNS1_13binary_searchIS3_S5_PiSB_SC_NS1_21upper_bound_search_opENS8_6detail16wrapped_functionINS0_4lessIvEEbEEEE10hipError_tPvRmT1_T2_T3_mmT4_T5_P12ihipStream_tbEUlRKiE_EESL_SP_SQ_mSR_SU_bEUlT_E_NS1_11comp_targetILNS1_3genE10ELNS1_11target_archE1201ELNS1_3gpuE5ELNS1_3repE0EEENS1_30default_config_static_selectorELNS0_4arch9wavefront6targetE1EEEvSO_,@function
_ZN7rocprim17ROCPRIM_400000_NS6detail17trampoline_kernelINS0_14default_configENS1_27upper_bound_config_selectorIilEEZNS1_14transform_implILb0ES3_S5_N6thrust23THRUST_200600_302600_NS17counting_iteratorIiNS8_11use_defaultESA_SA_EEPlZNS1_13binary_searchIS3_S5_PiSB_SC_NS1_21upper_bound_search_opENS8_6detail16wrapped_functionINS0_4lessIvEEbEEEE10hipError_tPvRmT1_T2_T3_mmT4_T5_P12ihipStream_tbEUlRKiE_EESL_SP_SQ_mSR_SU_bEUlT_E_NS1_11comp_targetILNS1_3genE10ELNS1_11target_archE1201ELNS1_3gpuE5ELNS1_3repE0EEENS1_30default_config_static_selectorELNS0_4arch9wavefront6targetE1EEEvSO_: ; @_ZN7rocprim17ROCPRIM_400000_NS6detail17trampoline_kernelINS0_14default_configENS1_27upper_bound_config_selectorIilEEZNS1_14transform_implILb0ES3_S5_N6thrust23THRUST_200600_302600_NS17counting_iteratorIiNS8_11use_defaultESA_SA_EEPlZNS1_13binary_searchIS3_S5_PiSB_SC_NS1_21upper_bound_search_opENS8_6detail16wrapped_functionINS0_4lessIvEEbEEEE10hipError_tPvRmT1_T2_T3_mmT4_T5_P12ihipStream_tbEUlRKiE_EESL_SP_SQ_mSR_SU_bEUlT_E_NS1_11comp_targetILNS1_3genE10ELNS1_11target_archE1201ELNS1_3gpuE5ELNS1_3repE0EEENS1_30default_config_static_selectorELNS0_4arch9wavefront6targetE1EEEvSO_
; %bb.0:
	.section	.rodata,"a",@progbits
	.p2align	6, 0x0
	.amdhsa_kernel _ZN7rocprim17ROCPRIM_400000_NS6detail17trampoline_kernelINS0_14default_configENS1_27upper_bound_config_selectorIilEEZNS1_14transform_implILb0ES3_S5_N6thrust23THRUST_200600_302600_NS17counting_iteratorIiNS8_11use_defaultESA_SA_EEPlZNS1_13binary_searchIS3_S5_PiSB_SC_NS1_21upper_bound_search_opENS8_6detail16wrapped_functionINS0_4lessIvEEbEEEE10hipError_tPvRmT1_T2_T3_mmT4_T5_P12ihipStream_tbEUlRKiE_EESL_SP_SQ_mSR_SU_bEUlT_E_NS1_11comp_targetILNS1_3genE10ELNS1_11target_archE1201ELNS1_3gpuE5ELNS1_3repE0EEENS1_30default_config_static_selectorELNS0_4arch9wavefront6targetE1EEEvSO_
		.amdhsa_group_segment_fixed_size 0
		.amdhsa_private_segment_fixed_size 0
		.amdhsa_kernarg_size 56
		.amdhsa_user_sgpr_count 6
		.amdhsa_user_sgpr_private_segment_buffer 1
		.amdhsa_user_sgpr_dispatch_ptr 0
		.amdhsa_user_sgpr_queue_ptr 0
		.amdhsa_user_sgpr_kernarg_segment_ptr 1
		.amdhsa_user_sgpr_dispatch_id 0
		.amdhsa_user_sgpr_flat_scratch_init 0
		.amdhsa_user_sgpr_kernarg_preload_length 0
		.amdhsa_user_sgpr_kernarg_preload_offset 0
		.amdhsa_user_sgpr_private_segment_size 0
		.amdhsa_uses_dynamic_stack 0
		.amdhsa_system_sgpr_private_segment_wavefront_offset 0
		.amdhsa_system_sgpr_workgroup_id_x 1
		.amdhsa_system_sgpr_workgroup_id_y 0
		.amdhsa_system_sgpr_workgroup_id_z 0
		.amdhsa_system_sgpr_workgroup_info 0
		.amdhsa_system_vgpr_workitem_id 0
		.amdhsa_next_free_vgpr 1
		.amdhsa_next_free_sgpr 0
		.amdhsa_accum_offset 4
		.amdhsa_reserve_vcc 0
		.amdhsa_reserve_flat_scratch 0
		.amdhsa_float_round_mode_32 0
		.amdhsa_float_round_mode_16_64 0
		.amdhsa_float_denorm_mode_32 3
		.amdhsa_float_denorm_mode_16_64 3
		.amdhsa_dx10_clamp 1
		.amdhsa_ieee_mode 1
		.amdhsa_fp16_overflow 0
		.amdhsa_tg_split 0
		.amdhsa_exception_fp_ieee_invalid_op 0
		.amdhsa_exception_fp_denorm_src 0
		.amdhsa_exception_fp_ieee_div_zero 0
		.amdhsa_exception_fp_ieee_overflow 0
		.amdhsa_exception_fp_ieee_underflow 0
		.amdhsa_exception_fp_ieee_inexact 0
		.amdhsa_exception_int_div_zero 0
	.end_amdhsa_kernel
	.section	.text._ZN7rocprim17ROCPRIM_400000_NS6detail17trampoline_kernelINS0_14default_configENS1_27upper_bound_config_selectorIilEEZNS1_14transform_implILb0ES3_S5_N6thrust23THRUST_200600_302600_NS17counting_iteratorIiNS8_11use_defaultESA_SA_EEPlZNS1_13binary_searchIS3_S5_PiSB_SC_NS1_21upper_bound_search_opENS8_6detail16wrapped_functionINS0_4lessIvEEbEEEE10hipError_tPvRmT1_T2_T3_mmT4_T5_P12ihipStream_tbEUlRKiE_EESL_SP_SQ_mSR_SU_bEUlT_E_NS1_11comp_targetILNS1_3genE10ELNS1_11target_archE1201ELNS1_3gpuE5ELNS1_3repE0EEENS1_30default_config_static_selectorELNS0_4arch9wavefront6targetE1EEEvSO_,"axG",@progbits,_ZN7rocprim17ROCPRIM_400000_NS6detail17trampoline_kernelINS0_14default_configENS1_27upper_bound_config_selectorIilEEZNS1_14transform_implILb0ES3_S5_N6thrust23THRUST_200600_302600_NS17counting_iteratorIiNS8_11use_defaultESA_SA_EEPlZNS1_13binary_searchIS3_S5_PiSB_SC_NS1_21upper_bound_search_opENS8_6detail16wrapped_functionINS0_4lessIvEEbEEEE10hipError_tPvRmT1_T2_T3_mmT4_T5_P12ihipStream_tbEUlRKiE_EESL_SP_SQ_mSR_SU_bEUlT_E_NS1_11comp_targetILNS1_3genE10ELNS1_11target_archE1201ELNS1_3gpuE5ELNS1_3repE0EEENS1_30default_config_static_selectorELNS0_4arch9wavefront6targetE1EEEvSO_,comdat
.Lfunc_end154:
	.size	_ZN7rocprim17ROCPRIM_400000_NS6detail17trampoline_kernelINS0_14default_configENS1_27upper_bound_config_selectorIilEEZNS1_14transform_implILb0ES3_S5_N6thrust23THRUST_200600_302600_NS17counting_iteratorIiNS8_11use_defaultESA_SA_EEPlZNS1_13binary_searchIS3_S5_PiSB_SC_NS1_21upper_bound_search_opENS8_6detail16wrapped_functionINS0_4lessIvEEbEEEE10hipError_tPvRmT1_T2_T3_mmT4_T5_P12ihipStream_tbEUlRKiE_EESL_SP_SQ_mSR_SU_bEUlT_E_NS1_11comp_targetILNS1_3genE10ELNS1_11target_archE1201ELNS1_3gpuE5ELNS1_3repE0EEENS1_30default_config_static_selectorELNS0_4arch9wavefront6targetE1EEEvSO_, .Lfunc_end154-_ZN7rocprim17ROCPRIM_400000_NS6detail17trampoline_kernelINS0_14default_configENS1_27upper_bound_config_selectorIilEEZNS1_14transform_implILb0ES3_S5_N6thrust23THRUST_200600_302600_NS17counting_iteratorIiNS8_11use_defaultESA_SA_EEPlZNS1_13binary_searchIS3_S5_PiSB_SC_NS1_21upper_bound_search_opENS8_6detail16wrapped_functionINS0_4lessIvEEbEEEE10hipError_tPvRmT1_T2_T3_mmT4_T5_P12ihipStream_tbEUlRKiE_EESL_SP_SQ_mSR_SU_bEUlT_E_NS1_11comp_targetILNS1_3genE10ELNS1_11target_archE1201ELNS1_3gpuE5ELNS1_3repE0EEENS1_30default_config_static_selectorELNS0_4arch9wavefront6targetE1EEEvSO_
                                        ; -- End function
	.section	.AMDGPU.csdata,"",@progbits
; Kernel info:
; codeLenInByte = 0
; NumSgprs: 4
; NumVgprs: 0
; NumAgprs: 0
; TotalNumVgprs: 0
; ScratchSize: 0
; MemoryBound: 0
; FloatMode: 240
; IeeeMode: 1
; LDSByteSize: 0 bytes/workgroup (compile time only)
; SGPRBlocks: 0
; VGPRBlocks: 0
; NumSGPRsForWavesPerEU: 4
; NumVGPRsForWavesPerEU: 1
; AccumOffset: 4
; Occupancy: 8
; WaveLimiterHint : 0
; COMPUTE_PGM_RSRC2:SCRATCH_EN: 0
; COMPUTE_PGM_RSRC2:USER_SGPR: 6
; COMPUTE_PGM_RSRC2:TRAP_HANDLER: 0
; COMPUTE_PGM_RSRC2:TGID_X_EN: 1
; COMPUTE_PGM_RSRC2:TGID_Y_EN: 0
; COMPUTE_PGM_RSRC2:TGID_Z_EN: 0
; COMPUTE_PGM_RSRC2:TIDIG_COMP_CNT: 0
; COMPUTE_PGM_RSRC3_GFX90A:ACCUM_OFFSET: 0
; COMPUTE_PGM_RSRC3_GFX90A:TG_SPLIT: 0
	.section	.text._ZN7rocprim17ROCPRIM_400000_NS6detail17trampoline_kernelINS0_14default_configENS1_27upper_bound_config_selectorIilEEZNS1_14transform_implILb0ES3_S5_N6thrust23THRUST_200600_302600_NS17counting_iteratorIiNS8_11use_defaultESA_SA_EEPlZNS1_13binary_searchIS3_S5_PiSB_SC_NS1_21upper_bound_search_opENS8_6detail16wrapped_functionINS0_4lessIvEEbEEEE10hipError_tPvRmT1_T2_T3_mmT4_T5_P12ihipStream_tbEUlRKiE_EESL_SP_SQ_mSR_SU_bEUlT_E_NS1_11comp_targetILNS1_3genE10ELNS1_11target_archE1200ELNS1_3gpuE4ELNS1_3repE0EEENS1_30default_config_static_selectorELNS0_4arch9wavefront6targetE1EEEvSO_,"axG",@progbits,_ZN7rocprim17ROCPRIM_400000_NS6detail17trampoline_kernelINS0_14default_configENS1_27upper_bound_config_selectorIilEEZNS1_14transform_implILb0ES3_S5_N6thrust23THRUST_200600_302600_NS17counting_iteratorIiNS8_11use_defaultESA_SA_EEPlZNS1_13binary_searchIS3_S5_PiSB_SC_NS1_21upper_bound_search_opENS8_6detail16wrapped_functionINS0_4lessIvEEbEEEE10hipError_tPvRmT1_T2_T3_mmT4_T5_P12ihipStream_tbEUlRKiE_EESL_SP_SQ_mSR_SU_bEUlT_E_NS1_11comp_targetILNS1_3genE10ELNS1_11target_archE1200ELNS1_3gpuE4ELNS1_3repE0EEENS1_30default_config_static_selectorELNS0_4arch9wavefront6targetE1EEEvSO_,comdat
	.protected	_ZN7rocprim17ROCPRIM_400000_NS6detail17trampoline_kernelINS0_14default_configENS1_27upper_bound_config_selectorIilEEZNS1_14transform_implILb0ES3_S5_N6thrust23THRUST_200600_302600_NS17counting_iteratorIiNS8_11use_defaultESA_SA_EEPlZNS1_13binary_searchIS3_S5_PiSB_SC_NS1_21upper_bound_search_opENS8_6detail16wrapped_functionINS0_4lessIvEEbEEEE10hipError_tPvRmT1_T2_T3_mmT4_T5_P12ihipStream_tbEUlRKiE_EESL_SP_SQ_mSR_SU_bEUlT_E_NS1_11comp_targetILNS1_3genE10ELNS1_11target_archE1200ELNS1_3gpuE4ELNS1_3repE0EEENS1_30default_config_static_selectorELNS0_4arch9wavefront6targetE1EEEvSO_ ; -- Begin function _ZN7rocprim17ROCPRIM_400000_NS6detail17trampoline_kernelINS0_14default_configENS1_27upper_bound_config_selectorIilEEZNS1_14transform_implILb0ES3_S5_N6thrust23THRUST_200600_302600_NS17counting_iteratorIiNS8_11use_defaultESA_SA_EEPlZNS1_13binary_searchIS3_S5_PiSB_SC_NS1_21upper_bound_search_opENS8_6detail16wrapped_functionINS0_4lessIvEEbEEEE10hipError_tPvRmT1_T2_T3_mmT4_T5_P12ihipStream_tbEUlRKiE_EESL_SP_SQ_mSR_SU_bEUlT_E_NS1_11comp_targetILNS1_3genE10ELNS1_11target_archE1200ELNS1_3gpuE4ELNS1_3repE0EEENS1_30default_config_static_selectorELNS0_4arch9wavefront6targetE1EEEvSO_
	.globl	_ZN7rocprim17ROCPRIM_400000_NS6detail17trampoline_kernelINS0_14default_configENS1_27upper_bound_config_selectorIilEEZNS1_14transform_implILb0ES3_S5_N6thrust23THRUST_200600_302600_NS17counting_iteratorIiNS8_11use_defaultESA_SA_EEPlZNS1_13binary_searchIS3_S5_PiSB_SC_NS1_21upper_bound_search_opENS8_6detail16wrapped_functionINS0_4lessIvEEbEEEE10hipError_tPvRmT1_T2_T3_mmT4_T5_P12ihipStream_tbEUlRKiE_EESL_SP_SQ_mSR_SU_bEUlT_E_NS1_11comp_targetILNS1_3genE10ELNS1_11target_archE1200ELNS1_3gpuE4ELNS1_3repE0EEENS1_30default_config_static_selectorELNS0_4arch9wavefront6targetE1EEEvSO_
	.p2align	8
	.type	_ZN7rocprim17ROCPRIM_400000_NS6detail17trampoline_kernelINS0_14default_configENS1_27upper_bound_config_selectorIilEEZNS1_14transform_implILb0ES3_S5_N6thrust23THRUST_200600_302600_NS17counting_iteratorIiNS8_11use_defaultESA_SA_EEPlZNS1_13binary_searchIS3_S5_PiSB_SC_NS1_21upper_bound_search_opENS8_6detail16wrapped_functionINS0_4lessIvEEbEEEE10hipError_tPvRmT1_T2_T3_mmT4_T5_P12ihipStream_tbEUlRKiE_EESL_SP_SQ_mSR_SU_bEUlT_E_NS1_11comp_targetILNS1_3genE10ELNS1_11target_archE1200ELNS1_3gpuE4ELNS1_3repE0EEENS1_30default_config_static_selectorELNS0_4arch9wavefront6targetE1EEEvSO_,@function
_ZN7rocprim17ROCPRIM_400000_NS6detail17trampoline_kernelINS0_14default_configENS1_27upper_bound_config_selectorIilEEZNS1_14transform_implILb0ES3_S5_N6thrust23THRUST_200600_302600_NS17counting_iteratorIiNS8_11use_defaultESA_SA_EEPlZNS1_13binary_searchIS3_S5_PiSB_SC_NS1_21upper_bound_search_opENS8_6detail16wrapped_functionINS0_4lessIvEEbEEEE10hipError_tPvRmT1_T2_T3_mmT4_T5_P12ihipStream_tbEUlRKiE_EESL_SP_SQ_mSR_SU_bEUlT_E_NS1_11comp_targetILNS1_3genE10ELNS1_11target_archE1200ELNS1_3gpuE4ELNS1_3repE0EEENS1_30default_config_static_selectorELNS0_4arch9wavefront6targetE1EEEvSO_: ; @_ZN7rocprim17ROCPRIM_400000_NS6detail17trampoline_kernelINS0_14default_configENS1_27upper_bound_config_selectorIilEEZNS1_14transform_implILb0ES3_S5_N6thrust23THRUST_200600_302600_NS17counting_iteratorIiNS8_11use_defaultESA_SA_EEPlZNS1_13binary_searchIS3_S5_PiSB_SC_NS1_21upper_bound_search_opENS8_6detail16wrapped_functionINS0_4lessIvEEbEEEE10hipError_tPvRmT1_T2_T3_mmT4_T5_P12ihipStream_tbEUlRKiE_EESL_SP_SQ_mSR_SU_bEUlT_E_NS1_11comp_targetILNS1_3genE10ELNS1_11target_archE1200ELNS1_3gpuE4ELNS1_3repE0EEENS1_30default_config_static_selectorELNS0_4arch9wavefront6targetE1EEEvSO_
; %bb.0:
	.section	.rodata,"a",@progbits
	.p2align	6, 0x0
	.amdhsa_kernel _ZN7rocprim17ROCPRIM_400000_NS6detail17trampoline_kernelINS0_14default_configENS1_27upper_bound_config_selectorIilEEZNS1_14transform_implILb0ES3_S5_N6thrust23THRUST_200600_302600_NS17counting_iteratorIiNS8_11use_defaultESA_SA_EEPlZNS1_13binary_searchIS3_S5_PiSB_SC_NS1_21upper_bound_search_opENS8_6detail16wrapped_functionINS0_4lessIvEEbEEEE10hipError_tPvRmT1_T2_T3_mmT4_T5_P12ihipStream_tbEUlRKiE_EESL_SP_SQ_mSR_SU_bEUlT_E_NS1_11comp_targetILNS1_3genE10ELNS1_11target_archE1200ELNS1_3gpuE4ELNS1_3repE0EEENS1_30default_config_static_selectorELNS0_4arch9wavefront6targetE1EEEvSO_
		.amdhsa_group_segment_fixed_size 0
		.amdhsa_private_segment_fixed_size 0
		.amdhsa_kernarg_size 56
		.amdhsa_user_sgpr_count 6
		.amdhsa_user_sgpr_private_segment_buffer 1
		.amdhsa_user_sgpr_dispatch_ptr 0
		.amdhsa_user_sgpr_queue_ptr 0
		.amdhsa_user_sgpr_kernarg_segment_ptr 1
		.amdhsa_user_sgpr_dispatch_id 0
		.amdhsa_user_sgpr_flat_scratch_init 0
		.amdhsa_user_sgpr_kernarg_preload_length 0
		.amdhsa_user_sgpr_kernarg_preload_offset 0
		.amdhsa_user_sgpr_private_segment_size 0
		.amdhsa_uses_dynamic_stack 0
		.amdhsa_system_sgpr_private_segment_wavefront_offset 0
		.amdhsa_system_sgpr_workgroup_id_x 1
		.amdhsa_system_sgpr_workgroup_id_y 0
		.amdhsa_system_sgpr_workgroup_id_z 0
		.amdhsa_system_sgpr_workgroup_info 0
		.amdhsa_system_vgpr_workitem_id 0
		.amdhsa_next_free_vgpr 1
		.amdhsa_next_free_sgpr 0
		.amdhsa_accum_offset 4
		.amdhsa_reserve_vcc 0
		.amdhsa_reserve_flat_scratch 0
		.amdhsa_float_round_mode_32 0
		.amdhsa_float_round_mode_16_64 0
		.amdhsa_float_denorm_mode_32 3
		.amdhsa_float_denorm_mode_16_64 3
		.amdhsa_dx10_clamp 1
		.amdhsa_ieee_mode 1
		.amdhsa_fp16_overflow 0
		.amdhsa_tg_split 0
		.amdhsa_exception_fp_ieee_invalid_op 0
		.amdhsa_exception_fp_denorm_src 0
		.amdhsa_exception_fp_ieee_div_zero 0
		.amdhsa_exception_fp_ieee_overflow 0
		.amdhsa_exception_fp_ieee_underflow 0
		.amdhsa_exception_fp_ieee_inexact 0
		.amdhsa_exception_int_div_zero 0
	.end_amdhsa_kernel
	.section	.text._ZN7rocprim17ROCPRIM_400000_NS6detail17trampoline_kernelINS0_14default_configENS1_27upper_bound_config_selectorIilEEZNS1_14transform_implILb0ES3_S5_N6thrust23THRUST_200600_302600_NS17counting_iteratorIiNS8_11use_defaultESA_SA_EEPlZNS1_13binary_searchIS3_S5_PiSB_SC_NS1_21upper_bound_search_opENS8_6detail16wrapped_functionINS0_4lessIvEEbEEEE10hipError_tPvRmT1_T2_T3_mmT4_T5_P12ihipStream_tbEUlRKiE_EESL_SP_SQ_mSR_SU_bEUlT_E_NS1_11comp_targetILNS1_3genE10ELNS1_11target_archE1200ELNS1_3gpuE4ELNS1_3repE0EEENS1_30default_config_static_selectorELNS0_4arch9wavefront6targetE1EEEvSO_,"axG",@progbits,_ZN7rocprim17ROCPRIM_400000_NS6detail17trampoline_kernelINS0_14default_configENS1_27upper_bound_config_selectorIilEEZNS1_14transform_implILb0ES3_S5_N6thrust23THRUST_200600_302600_NS17counting_iteratorIiNS8_11use_defaultESA_SA_EEPlZNS1_13binary_searchIS3_S5_PiSB_SC_NS1_21upper_bound_search_opENS8_6detail16wrapped_functionINS0_4lessIvEEbEEEE10hipError_tPvRmT1_T2_T3_mmT4_T5_P12ihipStream_tbEUlRKiE_EESL_SP_SQ_mSR_SU_bEUlT_E_NS1_11comp_targetILNS1_3genE10ELNS1_11target_archE1200ELNS1_3gpuE4ELNS1_3repE0EEENS1_30default_config_static_selectorELNS0_4arch9wavefront6targetE1EEEvSO_,comdat
.Lfunc_end155:
	.size	_ZN7rocprim17ROCPRIM_400000_NS6detail17trampoline_kernelINS0_14default_configENS1_27upper_bound_config_selectorIilEEZNS1_14transform_implILb0ES3_S5_N6thrust23THRUST_200600_302600_NS17counting_iteratorIiNS8_11use_defaultESA_SA_EEPlZNS1_13binary_searchIS3_S5_PiSB_SC_NS1_21upper_bound_search_opENS8_6detail16wrapped_functionINS0_4lessIvEEbEEEE10hipError_tPvRmT1_T2_T3_mmT4_T5_P12ihipStream_tbEUlRKiE_EESL_SP_SQ_mSR_SU_bEUlT_E_NS1_11comp_targetILNS1_3genE10ELNS1_11target_archE1200ELNS1_3gpuE4ELNS1_3repE0EEENS1_30default_config_static_selectorELNS0_4arch9wavefront6targetE1EEEvSO_, .Lfunc_end155-_ZN7rocprim17ROCPRIM_400000_NS6detail17trampoline_kernelINS0_14default_configENS1_27upper_bound_config_selectorIilEEZNS1_14transform_implILb0ES3_S5_N6thrust23THRUST_200600_302600_NS17counting_iteratorIiNS8_11use_defaultESA_SA_EEPlZNS1_13binary_searchIS3_S5_PiSB_SC_NS1_21upper_bound_search_opENS8_6detail16wrapped_functionINS0_4lessIvEEbEEEE10hipError_tPvRmT1_T2_T3_mmT4_T5_P12ihipStream_tbEUlRKiE_EESL_SP_SQ_mSR_SU_bEUlT_E_NS1_11comp_targetILNS1_3genE10ELNS1_11target_archE1200ELNS1_3gpuE4ELNS1_3repE0EEENS1_30default_config_static_selectorELNS0_4arch9wavefront6targetE1EEEvSO_
                                        ; -- End function
	.section	.AMDGPU.csdata,"",@progbits
; Kernel info:
; codeLenInByte = 0
; NumSgprs: 4
; NumVgprs: 0
; NumAgprs: 0
; TotalNumVgprs: 0
; ScratchSize: 0
; MemoryBound: 0
; FloatMode: 240
; IeeeMode: 1
; LDSByteSize: 0 bytes/workgroup (compile time only)
; SGPRBlocks: 0
; VGPRBlocks: 0
; NumSGPRsForWavesPerEU: 4
; NumVGPRsForWavesPerEU: 1
; AccumOffset: 4
; Occupancy: 8
; WaveLimiterHint : 0
; COMPUTE_PGM_RSRC2:SCRATCH_EN: 0
; COMPUTE_PGM_RSRC2:USER_SGPR: 6
; COMPUTE_PGM_RSRC2:TRAP_HANDLER: 0
; COMPUTE_PGM_RSRC2:TGID_X_EN: 1
; COMPUTE_PGM_RSRC2:TGID_Y_EN: 0
; COMPUTE_PGM_RSRC2:TGID_Z_EN: 0
; COMPUTE_PGM_RSRC2:TIDIG_COMP_CNT: 0
; COMPUTE_PGM_RSRC3_GFX90A:ACCUM_OFFSET: 0
; COMPUTE_PGM_RSRC3_GFX90A:TG_SPLIT: 0
	.section	.text._ZN7rocprim17ROCPRIM_400000_NS6detail17trampoline_kernelINS0_14default_configENS1_27upper_bound_config_selectorIilEEZNS1_14transform_implILb0ES3_S5_N6thrust23THRUST_200600_302600_NS17counting_iteratorIiNS8_11use_defaultESA_SA_EEPlZNS1_13binary_searchIS3_S5_PiSB_SC_NS1_21upper_bound_search_opENS8_6detail16wrapped_functionINS0_4lessIvEEbEEEE10hipError_tPvRmT1_T2_T3_mmT4_T5_P12ihipStream_tbEUlRKiE_EESL_SP_SQ_mSR_SU_bEUlT_E_NS1_11comp_targetILNS1_3genE9ELNS1_11target_archE1100ELNS1_3gpuE3ELNS1_3repE0EEENS1_30default_config_static_selectorELNS0_4arch9wavefront6targetE1EEEvSO_,"axG",@progbits,_ZN7rocprim17ROCPRIM_400000_NS6detail17trampoline_kernelINS0_14default_configENS1_27upper_bound_config_selectorIilEEZNS1_14transform_implILb0ES3_S5_N6thrust23THRUST_200600_302600_NS17counting_iteratorIiNS8_11use_defaultESA_SA_EEPlZNS1_13binary_searchIS3_S5_PiSB_SC_NS1_21upper_bound_search_opENS8_6detail16wrapped_functionINS0_4lessIvEEbEEEE10hipError_tPvRmT1_T2_T3_mmT4_T5_P12ihipStream_tbEUlRKiE_EESL_SP_SQ_mSR_SU_bEUlT_E_NS1_11comp_targetILNS1_3genE9ELNS1_11target_archE1100ELNS1_3gpuE3ELNS1_3repE0EEENS1_30default_config_static_selectorELNS0_4arch9wavefront6targetE1EEEvSO_,comdat
	.protected	_ZN7rocprim17ROCPRIM_400000_NS6detail17trampoline_kernelINS0_14default_configENS1_27upper_bound_config_selectorIilEEZNS1_14transform_implILb0ES3_S5_N6thrust23THRUST_200600_302600_NS17counting_iteratorIiNS8_11use_defaultESA_SA_EEPlZNS1_13binary_searchIS3_S5_PiSB_SC_NS1_21upper_bound_search_opENS8_6detail16wrapped_functionINS0_4lessIvEEbEEEE10hipError_tPvRmT1_T2_T3_mmT4_T5_P12ihipStream_tbEUlRKiE_EESL_SP_SQ_mSR_SU_bEUlT_E_NS1_11comp_targetILNS1_3genE9ELNS1_11target_archE1100ELNS1_3gpuE3ELNS1_3repE0EEENS1_30default_config_static_selectorELNS0_4arch9wavefront6targetE1EEEvSO_ ; -- Begin function _ZN7rocprim17ROCPRIM_400000_NS6detail17trampoline_kernelINS0_14default_configENS1_27upper_bound_config_selectorIilEEZNS1_14transform_implILb0ES3_S5_N6thrust23THRUST_200600_302600_NS17counting_iteratorIiNS8_11use_defaultESA_SA_EEPlZNS1_13binary_searchIS3_S5_PiSB_SC_NS1_21upper_bound_search_opENS8_6detail16wrapped_functionINS0_4lessIvEEbEEEE10hipError_tPvRmT1_T2_T3_mmT4_T5_P12ihipStream_tbEUlRKiE_EESL_SP_SQ_mSR_SU_bEUlT_E_NS1_11comp_targetILNS1_3genE9ELNS1_11target_archE1100ELNS1_3gpuE3ELNS1_3repE0EEENS1_30default_config_static_selectorELNS0_4arch9wavefront6targetE1EEEvSO_
	.globl	_ZN7rocprim17ROCPRIM_400000_NS6detail17trampoline_kernelINS0_14default_configENS1_27upper_bound_config_selectorIilEEZNS1_14transform_implILb0ES3_S5_N6thrust23THRUST_200600_302600_NS17counting_iteratorIiNS8_11use_defaultESA_SA_EEPlZNS1_13binary_searchIS3_S5_PiSB_SC_NS1_21upper_bound_search_opENS8_6detail16wrapped_functionINS0_4lessIvEEbEEEE10hipError_tPvRmT1_T2_T3_mmT4_T5_P12ihipStream_tbEUlRKiE_EESL_SP_SQ_mSR_SU_bEUlT_E_NS1_11comp_targetILNS1_3genE9ELNS1_11target_archE1100ELNS1_3gpuE3ELNS1_3repE0EEENS1_30default_config_static_selectorELNS0_4arch9wavefront6targetE1EEEvSO_
	.p2align	8
	.type	_ZN7rocprim17ROCPRIM_400000_NS6detail17trampoline_kernelINS0_14default_configENS1_27upper_bound_config_selectorIilEEZNS1_14transform_implILb0ES3_S5_N6thrust23THRUST_200600_302600_NS17counting_iteratorIiNS8_11use_defaultESA_SA_EEPlZNS1_13binary_searchIS3_S5_PiSB_SC_NS1_21upper_bound_search_opENS8_6detail16wrapped_functionINS0_4lessIvEEbEEEE10hipError_tPvRmT1_T2_T3_mmT4_T5_P12ihipStream_tbEUlRKiE_EESL_SP_SQ_mSR_SU_bEUlT_E_NS1_11comp_targetILNS1_3genE9ELNS1_11target_archE1100ELNS1_3gpuE3ELNS1_3repE0EEENS1_30default_config_static_selectorELNS0_4arch9wavefront6targetE1EEEvSO_,@function
_ZN7rocprim17ROCPRIM_400000_NS6detail17trampoline_kernelINS0_14default_configENS1_27upper_bound_config_selectorIilEEZNS1_14transform_implILb0ES3_S5_N6thrust23THRUST_200600_302600_NS17counting_iteratorIiNS8_11use_defaultESA_SA_EEPlZNS1_13binary_searchIS3_S5_PiSB_SC_NS1_21upper_bound_search_opENS8_6detail16wrapped_functionINS0_4lessIvEEbEEEE10hipError_tPvRmT1_T2_T3_mmT4_T5_P12ihipStream_tbEUlRKiE_EESL_SP_SQ_mSR_SU_bEUlT_E_NS1_11comp_targetILNS1_3genE9ELNS1_11target_archE1100ELNS1_3gpuE3ELNS1_3repE0EEENS1_30default_config_static_selectorELNS0_4arch9wavefront6targetE1EEEvSO_: ; @_ZN7rocprim17ROCPRIM_400000_NS6detail17trampoline_kernelINS0_14default_configENS1_27upper_bound_config_selectorIilEEZNS1_14transform_implILb0ES3_S5_N6thrust23THRUST_200600_302600_NS17counting_iteratorIiNS8_11use_defaultESA_SA_EEPlZNS1_13binary_searchIS3_S5_PiSB_SC_NS1_21upper_bound_search_opENS8_6detail16wrapped_functionINS0_4lessIvEEbEEEE10hipError_tPvRmT1_T2_T3_mmT4_T5_P12ihipStream_tbEUlRKiE_EESL_SP_SQ_mSR_SU_bEUlT_E_NS1_11comp_targetILNS1_3genE9ELNS1_11target_archE1100ELNS1_3gpuE3ELNS1_3repE0EEENS1_30default_config_static_selectorELNS0_4arch9wavefront6targetE1EEEvSO_
; %bb.0:
	.section	.rodata,"a",@progbits
	.p2align	6, 0x0
	.amdhsa_kernel _ZN7rocprim17ROCPRIM_400000_NS6detail17trampoline_kernelINS0_14default_configENS1_27upper_bound_config_selectorIilEEZNS1_14transform_implILb0ES3_S5_N6thrust23THRUST_200600_302600_NS17counting_iteratorIiNS8_11use_defaultESA_SA_EEPlZNS1_13binary_searchIS3_S5_PiSB_SC_NS1_21upper_bound_search_opENS8_6detail16wrapped_functionINS0_4lessIvEEbEEEE10hipError_tPvRmT1_T2_T3_mmT4_T5_P12ihipStream_tbEUlRKiE_EESL_SP_SQ_mSR_SU_bEUlT_E_NS1_11comp_targetILNS1_3genE9ELNS1_11target_archE1100ELNS1_3gpuE3ELNS1_3repE0EEENS1_30default_config_static_selectorELNS0_4arch9wavefront6targetE1EEEvSO_
		.amdhsa_group_segment_fixed_size 0
		.amdhsa_private_segment_fixed_size 0
		.amdhsa_kernarg_size 56
		.amdhsa_user_sgpr_count 6
		.amdhsa_user_sgpr_private_segment_buffer 1
		.amdhsa_user_sgpr_dispatch_ptr 0
		.amdhsa_user_sgpr_queue_ptr 0
		.amdhsa_user_sgpr_kernarg_segment_ptr 1
		.amdhsa_user_sgpr_dispatch_id 0
		.amdhsa_user_sgpr_flat_scratch_init 0
		.amdhsa_user_sgpr_kernarg_preload_length 0
		.amdhsa_user_sgpr_kernarg_preload_offset 0
		.amdhsa_user_sgpr_private_segment_size 0
		.amdhsa_uses_dynamic_stack 0
		.amdhsa_system_sgpr_private_segment_wavefront_offset 0
		.amdhsa_system_sgpr_workgroup_id_x 1
		.amdhsa_system_sgpr_workgroup_id_y 0
		.amdhsa_system_sgpr_workgroup_id_z 0
		.amdhsa_system_sgpr_workgroup_info 0
		.amdhsa_system_vgpr_workitem_id 0
		.amdhsa_next_free_vgpr 1
		.amdhsa_next_free_sgpr 0
		.amdhsa_accum_offset 4
		.amdhsa_reserve_vcc 0
		.amdhsa_reserve_flat_scratch 0
		.amdhsa_float_round_mode_32 0
		.amdhsa_float_round_mode_16_64 0
		.amdhsa_float_denorm_mode_32 3
		.amdhsa_float_denorm_mode_16_64 3
		.amdhsa_dx10_clamp 1
		.amdhsa_ieee_mode 1
		.amdhsa_fp16_overflow 0
		.amdhsa_tg_split 0
		.amdhsa_exception_fp_ieee_invalid_op 0
		.amdhsa_exception_fp_denorm_src 0
		.amdhsa_exception_fp_ieee_div_zero 0
		.amdhsa_exception_fp_ieee_overflow 0
		.amdhsa_exception_fp_ieee_underflow 0
		.amdhsa_exception_fp_ieee_inexact 0
		.amdhsa_exception_int_div_zero 0
	.end_amdhsa_kernel
	.section	.text._ZN7rocprim17ROCPRIM_400000_NS6detail17trampoline_kernelINS0_14default_configENS1_27upper_bound_config_selectorIilEEZNS1_14transform_implILb0ES3_S5_N6thrust23THRUST_200600_302600_NS17counting_iteratorIiNS8_11use_defaultESA_SA_EEPlZNS1_13binary_searchIS3_S5_PiSB_SC_NS1_21upper_bound_search_opENS8_6detail16wrapped_functionINS0_4lessIvEEbEEEE10hipError_tPvRmT1_T2_T3_mmT4_T5_P12ihipStream_tbEUlRKiE_EESL_SP_SQ_mSR_SU_bEUlT_E_NS1_11comp_targetILNS1_3genE9ELNS1_11target_archE1100ELNS1_3gpuE3ELNS1_3repE0EEENS1_30default_config_static_selectorELNS0_4arch9wavefront6targetE1EEEvSO_,"axG",@progbits,_ZN7rocprim17ROCPRIM_400000_NS6detail17trampoline_kernelINS0_14default_configENS1_27upper_bound_config_selectorIilEEZNS1_14transform_implILb0ES3_S5_N6thrust23THRUST_200600_302600_NS17counting_iteratorIiNS8_11use_defaultESA_SA_EEPlZNS1_13binary_searchIS3_S5_PiSB_SC_NS1_21upper_bound_search_opENS8_6detail16wrapped_functionINS0_4lessIvEEbEEEE10hipError_tPvRmT1_T2_T3_mmT4_T5_P12ihipStream_tbEUlRKiE_EESL_SP_SQ_mSR_SU_bEUlT_E_NS1_11comp_targetILNS1_3genE9ELNS1_11target_archE1100ELNS1_3gpuE3ELNS1_3repE0EEENS1_30default_config_static_selectorELNS0_4arch9wavefront6targetE1EEEvSO_,comdat
.Lfunc_end156:
	.size	_ZN7rocprim17ROCPRIM_400000_NS6detail17trampoline_kernelINS0_14default_configENS1_27upper_bound_config_selectorIilEEZNS1_14transform_implILb0ES3_S5_N6thrust23THRUST_200600_302600_NS17counting_iteratorIiNS8_11use_defaultESA_SA_EEPlZNS1_13binary_searchIS3_S5_PiSB_SC_NS1_21upper_bound_search_opENS8_6detail16wrapped_functionINS0_4lessIvEEbEEEE10hipError_tPvRmT1_T2_T3_mmT4_T5_P12ihipStream_tbEUlRKiE_EESL_SP_SQ_mSR_SU_bEUlT_E_NS1_11comp_targetILNS1_3genE9ELNS1_11target_archE1100ELNS1_3gpuE3ELNS1_3repE0EEENS1_30default_config_static_selectorELNS0_4arch9wavefront6targetE1EEEvSO_, .Lfunc_end156-_ZN7rocprim17ROCPRIM_400000_NS6detail17trampoline_kernelINS0_14default_configENS1_27upper_bound_config_selectorIilEEZNS1_14transform_implILb0ES3_S5_N6thrust23THRUST_200600_302600_NS17counting_iteratorIiNS8_11use_defaultESA_SA_EEPlZNS1_13binary_searchIS3_S5_PiSB_SC_NS1_21upper_bound_search_opENS8_6detail16wrapped_functionINS0_4lessIvEEbEEEE10hipError_tPvRmT1_T2_T3_mmT4_T5_P12ihipStream_tbEUlRKiE_EESL_SP_SQ_mSR_SU_bEUlT_E_NS1_11comp_targetILNS1_3genE9ELNS1_11target_archE1100ELNS1_3gpuE3ELNS1_3repE0EEENS1_30default_config_static_selectorELNS0_4arch9wavefront6targetE1EEEvSO_
                                        ; -- End function
	.section	.AMDGPU.csdata,"",@progbits
; Kernel info:
; codeLenInByte = 0
; NumSgprs: 4
; NumVgprs: 0
; NumAgprs: 0
; TotalNumVgprs: 0
; ScratchSize: 0
; MemoryBound: 0
; FloatMode: 240
; IeeeMode: 1
; LDSByteSize: 0 bytes/workgroup (compile time only)
; SGPRBlocks: 0
; VGPRBlocks: 0
; NumSGPRsForWavesPerEU: 4
; NumVGPRsForWavesPerEU: 1
; AccumOffset: 4
; Occupancy: 8
; WaveLimiterHint : 0
; COMPUTE_PGM_RSRC2:SCRATCH_EN: 0
; COMPUTE_PGM_RSRC2:USER_SGPR: 6
; COMPUTE_PGM_RSRC2:TRAP_HANDLER: 0
; COMPUTE_PGM_RSRC2:TGID_X_EN: 1
; COMPUTE_PGM_RSRC2:TGID_Y_EN: 0
; COMPUTE_PGM_RSRC2:TGID_Z_EN: 0
; COMPUTE_PGM_RSRC2:TIDIG_COMP_CNT: 0
; COMPUTE_PGM_RSRC3_GFX90A:ACCUM_OFFSET: 0
; COMPUTE_PGM_RSRC3_GFX90A:TG_SPLIT: 0
	.section	.text._ZN7rocprim17ROCPRIM_400000_NS6detail17trampoline_kernelINS0_14default_configENS1_27upper_bound_config_selectorIilEEZNS1_14transform_implILb0ES3_S5_N6thrust23THRUST_200600_302600_NS17counting_iteratorIiNS8_11use_defaultESA_SA_EEPlZNS1_13binary_searchIS3_S5_PiSB_SC_NS1_21upper_bound_search_opENS8_6detail16wrapped_functionINS0_4lessIvEEbEEEE10hipError_tPvRmT1_T2_T3_mmT4_T5_P12ihipStream_tbEUlRKiE_EESL_SP_SQ_mSR_SU_bEUlT_E_NS1_11comp_targetILNS1_3genE8ELNS1_11target_archE1030ELNS1_3gpuE2ELNS1_3repE0EEENS1_30default_config_static_selectorELNS0_4arch9wavefront6targetE1EEEvSO_,"axG",@progbits,_ZN7rocprim17ROCPRIM_400000_NS6detail17trampoline_kernelINS0_14default_configENS1_27upper_bound_config_selectorIilEEZNS1_14transform_implILb0ES3_S5_N6thrust23THRUST_200600_302600_NS17counting_iteratorIiNS8_11use_defaultESA_SA_EEPlZNS1_13binary_searchIS3_S5_PiSB_SC_NS1_21upper_bound_search_opENS8_6detail16wrapped_functionINS0_4lessIvEEbEEEE10hipError_tPvRmT1_T2_T3_mmT4_T5_P12ihipStream_tbEUlRKiE_EESL_SP_SQ_mSR_SU_bEUlT_E_NS1_11comp_targetILNS1_3genE8ELNS1_11target_archE1030ELNS1_3gpuE2ELNS1_3repE0EEENS1_30default_config_static_selectorELNS0_4arch9wavefront6targetE1EEEvSO_,comdat
	.protected	_ZN7rocprim17ROCPRIM_400000_NS6detail17trampoline_kernelINS0_14default_configENS1_27upper_bound_config_selectorIilEEZNS1_14transform_implILb0ES3_S5_N6thrust23THRUST_200600_302600_NS17counting_iteratorIiNS8_11use_defaultESA_SA_EEPlZNS1_13binary_searchIS3_S5_PiSB_SC_NS1_21upper_bound_search_opENS8_6detail16wrapped_functionINS0_4lessIvEEbEEEE10hipError_tPvRmT1_T2_T3_mmT4_T5_P12ihipStream_tbEUlRKiE_EESL_SP_SQ_mSR_SU_bEUlT_E_NS1_11comp_targetILNS1_3genE8ELNS1_11target_archE1030ELNS1_3gpuE2ELNS1_3repE0EEENS1_30default_config_static_selectorELNS0_4arch9wavefront6targetE1EEEvSO_ ; -- Begin function _ZN7rocprim17ROCPRIM_400000_NS6detail17trampoline_kernelINS0_14default_configENS1_27upper_bound_config_selectorIilEEZNS1_14transform_implILb0ES3_S5_N6thrust23THRUST_200600_302600_NS17counting_iteratorIiNS8_11use_defaultESA_SA_EEPlZNS1_13binary_searchIS3_S5_PiSB_SC_NS1_21upper_bound_search_opENS8_6detail16wrapped_functionINS0_4lessIvEEbEEEE10hipError_tPvRmT1_T2_T3_mmT4_T5_P12ihipStream_tbEUlRKiE_EESL_SP_SQ_mSR_SU_bEUlT_E_NS1_11comp_targetILNS1_3genE8ELNS1_11target_archE1030ELNS1_3gpuE2ELNS1_3repE0EEENS1_30default_config_static_selectorELNS0_4arch9wavefront6targetE1EEEvSO_
	.globl	_ZN7rocprim17ROCPRIM_400000_NS6detail17trampoline_kernelINS0_14default_configENS1_27upper_bound_config_selectorIilEEZNS1_14transform_implILb0ES3_S5_N6thrust23THRUST_200600_302600_NS17counting_iteratorIiNS8_11use_defaultESA_SA_EEPlZNS1_13binary_searchIS3_S5_PiSB_SC_NS1_21upper_bound_search_opENS8_6detail16wrapped_functionINS0_4lessIvEEbEEEE10hipError_tPvRmT1_T2_T3_mmT4_T5_P12ihipStream_tbEUlRKiE_EESL_SP_SQ_mSR_SU_bEUlT_E_NS1_11comp_targetILNS1_3genE8ELNS1_11target_archE1030ELNS1_3gpuE2ELNS1_3repE0EEENS1_30default_config_static_selectorELNS0_4arch9wavefront6targetE1EEEvSO_
	.p2align	8
	.type	_ZN7rocprim17ROCPRIM_400000_NS6detail17trampoline_kernelINS0_14default_configENS1_27upper_bound_config_selectorIilEEZNS1_14transform_implILb0ES3_S5_N6thrust23THRUST_200600_302600_NS17counting_iteratorIiNS8_11use_defaultESA_SA_EEPlZNS1_13binary_searchIS3_S5_PiSB_SC_NS1_21upper_bound_search_opENS8_6detail16wrapped_functionINS0_4lessIvEEbEEEE10hipError_tPvRmT1_T2_T3_mmT4_T5_P12ihipStream_tbEUlRKiE_EESL_SP_SQ_mSR_SU_bEUlT_E_NS1_11comp_targetILNS1_3genE8ELNS1_11target_archE1030ELNS1_3gpuE2ELNS1_3repE0EEENS1_30default_config_static_selectorELNS0_4arch9wavefront6targetE1EEEvSO_,@function
_ZN7rocprim17ROCPRIM_400000_NS6detail17trampoline_kernelINS0_14default_configENS1_27upper_bound_config_selectorIilEEZNS1_14transform_implILb0ES3_S5_N6thrust23THRUST_200600_302600_NS17counting_iteratorIiNS8_11use_defaultESA_SA_EEPlZNS1_13binary_searchIS3_S5_PiSB_SC_NS1_21upper_bound_search_opENS8_6detail16wrapped_functionINS0_4lessIvEEbEEEE10hipError_tPvRmT1_T2_T3_mmT4_T5_P12ihipStream_tbEUlRKiE_EESL_SP_SQ_mSR_SU_bEUlT_E_NS1_11comp_targetILNS1_3genE8ELNS1_11target_archE1030ELNS1_3gpuE2ELNS1_3repE0EEENS1_30default_config_static_selectorELNS0_4arch9wavefront6targetE1EEEvSO_: ; @_ZN7rocprim17ROCPRIM_400000_NS6detail17trampoline_kernelINS0_14default_configENS1_27upper_bound_config_selectorIilEEZNS1_14transform_implILb0ES3_S5_N6thrust23THRUST_200600_302600_NS17counting_iteratorIiNS8_11use_defaultESA_SA_EEPlZNS1_13binary_searchIS3_S5_PiSB_SC_NS1_21upper_bound_search_opENS8_6detail16wrapped_functionINS0_4lessIvEEbEEEE10hipError_tPvRmT1_T2_T3_mmT4_T5_P12ihipStream_tbEUlRKiE_EESL_SP_SQ_mSR_SU_bEUlT_E_NS1_11comp_targetILNS1_3genE8ELNS1_11target_archE1030ELNS1_3gpuE2ELNS1_3repE0EEENS1_30default_config_static_selectorELNS0_4arch9wavefront6targetE1EEEvSO_
; %bb.0:
	.section	.rodata,"a",@progbits
	.p2align	6, 0x0
	.amdhsa_kernel _ZN7rocprim17ROCPRIM_400000_NS6detail17trampoline_kernelINS0_14default_configENS1_27upper_bound_config_selectorIilEEZNS1_14transform_implILb0ES3_S5_N6thrust23THRUST_200600_302600_NS17counting_iteratorIiNS8_11use_defaultESA_SA_EEPlZNS1_13binary_searchIS3_S5_PiSB_SC_NS1_21upper_bound_search_opENS8_6detail16wrapped_functionINS0_4lessIvEEbEEEE10hipError_tPvRmT1_T2_T3_mmT4_T5_P12ihipStream_tbEUlRKiE_EESL_SP_SQ_mSR_SU_bEUlT_E_NS1_11comp_targetILNS1_3genE8ELNS1_11target_archE1030ELNS1_3gpuE2ELNS1_3repE0EEENS1_30default_config_static_selectorELNS0_4arch9wavefront6targetE1EEEvSO_
		.amdhsa_group_segment_fixed_size 0
		.amdhsa_private_segment_fixed_size 0
		.amdhsa_kernarg_size 56
		.amdhsa_user_sgpr_count 6
		.amdhsa_user_sgpr_private_segment_buffer 1
		.amdhsa_user_sgpr_dispatch_ptr 0
		.amdhsa_user_sgpr_queue_ptr 0
		.amdhsa_user_sgpr_kernarg_segment_ptr 1
		.amdhsa_user_sgpr_dispatch_id 0
		.amdhsa_user_sgpr_flat_scratch_init 0
		.amdhsa_user_sgpr_kernarg_preload_length 0
		.amdhsa_user_sgpr_kernarg_preload_offset 0
		.amdhsa_user_sgpr_private_segment_size 0
		.amdhsa_uses_dynamic_stack 0
		.amdhsa_system_sgpr_private_segment_wavefront_offset 0
		.amdhsa_system_sgpr_workgroup_id_x 1
		.amdhsa_system_sgpr_workgroup_id_y 0
		.amdhsa_system_sgpr_workgroup_id_z 0
		.amdhsa_system_sgpr_workgroup_info 0
		.amdhsa_system_vgpr_workitem_id 0
		.amdhsa_next_free_vgpr 1
		.amdhsa_next_free_sgpr 0
		.amdhsa_accum_offset 4
		.amdhsa_reserve_vcc 0
		.amdhsa_reserve_flat_scratch 0
		.amdhsa_float_round_mode_32 0
		.amdhsa_float_round_mode_16_64 0
		.amdhsa_float_denorm_mode_32 3
		.amdhsa_float_denorm_mode_16_64 3
		.amdhsa_dx10_clamp 1
		.amdhsa_ieee_mode 1
		.amdhsa_fp16_overflow 0
		.amdhsa_tg_split 0
		.amdhsa_exception_fp_ieee_invalid_op 0
		.amdhsa_exception_fp_denorm_src 0
		.amdhsa_exception_fp_ieee_div_zero 0
		.amdhsa_exception_fp_ieee_overflow 0
		.amdhsa_exception_fp_ieee_underflow 0
		.amdhsa_exception_fp_ieee_inexact 0
		.amdhsa_exception_int_div_zero 0
	.end_amdhsa_kernel
	.section	.text._ZN7rocprim17ROCPRIM_400000_NS6detail17trampoline_kernelINS0_14default_configENS1_27upper_bound_config_selectorIilEEZNS1_14transform_implILb0ES3_S5_N6thrust23THRUST_200600_302600_NS17counting_iteratorIiNS8_11use_defaultESA_SA_EEPlZNS1_13binary_searchIS3_S5_PiSB_SC_NS1_21upper_bound_search_opENS8_6detail16wrapped_functionINS0_4lessIvEEbEEEE10hipError_tPvRmT1_T2_T3_mmT4_T5_P12ihipStream_tbEUlRKiE_EESL_SP_SQ_mSR_SU_bEUlT_E_NS1_11comp_targetILNS1_3genE8ELNS1_11target_archE1030ELNS1_3gpuE2ELNS1_3repE0EEENS1_30default_config_static_selectorELNS0_4arch9wavefront6targetE1EEEvSO_,"axG",@progbits,_ZN7rocprim17ROCPRIM_400000_NS6detail17trampoline_kernelINS0_14default_configENS1_27upper_bound_config_selectorIilEEZNS1_14transform_implILb0ES3_S5_N6thrust23THRUST_200600_302600_NS17counting_iteratorIiNS8_11use_defaultESA_SA_EEPlZNS1_13binary_searchIS3_S5_PiSB_SC_NS1_21upper_bound_search_opENS8_6detail16wrapped_functionINS0_4lessIvEEbEEEE10hipError_tPvRmT1_T2_T3_mmT4_T5_P12ihipStream_tbEUlRKiE_EESL_SP_SQ_mSR_SU_bEUlT_E_NS1_11comp_targetILNS1_3genE8ELNS1_11target_archE1030ELNS1_3gpuE2ELNS1_3repE0EEENS1_30default_config_static_selectorELNS0_4arch9wavefront6targetE1EEEvSO_,comdat
.Lfunc_end157:
	.size	_ZN7rocprim17ROCPRIM_400000_NS6detail17trampoline_kernelINS0_14default_configENS1_27upper_bound_config_selectorIilEEZNS1_14transform_implILb0ES3_S5_N6thrust23THRUST_200600_302600_NS17counting_iteratorIiNS8_11use_defaultESA_SA_EEPlZNS1_13binary_searchIS3_S5_PiSB_SC_NS1_21upper_bound_search_opENS8_6detail16wrapped_functionINS0_4lessIvEEbEEEE10hipError_tPvRmT1_T2_T3_mmT4_T5_P12ihipStream_tbEUlRKiE_EESL_SP_SQ_mSR_SU_bEUlT_E_NS1_11comp_targetILNS1_3genE8ELNS1_11target_archE1030ELNS1_3gpuE2ELNS1_3repE0EEENS1_30default_config_static_selectorELNS0_4arch9wavefront6targetE1EEEvSO_, .Lfunc_end157-_ZN7rocprim17ROCPRIM_400000_NS6detail17trampoline_kernelINS0_14default_configENS1_27upper_bound_config_selectorIilEEZNS1_14transform_implILb0ES3_S5_N6thrust23THRUST_200600_302600_NS17counting_iteratorIiNS8_11use_defaultESA_SA_EEPlZNS1_13binary_searchIS3_S5_PiSB_SC_NS1_21upper_bound_search_opENS8_6detail16wrapped_functionINS0_4lessIvEEbEEEE10hipError_tPvRmT1_T2_T3_mmT4_T5_P12ihipStream_tbEUlRKiE_EESL_SP_SQ_mSR_SU_bEUlT_E_NS1_11comp_targetILNS1_3genE8ELNS1_11target_archE1030ELNS1_3gpuE2ELNS1_3repE0EEENS1_30default_config_static_selectorELNS0_4arch9wavefront6targetE1EEEvSO_
                                        ; -- End function
	.section	.AMDGPU.csdata,"",@progbits
; Kernel info:
; codeLenInByte = 0
; NumSgprs: 4
; NumVgprs: 0
; NumAgprs: 0
; TotalNumVgprs: 0
; ScratchSize: 0
; MemoryBound: 0
; FloatMode: 240
; IeeeMode: 1
; LDSByteSize: 0 bytes/workgroup (compile time only)
; SGPRBlocks: 0
; VGPRBlocks: 0
; NumSGPRsForWavesPerEU: 4
; NumVGPRsForWavesPerEU: 1
; AccumOffset: 4
; Occupancy: 8
; WaveLimiterHint : 0
; COMPUTE_PGM_RSRC2:SCRATCH_EN: 0
; COMPUTE_PGM_RSRC2:USER_SGPR: 6
; COMPUTE_PGM_RSRC2:TRAP_HANDLER: 0
; COMPUTE_PGM_RSRC2:TGID_X_EN: 1
; COMPUTE_PGM_RSRC2:TGID_Y_EN: 0
; COMPUTE_PGM_RSRC2:TGID_Z_EN: 0
; COMPUTE_PGM_RSRC2:TIDIG_COMP_CNT: 0
; COMPUTE_PGM_RSRC3_GFX90A:ACCUM_OFFSET: 0
; COMPUTE_PGM_RSRC3_GFX90A:TG_SPLIT: 0
	.section	.text._Z18upper_bound_kernelIsEvmPT_Pl,"axG",@progbits,_Z18upper_bound_kernelIsEvmPT_Pl,comdat
	.protected	_Z18upper_bound_kernelIsEvmPT_Pl ; -- Begin function _Z18upper_bound_kernelIsEvmPT_Pl
	.globl	_Z18upper_bound_kernelIsEvmPT_Pl
	.p2align	8
	.type	_Z18upper_bound_kernelIsEvmPT_Pl,@function
_Z18upper_bound_kernelIsEvmPT_Pl:       ; @_Z18upper_bound_kernelIsEvmPT_Pl
; %bb.0:
	s_load_dwordx4 s[8:11], s[4:5], 0x0
	s_load_dwordx2 s[6:7], s[4:5], 0x10
	s_mov_b64 s[2:3], 0
	s_waitcnt lgkmcnt(0)
	v_cmp_lt_i64_e64 s[0:1], s[8:9], 1
	s_and_b64 s[0:1], exec, s[0:1]
	s_mov_b64 vcc, s[0:1]
	s_cbranch_vccnz .LBB158_3
; %bb.1:
	v_mov_b32_e32 v0, 0
	s_mov_b64 s[4:5], s[8:9]
.LBB158_2:                              ; =>This Inner Loop Header: Depth=1
	s_sub_u32 s12, s4, s2
	s_subb_u32 s13, s5, s3
	s_lshr_b32 s14, s13, 31
	s_add_u32 s12, s12, s14
	s_addc_u32 s13, s13, 0
	s_ashr_i64 s[12:13], s[12:13], 1
	s_add_u32 s12, s12, s2
	s_addc_u32 s13, s13, s3
	s_lshl_b64 s[14:15], s[12:13], 1
	s_add_u32 s14, s10, s14
	s_addc_u32 s15, s11, s15
	global_load_sshort v1, v0, s[14:15]
	s_add_u32 s14, s12, 1
	s_addc_u32 s15, s13, 0
	s_waitcnt vmcnt(0)
	v_readfirstlane_b32 s16, v1
	s_cmp_gt_i32 s16, 0
	s_cselect_b32 s5, s13, s5
	s_cselect_b32 s4, s12, s4
	;; [unrolled: 1-line block ×4, first 2 shown]
	v_pk_mov_b32 v[2:3], s[4:5], s[4:5] op_sel:[0,1]
	v_cmp_lt_i64_e32 vcc, s[2:3], v[2:3]
	s_cbranch_vccnz .LBB158_2
.LBB158_3:
	v_cmp_gt_i64_e64 s[4:5], s[8:9], 0
	v_cndmask_b32_e64 v1, 0, 1, s[4:5]
	v_mov_b32_e32 v0, 0
	v_pk_mov_b32 v[2:3], s[2:3], s[2:3] op_sel:[0,1]
	v_cmp_ne_u32_e64 s[2:3], 1, v1
	s_andn2_b64 vcc, exec, s[4:5]
	s_mov_b64 s[4:5], 0
	global_store_dwordx2 v0, v[2:3], s[6:7]
	s_cbranch_vccnz .LBB158_6
; %bb.4:
	s_mov_b64 s[12:13], s[8:9]
.LBB158_5:                              ; =>This Inner Loop Header: Depth=1
	s_sub_u32 s14, s12, s4
	s_subb_u32 s15, s13, s5
	s_lshr_b32 s16, s15, 31
	s_add_u32 s14, s14, s16
	s_addc_u32 s15, s15, 0
	s_ashr_i64 s[14:15], s[14:15], 1
	s_add_u32 s14, s14, s4
	s_addc_u32 s15, s15, s5
	s_lshl_b64 s[16:17], s[14:15], 1
	s_add_u32 s16, s10, s16
	s_addc_u32 s17, s11, s17
	global_load_sshort v1, v0, s[16:17]
	s_add_u32 s16, s14, 1
	s_addc_u32 s17, s15, 0
	s_waitcnt vmcnt(0)
	v_readfirstlane_b32 s18, v1
	s_cmp_gt_i32 s18, 1
	s_cselect_b32 s13, s15, s13
	s_cselect_b32 s12, s14, s12
	;; [unrolled: 1-line block ×4, first 2 shown]
	v_pk_mov_b32 v[2:3], s[12:13], s[12:13] op_sel:[0,1]
	v_cmp_lt_i64_e32 vcc, s[4:5], v[2:3]
	s_cbranch_vccnz .LBB158_5
.LBB158_6:
	v_mov_b32_e32 v0, 0
	v_pk_mov_b32 v[2:3], s[4:5], s[4:5] op_sel:[0,1]
	s_and_b64 vcc, exec, s[2:3]
	s_mov_b64 s[4:5], 0
	global_store_dwordx2 v0, v[2:3], s[6:7] offset:8
	s_cbranch_vccnz .LBB158_9
; %bb.7:
	s_mov_b64 s[12:13], s[8:9]
.LBB158_8:                              ; =>This Inner Loop Header: Depth=1
	s_sub_u32 s14, s12, s4
	s_subb_u32 s15, s13, s5
	s_lshr_b32 s16, s15, 31
	s_add_u32 s14, s14, s16
	s_addc_u32 s15, s15, 0
	s_ashr_i64 s[14:15], s[14:15], 1
	s_add_u32 s14, s14, s4
	s_addc_u32 s15, s15, s5
	s_lshl_b64 s[16:17], s[14:15], 1
	s_add_u32 s16, s10, s16
	s_addc_u32 s17, s11, s17
	global_load_sshort v1, v0, s[16:17]
	s_add_u32 s16, s14, 1
	s_addc_u32 s17, s15, 0
	s_waitcnt vmcnt(0)
	v_readfirstlane_b32 s18, v1
	s_cmp_gt_i32 s18, 2
	s_cselect_b32 s13, s15, s13
	s_cselect_b32 s12, s14, s12
	;; [unrolled: 1-line block ×4, first 2 shown]
	v_pk_mov_b32 v[2:3], s[12:13], s[12:13] op_sel:[0,1]
	v_cmp_lt_i64_e32 vcc, s[4:5], v[2:3]
	s_cbranch_vccnz .LBB158_8
.LBB158_9:
	v_mov_b32_e32 v0, 0
	v_pk_mov_b32 v[2:3], s[4:5], s[4:5] op_sel:[0,1]
	s_and_b64 vcc, exec, s[2:3]
	s_mov_b64 s[4:5], 0
	global_store_dwordx2 v0, v[2:3], s[6:7] offset:16
	s_cbranch_vccnz .LBB158_12
; %bb.10:
	s_mov_b64 s[12:13], s[8:9]
.LBB158_11:                             ; =>This Inner Loop Header: Depth=1
	s_sub_u32 s14, s12, s4
	s_subb_u32 s15, s13, s5
	s_lshr_b32 s16, s15, 31
	s_add_u32 s14, s14, s16
	s_addc_u32 s15, s15, 0
	s_ashr_i64 s[14:15], s[14:15], 1
	s_add_u32 s14, s14, s4
	s_addc_u32 s15, s15, s5
	s_lshl_b64 s[16:17], s[14:15], 1
	s_add_u32 s16, s10, s16
	s_addc_u32 s17, s11, s17
	global_load_sshort v1, v0, s[16:17]
	s_add_u32 s16, s14, 1
	s_addc_u32 s17, s15, 0
	s_waitcnt vmcnt(0)
	v_readfirstlane_b32 s18, v1
	s_cmp_gt_i32 s18, 3
	s_cselect_b32 s13, s15, s13
	s_cselect_b32 s12, s14, s12
	s_cselect_b32 s5, s5, s17
	s_cselect_b32 s4, s4, s16
	v_pk_mov_b32 v[2:3], s[12:13], s[12:13] op_sel:[0,1]
	v_cmp_lt_i64_e32 vcc, s[4:5], v[2:3]
	s_cbranch_vccnz .LBB158_11
.LBB158_12:
	v_mov_b32_e32 v0, 0
	v_pk_mov_b32 v[2:3], s[4:5], s[4:5] op_sel:[0,1]
	s_and_b64 vcc, exec, s[2:3]
	s_mov_b64 s[4:5], 0
	global_store_dwordx2 v0, v[2:3], s[6:7] offset:24
	s_cbranch_vccnz .LBB158_15
; %bb.13:
	s_mov_b64 s[12:13], s[8:9]
.LBB158_14:                             ; =>This Inner Loop Header: Depth=1
	s_sub_u32 s14, s12, s4
	s_subb_u32 s15, s13, s5
	s_lshr_b32 s16, s15, 31
	s_add_u32 s14, s14, s16
	s_addc_u32 s15, s15, 0
	s_ashr_i64 s[14:15], s[14:15], 1
	s_add_u32 s14, s14, s4
	s_addc_u32 s15, s15, s5
	s_lshl_b64 s[16:17], s[14:15], 1
	s_add_u32 s16, s10, s16
	s_addc_u32 s17, s11, s17
	global_load_sshort v1, v0, s[16:17]
	s_add_u32 s16, s14, 1
	s_addc_u32 s17, s15, 0
	s_waitcnt vmcnt(0)
	v_readfirstlane_b32 s18, v1
	s_cmp_gt_i32 s18, 4
	s_cselect_b32 s13, s15, s13
	s_cselect_b32 s12, s14, s12
	s_cselect_b32 s5, s5, s17
	s_cselect_b32 s4, s4, s16
	v_pk_mov_b32 v[2:3], s[12:13], s[12:13] op_sel:[0,1]
	v_cmp_lt_i64_e32 vcc, s[4:5], v[2:3]
	s_cbranch_vccnz .LBB158_14
.LBB158_15:
	;; [unrolled: 34-line block ×5, first 2 shown]
	v_mov_b32_e32 v0, 0
	v_pk_mov_b32 v[2:3], s[2:3], s[2:3] op_sel:[0,1]
	s_mov_b64 vcc, s[0:1]
	global_store_dwordx2 v0, v[2:3], s[6:7] offset:56
	s_cbranch_vccz .LBB158_26
; %bb.25:
	v_mov_b32_e32 v1, v0
	global_store_dwordx2 v0, v[0:1], s[6:7] offset:64
	s_mov_b64 s[0:1], 0
	s_cbranch_execz .LBB158_27
	s_branch .LBB158_31
.LBB158_26:
                                        ; implicit-def: $sgpr0_sgpr1
.LBB158_27:
	s_mov_b64 s[0:1], 0
	v_mov_b32_e32 v0, 0
	s_mov_b64 s[2:3], s[8:9]
.LBB158_28:                             ; =>This Inner Loop Header: Depth=1
	s_sub_u32 s4, s2, s0
	s_subb_u32 s5, s3, s1
	s_lshr_b32 s12, s5, 31
	s_add_u32 s4, s4, s12
	s_addc_u32 s5, s5, 0
	s_ashr_i64 s[4:5], s[4:5], 1
	s_add_u32 s4, s4, s0
	s_addc_u32 s5, s5, s1
	s_lshl_b64 s[12:13], s[4:5], 1
	s_add_u32 s12, s10, s12
	s_addc_u32 s13, s11, s13
	global_load_sshort v1, v0, s[12:13]
	s_add_u32 s12, s4, 1
	s_addc_u32 s13, s5, 0
	s_waitcnt vmcnt(0)
	v_readfirstlane_b32 s14, v1
	s_cmp_gt_i32 s14, 8
	s_cselect_b32 s3, s5, s3
	s_cselect_b32 s2, s4, s2
	;; [unrolled: 1-line block ×4, first 2 shown]
	v_pk_mov_b32 v[2:3], s[2:3], s[2:3] op_sel:[0,1]
	v_cmp_lt_i64_e32 vcc, s[0:1], v[2:3]
	s_cbranch_vccnz .LBB158_28
; %bb.29:
	v_mov_b32_e32 v0, 0
	v_pk_mov_b32 v[2:3], s[0:1], s[0:1] op_sel:[0,1]
	s_mov_b64 s[0:1], 0
	global_store_dwordx2 v0, v[2:3], s[6:7] offset:64
.LBB158_30:                             ; =>This Inner Loop Header: Depth=1
	s_sub_u32 s2, s8, s0
	s_subb_u32 s3, s9, s1
	s_lshr_b32 s4, s3, 31
	s_add_u32 s2, s2, s4
	s_addc_u32 s3, s3, 0
	s_ashr_i64 s[2:3], s[2:3], 1
	s_add_u32 s2, s2, s0
	s_addc_u32 s3, s3, s1
	s_lshl_b64 s[4:5], s[2:3], 1
	s_add_u32 s4, s10, s4
	s_addc_u32 s5, s11, s5
	global_load_sshort v1, v0, s[4:5]
	s_add_u32 s4, s2, 1
	s_addc_u32 s5, s3, 0
	s_waitcnt vmcnt(0)
	v_readfirstlane_b32 s12, v1
	s_cmp_gt_i32 s12, 9
	s_cselect_b32 s9, s3, s9
	s_cselect_b32 s8, s2, s8
	;; [unrolled: 1-line block ×4, first 2 shown]
	v_pk_mov_b32 v[2:3], s[8:9], s[8:9] op_sel:[0,1]
	v_cmp_ge_i64_e32 vcc, s[0:1], v[2:3]
	s_cbranch_vccz .LBB158_30
.LBB158_31:
	v_mov_b32_e32 v2, 0
	v_pk_mov_b32 v[0:1], s[0:1], s[0:1] op_sel:[0,1]
	global_store_dwordx2 v2, v[0:1], s[6:7] offset:72
	s_endpgm
	.section	.rodata,"a",@progbits
	.p2align	6, 0x0
	.amdhsa_kernel _Z18upper_bound_kernelIsEvmPT_Pl
		.amdhsa_group_segment_fixed_size 0
		.amdhsa_private_segment_fixed_size 0
		.amdhsa_kernarg_size 24
		.amdhsa_user_sgpr_count 6
		.amdhsa_user_sgpr_private_segment_buffer 1
		.amdhsa_user_sgpr_dispatch_ptr 0
		.amdhsa_user_sgpr_queue_ptr 0
		.amdhsa_user_sgpr_kernarg_segment_ptr 1
		.amdhsa_user_sgpr_dispatch_id 0
		.amdhsa_user_sgpr_flat_scratch_init 0
		.amdhsa_user_sgpr_kernarg_preload_length 0
		.amdhsa_user_sgpr_kernarg_preload_offset 0
		.amdhsa_user_sgpr_private_segment_size 0
		.amdhsa_uses_dynamic_stack 0
		.amdhsa_system_sgpr_private_segment_wavefront_offset 0
		.amdhsa_system_sgpr_workgroup_id_x 1
		.amdhsa_system_sgpr_workgroup_id_y 0
		.amdhsa_system_sgpr_workgroup_id_z 0
		.amdhsa_system_sgpr_workgroup_info 0
		.amdhsa_system_vgpr_workitem_id 0
		.amdhsa_next_free_vgpr 4
		.amdhsa_next_free_sgpr 19
		.amdhsa_accum_offset 4
		.amdhsa_reserve_vcc 1
		.amdhsa_reserve_flat_scratch 0
		.amdhsa_float_round_mode_32 0
		.amdhsa_float_round_mode_16_64 0
		.amdhsa_float_denorm_mode_32 3
		.amdhsa_float_denorm_mode_16_64 3
		.amdhsa_dx10_clamp 1
		.amdhsa_ieee_mode 1
		.amdhsa_fp16_overflow 0
		.amdhsa_tg_split 0
		.amdhsa_exception_fp_ieee_invalid_op 0
		.amdhsa_exception_fp_denorm_src 0
		.amdhsa_exception_fp_ieee_div_zero 0
		.amdhsa_exception_fp_ieee_overflow 0
		.amdhsa_exception_fp_ieee_underflow 0
		.amdhsa_exception_fp_ieee_inexact 0
		.amdhsa_exception_int_div_zero 0
	.end_amdhsa_kernel
	.section	.text._Z18upper_bound_kernelIsEvmPT_Pl,"axG",@progbits,_Z18upper_bound_kernelIsEvmPT_Pl,comdat
.Lfunc_end158:
	.size	_Z18upper_bound_kernelIsEvmPT_Pl, .Lfunc_end158-_Z18upper_bound_kernelIsEvmPT_Pl
                                        ; -- End function
	.section	.AMDGPU.csdata,"",@progbits
; Kernel info:
; codeLenInByte = 1480
; NumSgprs: 23
; NumVgprs: 4
; NumAgprs: 0
; TotalNumVgprs: 4
; ScratchSize: 0
; MemoryBound: 0
; FloatMode: 240
; IeeeMode: 1
; LDSByteSize: 0 bytes/workgroup (compile time only)
; SGPRBlocks: 2
; VGPRBlocks: 0
; NumSGPRsForWavesPerEU: 23
; NumVGPRsForWavesPerEU: 4
; AccumOffset: 4
; Occupancy: 8
; WaveLimiterHint : 0
; COMPUTE_PGM_RSRC2:SCRATCH_EN: 0
; COMPUTE_PGM_RSRC2:USER_SGPR: 6
; COMPUTE_PGM_RSRC2:TRAP_HANDLER: 0
; COMPUTE_PGM_RSRC2:TGID_X_EN: 1
; COMPUTE_PGM_RSRC2:TGID_Y_EN: 0
; COMPUTE_PGM_RSRC2:TGID_Z_EN: 0
; COMPUTE_PGM_RSRC2:TIDIG_COMP_CNT: 0
; COMPUTE_PGM_RSRC3_GFX90A:ACCUM_OFFSET: 0
; COMPUTE_PGM_RSRC3_GFX90A:TG_SPLIT: 0
	.section	.text._ZN7rocprim17ROCPRIM_400000_NS6detail17trampoline_kernelINS0_14default_configENS1_27upper_bound_config_selectorIslEEZNS1_14transform_implILb0ES3_S5_N6thrust23THRUST_200600_302600_NS17counting_iteratorIsNS8_11use_defaultESA_SA_EEPlZNS1_13binary_searchIS3_S5_PsSB_SC_NS1_21upper_bound_search_opENS8_6detail16wrapped_functionINS0_4lessIvEEbEEEE10hipError_tPvRmT1_T2_T3_mmT4_T5_P12ihipStream_tbEUlRKsE_EESL_SP_SQ_mSR_SU_bEUlT_E_NS1_11comp_targetILNS1_3genE0ELNS1_11target_archE4294967295ELNS1_3gpuE0ELNS1_3repE0EEENS1_30default_config_static_selectorELNS0_4arch9wavefront6targetE1EEEvSO_,"axG",@progbits,_ZN7rocprim17ROCPRIM_400000_NS6detail17trampoline_kernelINS0_14default_configENS1_27upper_bound_config_selectorIslEEZNS1_14transform_implILb0ES3_S5_N6thrust23THRUST_200600_302600_NS17counting_iteratorIsNS8_11use_defaultESA_SA_EEPlZNS1_13binary_searchIS3_S5_PsSB_SC_NS1_21upper_bound_search_opENS8_6detail16wrapped_functionINS0_4lessIvEEbEEEE10hipError_tPvRmT1_T2_T3_mmT4_T5_P12ihipStream_tbEUlRKsE_EESL_SP_SQ_mSR_SU_bEUlT_E_NS1_11comp_targetILNS1_3genE0ELNS1_11target_archE4294967295ELNS1_3gpuE0ELNS1_3repE0EEENS1_30default_config_static_selectorELNS0_4arch9wavefront6targetE1EEEvSO_,comdat
	.protected	_ZN7rocprim17ROCPRIM_400000_NS6detail17trampoline_kernelINS0_14default_configENS1_27upper_bound_config_selectorIslEEZNS1_14transform_implILb0ES3_S5_N6thrust23THRUST_200600_302600_NS17counting_iteratorIsNS8_11use_defaultESA_SA_EEPlZNS1_13binary_searchIS3_S5_PsSB_SC_NS1_21upper_bound_search_opENS8_6detail16wrapped_functionINS0_4lessIvEEbEEEE10hipError_tPvRmT1_T2_T3_mmT4_T5_P12ihipStream_tbEUlRKsE_EESL_SP_SQ_mSR_SU_bEUlT_E_NS1_11comp_targetILNS1_3genE0ELNS1_11target_archE4294967295ELNS1_3gpuE0ELNS1_3repE0EEENS1_30default_config_static_selectorELNS0_4arch9wavefront6targetE1EEEvSO_ ; -- Begin function _ZN7rocprim17ROCPRIM_400000_NS6detail17trampoline_kernelINS0_14default_configENS1_27upper_bound_config_selectorIslEEZNS1_14transform_implILb0ES3_S5_N6thrust23THRUST_200600_302600_NS17counting_iteratorIsNS8_11use_defaultESA_SA_EEPlZNS1_13binary_searchIS3_S5_PsSB_SC_NS1_21upper_bound_search_opENS8_6detail16wrapped_functionINS0_4lessIvEEbEEEE10hipError_tPvRmT1_T2_T3_mmT4_T5_P12ihipStream_tbEUlRKsE_EESL_SP_SQ_mSR_SU_bEUlT_E_NS1_11comp_targetILNS1_3genE0ELNS1_11target_archE4294967295ELNS1_3gpuE0ELNS1_3repE0EEENS1_30default_config_static_selectorELNS0_4arch9wavefront6targetE1EEEvSO_
	.globl	_ZN7rocprim17ROCPRIM_400000_NS6detail17trampoline_kernelINS0_14default_configENS1_27upper_bound_config_selectorIslEEZNS1_14transform_implILb0ES3_S5_N6thrust23THRUST_200600_302600_NS17counting_iteratorIsNS8_11use_defaultESA_SA_EEPlZNS1_13binary_searchIS3_S5_PsSB_SC_NS1_21upper_bound_search_opENS8_6detail16wrapped_functionINS0_4lessIvEEbEEEE10hipError_tPvRmT1_T2_T3_mmT4_T5_P12ihipStream_tbEUlRKsE_EESL_SP_SQ_mSR_SU_bEUlT_E_NS1_11comp_targetILNS1_3genE0ELNS1_11target_archE4294967295ELNS1_3gpuE0ELNS1_3repE0EEENS1_30default_config_static_selectorELNS0_4arch9wavefront6targetE1EEEvSO_
	.p2align	8
	.type	_ZN7rocprim17ROCPRIM_400000_NS6detail17trampoline_kernelINS0_14default_configENS1_27upper_bound_config_selectorIslEEZNS1_14transform_implILb0ES3_S5_N6thrust23THRUST_200600_302600_NS17counting_iteratorIsNS8_11use_defaultESA_SA_EEPlZNS1_13binary_searchIS3_S5_PsSB_SC_NS1_21upper_bound_search_opENS8_6detail16wrapped_functionINS0_4lessIvEEbEEEE10hipError_tPvRmT1_T2_T3_mmT4_T5_P12ihipStream_tbEUlRKsE_EESL_SP_SQ_mSR_SU_bEUlT_E_NS1_11comp_targetILNS1_3genE0ELNS1_11target_archE4294967295ELNS1_3gpuE0ELNS1_3repE0EEENS1_30default_config_static_selectorELNS0_4arch9wavefront6targetE1EEEvSO_,@function
_ZN7rocprim17ROCPRIM_400000_NS6detail17trampoline_kernelINS0_14default_configENS1_27upper_bound_config_selectorIslEEZNS1_14transform_implILb0ES3_S5_N6thrust23THRUST_200600_302600_NS17counting_iteratorIsNS8_11use_defaultESA_SA_EEPlZNS1_13binary_searchIS3_S5_PsSB_SC_NS1_21upper_bound_search_opENS8_6detail16wrapped_functionINS0_4lessIvEEbEEEE10hipError_tPvRmT1_T2_T3_mmT4_T5_P12ihipStream_tbEUlRKsE_EESL_SP_SQ_mSR_SU_bEUlT_E_NS1_11comp_targetILNS1_3genE0ELNS1_11target_archE4294967295ELNS1_3gpuE0ELNS1_3repE0EEENS1_30default_config_static_selectorELNS0_4arch9wavefront6targetE1EEEvSO_: ; @_ZN7rocprim17ROCPRIM_400000_NS6detail17trampoline_kernelINS0_14default_configENS1_27upper_bound_config_selectorIslEEZNS1_14transform_implILb0ES3_S5_N6thrust23THRUST_200600_302600_NS17counting_iteratorIsNS8_11use_defaultESA_SA_EEPlZNS1_13binary_searchIS3_S5_PsSB_SC_NS1_21upper_bound_search_opENS8_6detail16wrapped_functionINS0_4lessIvEEbEEEE10hipError_tPvRmT1_T2_T3_mmT4_T5_P12ihipStream_tbEUlRKsE_EESL_SP_SQ_mSR_SU_bEUlT_E_NS1_11comp_targetILNS1_3genE0ELNS1_11target_archE4294967295ELNS1_3gpuE0ELNS1_3repE0EEENS1_30default_config_static_selectorELNS0_4arch9wavefront6targetE1EEEvSO_
; %bb.0:
	.section	.rodata,"a",@progbits
	.p2align	6, 0x0
	.amdhsa_kernel _ZN7rocprim17ROCPRIM_400000_NS6detail17trampoline_kernelINS0_14default_configENS1_27upper_bound_config_selectorIslEEZNS1_14transform_implILb0ES3_S5_N6thrust23THRUST_200600_302600_NS17counting_iteratorIsNS8_11use_defaultESA_SA_EEPlZNS1_13binary_searchIS3_S5_PsSB_SC_NS1_21upper_bound_search_opENS8_6detail16wrapped_functionINS0_4lessIvEEbEEEE10hipError_tPvRmT1_T2_T3_mmT4_T5_P12ihipStream_tbEUlRKsE_EESL_SP_SQ_mSR_SU_bEUlT_E_NS1_11comp_targetILNS1_3genE0ELNS1_11target_archE4294967295ELNS1_3gpuE0ELNS1_3repE0EEENS1_30default_config_static_selectorELNS0_4arch9wavefront6targetE1EEEvSO_
		.amdhsa_group_segment_fixed_size 0
		.amdhsa_private_segment_fixed_size 0
		.amdhsa_kernarg_size 56
		.amdhsa_user_sgpr_count 6
		.amdhsa_user_sgpr_private_segment_buffer 1
		.amdhsa_user_sgpr_dispatch_ptr 0
		.amdhsa_user_sgpr_queue_ptr 0
		.amdhsa_user_sgpr_kernarg_segment_ptr 1
		.amdhsa_user_sgpr_dispatch_id 0
		.amdhsa_user_sgpr_flat_scratch_init 0
		.amdhsa_user_sgpr_kernarg_preload_length 0
		.amdhsa_user_sgpr_kernarg_preload_offset 0
		.amdhsa_user_sgpr_private_segment_size 0
		.amdhsa_uses_dynamic_stack 0
		.amdhsa_system_sgpr_private_segment_wavefront_offset 0
		.amdhsa_system_sgpr_workgroup_id_x 1
		.amdhsa_system_sgpr_workgroup_id_y 0
		.amdhsa_system_sgpr_workgroup_id_z 0
		.amdhsa_system_sgpr_workgroup_info 0
		.amdhsa_system_vgpr_workitem_id 0
		.amdhsa_next_free_vgpr 1
		.amdhsa_next_free_sgpr 0
		.amdhsa_accum_offset 4
		.amdhsa_reserve_vcc 0
		.amdhsa_reserve_flat_scratch 0
		.amdhsa_float_round_mode_32 0
		.amdhsa_float_round_mode_16_64 0
		.amdhsa_float_denorm_mode_32 3
		.amdhsa_float_denorm_mode_16_64 3
		.amdhsa_dx10_clamp 1
		.amdhsa_ieee_mode 1
		.amdhsa_fp16_overflow 0
		.amdhsa_tg_split 0
		.amdhsa_exception_fp_ieee_invalid_op 0
		.amdhsa_exception_fp_denorm_src 0
		.amdhsa_exception_fp_ieee_div_zero 0
		.amdhsa_exception_fp_ieee_overflow 0
		.amdhsa_exception_fp_ieee_underflow 0
		.amdhsa_exception_fp_ieee_inexact 0
		.amdhsa_exception_int_div_zero 0
	.end_amdhsa_kernel
	.section	.text._ZN7rocprim17ROCPRIM_400000_NS6detail17trampoline_kernelINS0_14default_configENS1_27upper_bound_config_selectorIslEEZNS1_14transform_implILb0ES3_S5_N6thrust23THRUST_200600_302600_NS17counting_iteratorIsNS8_11use_defaultESA_SA_EEPlZNS1_13binary_searchIS3_S5_PsSB_SC_NS1_21upper_bound_search_opENS8_6detail16wrapped_functionINS0_4lessIvEEbEEEE10hipError_tPvRmT1_T2_T3_mmT4_T5_P12ihipStream_tbEUlRKsE_EESL_SP_SQ_mSR_SU_bEUlT_E_NS1_11comp_targetILNS1_3genE0ELNS1_11target_archE4294967295ELNS1_3gpuE0ELNS1_3repE0EEENS1_30default_config_static_selectorELNS0_4arch9wavefront6targetE1EEEvSO_,"axG",@progbits,_ZN7rocprim17ROCPRIM_400000_NS6detail17trampoline_kernelINS0_14default_configENS1_27upper_bound_config_selectorIslEEZNS1_14transform_implILb0ES3_S5_N6thrust23THRUST_200600_302600_NS17counting_iteratorIsNS8_11use_defaultESA_SA_EEPlZNS1_13binary_searchIS3_S5_PsSB_SC_NS1_21upper_bound_search_opENS8_6detail16wrapped_functionINS0_4lessIvEEbEEEE10hipError_tPvRmT1_T2_T3_mmT4_T5_P12ihipStream_tbEUlRKsE_EESL_SP_SQ_mSR_SU_bEUlT_E_NS1_11comp_targetILNS1_3genE0ELNS1_11target_archE4294967295ELNS1_3gpuE0ELNS1_3repE0EEENS1_30default_config_static_selectorELNS0_4arch9wavefront6targetE1EEEvSO_,comdat
.Lfunc_end159:
	.size	_ZN7rocprim17ROCPRIM_400000_NS6detail17trampoline_kernelINS0_14default_configENS1_27upper_bound_config_selectorIslEEZNS1_14transform_implILb0ES3_S5_N6thrust23THRUST_200600_302600_NS17counting_iteratorIsNS8_11use_defaultESA_SA_EEPlZNS1_13binary_searchIS3_S5_PsSB_SC_NS1_21upper_bound_search_opENS8_6detail16wrapped_functionINS0_4lessIvEEbEEEE10hipError_tPvRmT1_T2_T3_mmT4_T5_P12ihipStream_tbEUlRKsE_EESL_SP_SQ_mSR_SU_bEUlT_E_NS1_11comp_targetILNS1_3genE0ELNS1_11target_archE4294967295ELNS1_3gpuE0ELNS1_3repE0EEENS1_30default_config_static_selectorELNS0_4arch9wavefront6targetE1EEEvSO_, .Lfunc_end159-_ZN7rocprim17ROCPRIM_400000_NS6detail17trampoline_kernelINS0_14default_configENS1_27upper_bound_config_selectorIslEEZNS1_14transform_implILb0ES3_S5_N6thrust23THRUST_200600_302600_NS17counting_iteratorIsNS8_11use_defaultESA_SA_EEPlZNS1_13binary_searchIS3_S5_PsSB_SC_NS1_21upper_bound_search_opENS8_6detail16wrapped_functionINS0_4lessIvEEbEEEE10hipError_tPvRmT1_T2_T3_mmT4_T5_P12ihipStream_tbEUlRKsE_EESL_SP_SQ_mSR_SU_bEUlT_E_NS1_11comp_targetILNS1_3genE0ELNS1_11target_archE4294967295ELNS1_3gpuE0ELNS1_3repE0EEENS1_30default_config_static_selectorELNS0_4arch9wavefront6targetE1EEEvSO_
                                        ; -- End function
	.section	.AMDGPU.csdata,"",@progbits
; Kernel info:
; codeLenInByte = 0
; NumSgprs: 4
; NumVgprs: 0
; NumAgprs: 0
; TotalNumVgprs: 0
; ScratchSize: 0
; MemoryBound: 0
; FloatMode: 240
; IeeeMode: 1
; LDSByteSize: 0 bytes/workgroup (compile time only)
; SGPRBlocks: 0
; VGPRBlocks: 0
; NumSGPRsForWavesPerEU: 4
; NumVGPRsForWavesPerEU: 1
; AccumOffset: 4
; Occupancy: 8
; WaveLimiterHint : 0
; COMPUTE_PGM_RSRC2:SCRATCH_EN: 0
; COMPUTE_PGM_RSRC2:USER_SGPR: 6
; COMPUTE_PGM_RSRC2:TRAP_HANDLER: 0
; COMPUTE_PGM_RSRC2:TGID_X_EN: 1
; COMPUTE_PGM_RSRC2:TGID_Y_EN: 0
; COMPUTE_PGM_RSRC2:TGID_Z_EN: 0
; COMPUTE_PGM_RSRC2:TIDIG_COMP_CNT: 0
; COMPUTE_PGM_RSRC3_GFX90A:ACCUM_OFFSET: 0
; COMPUTE_PGM_RSRC3_GFX90A:TG_SPLIT: 0
	.section	.text._ZN7rocprim17ROCPRIM_400000_NS6detail17trampoline_kernelINS0_14default_configENS1_27upper_bound_config_selectorIslEEZNS1_14transform_implILb0ES3_S5_N6thrust23THRUST_200600_302600_NS17counting_iteratorIsNS8_11use_defaultESA_SA_EEPlZNS1_13binary_searchIS3_S5_PsSB_SC_NS1_21upper_bound_search_opENS8_6detail16wrapped_functionINS0_4lessIvEEbEEEE10hipError_tPvRmT1_T2_T3_mmT4_T5_P12ihipStream_tbEUlRKsE_EESL_SP_SQ_mSR_SU_bEUlT_E_NS1_11comp_targetILNS1_3genE5ELNS1_11target_archE942ELNS1_3gpuE9ELNS1_3repE0EEENS1_30default_config_static_selectorELNS0_4arch9wavefront6targetE1EEEvSO_,"axG",@progbits,_ZN7rocprim17ROCPRIM_400000_NS6detail17trampoline_kernelINS0_14default_configENS1_27upper_bound_config_selectorIslEEZNS1_14transform_implILb0ES3_S5_N6thrust23THRUST_200600_302600_NS17counting_iteratorIsNS8_11use_defaultESA_SA_EEPlZNS1_13binary_searchIS3_S5_PsSB_SC_NS1_21upper_bound_search_opENS8_6detail16wrapped_functionINS0_4lessIvEEbEEEE10hipError_tPvRmT1_T2_T3_mmT4_T5_P12ihipStream_tbEUlRKsE_EESL_SP_SQ_mSR_SU_bEUlT_E_NS1_11comp_targetILNS1_3genE5ELNS1_11target_archE942ELNS1_3gpuE9ELNS1_3repE0EEENS1_30default_config_static_selectorELNS0_4arch9wavefront6targetE1EEEvSO_,comdat
	.protected	_ZN7rocprim17ROCPRIM_400000_NS6detail17trampoline_kernelINS0_14default_configENS1_27upper_bound_config_selectorIslEEZNS1_14transform_implILb0ES3_S5_N6thrust23THRUST_200600_302600_NS17counting_iteratorIsNS8_11use_defaultESA_SA_EEPlZNS1_13binary_searchIS3_S5_PsSB_SC_NS1_21upper_bound_search_opENS8_6detail16wrapped_functionINS0_4lessIvEEbEEEE10hipError_tPvRmT1_T2_T3_mmT4_T5_P12ihipStream_tbEUlRKsE_EESL_SP_SQ_mSR_SU_bEUlT_E_NS1_11comp_targetILNS1_3genE5ELNS1_11target_archE942ELNS1_3gpuE9ELNS1_3repE0EEENS1_30default_config_static_selectorELNS0_4arch9wavefront6targetE1EEEvSO_ ; -- Begin function _ZN7rocprim17ROCPRIM_400000_NS6detail17trampoline_kernelINS0_14default_configENS1_27upper_bound_config_selectorIslEEZNS1_14transform_implILb0ES3_S5_N6thrust23THRUST_200600_302600_NS17counting_iteratorIsNS8_11use_defaultESA_SA_EEPlZNS1_13binary_searchIS3_S5_PsSB_SC_NS1_21upper_bound_search_opENS8_6detail16wrapped_functionINS0_4lessIvEEbEEEE10hipError_tPvRmT1_T2_T3_mmT4_T5_P12ihipStream_tbEUlRKsE_EESL_SP_SQ_mSR_SU_bEUlT_E_NS1_11comp_targetILNS1_3genE5ELNS1_11target_archE942ELNS1_3gpuE9ELNS1_3repE0EEENS1_30default_config_static_selectorELNS0_4arch9wavefront6targetE1EEEvSO_
	.globl	_ZN7rocprim17ROCPRIM_400000_NS6detail17trampoline_kernelINS0_14default_configENS1_27upper_bound_config_selectorIslEEZNS1_14transform_implILb0ES3_S5_N6thrust23THRUST_200600_302600_NS17counting_iteratorIsNS8_11use_defaultESA_SA_EEPlZNS1_13binary_searchIS3_S5_PsSB_SC_NS1_21upper_bound_search_opENS8_6detail16wrapped_functionINS0_4lessIvEEbEEEE10hipError_tPvRmT1_T2_T3_mmT4_T5_P12ihipStream_tbEUlRKsE_EESL_SP_SQ_mSR_SU_bEUlT_E_NS1_11comp_targetILNS1_3genE5ELNS1_11target_archE942ELNS1_3gpuE9ELNS1_3repE0EEENS1_30default_config_static_selectorELNS0_4arch9wavefront6targetE1EEEvSO_
	.p2align	8
	.type	_ZN7rocprim17ROCPRIM_400000_NS6detail17trampoline_kernelINS0_14default_configENS1_27upper_bound_config_selectorIslEEZNS1_14transform_implILb0ES3_S5_N6thrust23THRUST_200600_302600_NS17counting_iteratorIsNS8_11use_defaultESA_SA_EEPlZNS1_13binary_searchIS3_S5_PsSB_SC_NS1_21upper_bound_search_opENS8_6detail16wrapped_functionINS0_4lessIvEEbEEEE10hipError_tPvRmT1_T2_T3_mmT4_T5_P12ihipStream_tbEUlRKsE_EESL_SP_SQ_mSR_SU_bEUlT_E_NS1_11comp_targetILNS1_3genE5ELNS1_11target_archE942ELNS1_3gpuE9ELNS1_3repE0EEENS1_30default_config_static_selectorELNS0_4arch9wavefront6targetE1EEEvSO_,@function
_ZN7rocprim17ROCPRIM_400000_NS6detail17trampoline_kernelINS0_14default_configENS1_27upper_bound_config_selectorIslEEZNS1_14transform_implILb0ES3_S5_N6thrust23THRUST_200600_302600_NS17counting_iteratorIsNS8_11use_defaultESA_SA_EEPlZNS1_13binary_searchIS3_S5_PsSB_SC_NS1_21upper_bound_search_opENS8_6detail16wrapped_functionINS0_4lessIvEEbEEEE10hipError_tPvRmT1_T2_T3_mmT4_T5_P12ihipStream_tbEUlRKsE_EESL_SP_SQ_mSR_SU_bEUlT_E_NS1_11comp_targetILNS1_3genE5ELNS1_11target_archE942ELNS1_3gpuE9ELNS1_3repE0EEENS1_30default_config_static_selectorELNS0_4arch9wavefront6targetE1EEEvSO_: ; @_ZN7rocprim17ROCPRIM_400000_NS6detail17trampoline_kernelINS0_14default_configENS1_27upper_bound_config_selectorIslEEZNS1_14transform_implILb0ES3_S5_N6thrust23THRUST_200600_302600_NS17counting_iteratorIsNS8_11use_defaultESA_SA_EEPlZNS1_13binary_searchIS3_S5_PsSB_SC_NS1_21upper_bound_search_opENS8_6detail16wrapped_functionINS0_4lessIvEEbEEEE10hipError_tPvRmT1_T2_T3_mmT4_T5_P12ihipStream_tbEUlRKsE_EESL_SP_SQ_mSR_SU_bEUlT_E_NS1_11comp_targetILNS1_3genE5ELNS1_11target_archE942ELNS1_3gpuE9ELNS1_3repE0EEENS1_30default_config_static_selectorELNS0_4arch9wavefront6targetE1EEEvSO_
; %bb.0:
	.section	.rodata,"a",@progbits
	.p2align	6, 0x0
	.amdhsa_kernel _ZN7rocprim17ROCPRIM_400000_NS6detail17trampoline_kernelINS0_14default_configENS1_27upper_bound_config_selectorIslEEZNS1_14transform_implILb0ES3_S5_N6thrust23THRUST_200600_302600_NS17counting_iteratorIsNS8_11use_defaultESA_SA_EEPlZNS1_13binary_searchIS3_S5_PsSB_SC_NS1_21upper_bound_search_opENS8_6detail16wrapped_functionINS0_4lessIvEEbEEEE10hipError_tPvRmT1_T2_T3_mmT4_T5_P12ihipStream_tbEUlRKsE_EESL_SP_SQ_mSR_SU_bEUlT_E_NS1_11comp_targetILNS1_3genE5ELNS1_11target_archE942ELNS1_3gpuE9ELNS1_3repE0EEENS1_30default_config_static_selectorELNS0_4arch9wavefront6targetE1EEEvSO_
		.amdhsa_group_segment_fixed_size 0
		.amdhsa_private_segment_fixed_size 0
		.amdhsa_kernarg_size 56
		.amdhsa_user_sgpr_count 6
		.amdhsa_user_sgpr_private_segment_buffer 1
		.amdhsa_user_sgpr_dispatch_ptr 0
		.amdhsa_user_sgpr_queue_ptr 0
		.amdhsa_user_sgpr_kernarg_segment_ptr 1
		.amdhsa_user_sgpr_dispatch_id 0
		.amdhsa_user_sgpr_flat_scratch_init 0
		.amdhsa_user_sgpr_kernarg_preload_length 0
		.amdhsa_user_sgpr_kernarg_preload_offset 0
		.amdhsa_user_sgpr_private_segment_size 0
		.amdhsa_uses_dynamic_stack 0
		.amdhsa_system_sgpr_private_segment_wavefront_offset 0
		.amdhsa_system_sgpr_workgroup_id_x 1
		.amdhsa_system_sgpr_workgroup_id_y 0
		.amdhsa_system_sgpr_workgroup_id_z 0
		.amdhsa_system_sgpr_workgroup_info 0
		.amdhsa_system_vgpr_workitem_id 0
		.amdhsa_next_free_vgpr 1
		.amdhsa_next_free_sgpr 0
		.amdhsa_accum_offset 4
		.amdhsa_reserve_vcc 0
		.amdhsa_reserve_flat_scratch 0
		.amdhsa_float_round_mode_32 0
		.amdhsa_float_round_mode_16_64 0
		.amdhsa_float_denorm_mode_32 3
		.amdhsa_float_denorm_mode_16_64 3
		.amdhsa_dx10_clamp 1
		.amdhsa_ieee_mode 1
		.amdhsa_fp16_overflow 0
		.amdhsa_tg_split 0
		.amdhsa_exception_fp_ieee_invalid_op 0
		.amdhsa_exception_fp_denorm_src 0
		.amdhsa_exception_fp_ieee_div_zero 0
		.amdhsa_exception_fp_ieee_overflow 0
		.amdhsa_exception_fp_ieee_underflow 0
		.amdhsa_exception_fp_ieee_inexact 0
		.amdhsa_exception_int_div_zero 0
	.end_amdhsa_kernel
	.section	.text._ZN7rocprim17ROCPRIM_400000_NS6detail17trampoline_kernelINS0_14default_configENS1_27upper_bound_config_selectorIslEEZNS1_14transform_implILb0ES3_S5_N6thrust23THRUST_200600_302600_NS17counting_iteratorIsNS8_11use_defaultESA_SA_EEPlZNS1_13binary_searchIS3_S5_PsSB_SC_NS1_21upper_bound_search_opENS8_6detail16wrapped_functionINS0_4lessIvEEbEEEE10hipError_tPvRmT1_T2_T3_mmT4_T5_P12ihipStream_tbEUlRKsE_EESL_SP_SQ_mSR_SU_bEUlT_E_NS1_11comp_targetILNS1_3genE5ELNS1_11target_archE942ELNS1_3gpuE9ELNS1_3repE0EEENS1_30default_config_static_selectorELNS0_4arch9wavefront6targetE1EEEvSO_,"axG",@progbits,_ZN7rocprim17ROCPRIM_400000_NS6detail17trampoline_kernelINS0_14default_configENS1_27upper_bound_config_selectorIslEEZNS1_14transform_implILb0ES3_S5_N6thrust23THRUST_200600_302600_NS17counting_iteratorIsNS8_11use_defaultESA_SA_EEPlZNS1_13binary_searchIS3_S5_PsSB_SC_NS1_21upper_bound_search_opENS8_6detail16wrapped_functionINS0_4lessIvEEbEEEE10hipError_tPvRmT1_T2_T3_mmT4_T5_P12ihipStream_tbEUlRKsE_EESL_SP_SQ_mSR_SU_bEUlT_E_NS1_11comp_targetILNS1_3genE5ELNS1_11target_archE942ELNS1_3gpuE9ELNS1_3repE0EEENS1_30default_config_static_selectorELNS0_4arch9wavefront6targetE1EEEvSO_,comdat
.Lfunc_end160:
	.size	_ZN7rocprim17ROCPRIM_400000_NS6detail17trampoline_kernelINS0_14default_configENS1_27upper_bound_config_selectorIslEEZNS1_14transform_implILb0ES3_S5_N6thrust23THRUST_200600_302600_NS17counting_iteratorIsNS8_11use_defaultESA_SA_EEPlZNS1_13binary_searchIS3_S5_PsSB_SC_NS1_21upper_bound_search_opENS8_6detail16wrapped_functionINS0_4lessIvEEbEEEE10hipError_tPvRmT1_T2_T3_mmT4_T5_P12ihipStream_tbEUlRKsE_EESL_SP_SQ_mSR_SU_bEUlT_E_NS1_11comp_targetILNS1_3genE5ELNS1_11target_archE942ELNS1_3gpuE9ELNS1_3repE0EEENS1_30default_config_static_selectorELNS0_4arch9wavefront6targetE1EEEvSO_, .Lfunc_end160-_ZN7rocprim17ROCPRIM_400000_NS6detail17trampoline_kernelINS0_14default_configENS1_27upper_bound_config_selectorIslEEZNS1_14transform_implILb0ES3_S5_N6thrust23THRUST_200600_302600_NS17counting_iteratorIsNS8_11use_defaultESA_SA_EEPlZNS1_13binary_searchIS3_S5_PsSB_SC_NS1_21upper_bound_search_opENS8_6detail16wrapped_functionINS0_4lessIvEEbEEEE10hipError_tPvRmT1_T2_T3_mmT4_T5_P12ihipStream_tbEUlRKsE_EESL_SP_SQ_mSR_SU_bEUlT_E_NS1_11comp_targetILNS1_3genE5ELNS1_11target_archE942ELNS1_3gpuE9ELNS1_3repE0EEENS1_30default_config_static_selectorELNS0_4arch9wavefront6targetE1EEEvSO_
                                        ; -- End function
	.section	.AMDGPU.csdata,"",@progbits
; Kernel info:
; codeLenInByte = 0
; NumSgprs: 4
; NumVgprs: 0
; NumAgprs: 0
; TotalNumVgprs: 0
; ScratchSize: 0
; MemoryBound: 0
; FloatMode: 240
; IeeeMode: 1
; LDSByteSize: 0 bytes/workgroup (compile time only)
; SGPRBlocks: 0
; VGPRBlocks: 0
; NumSGPRsForWavesPerEU: 4
; NumVGPRsForWavesPerEU: 1
; AccumOffset: 4
; Occupancy: 8
; WaveLimiterHint : 0
; COMPUTE_PGM_RSRC2:SCRATCH_EN: 0
; COMPUTE_PGM_RSRC2:USER_SGPR: 6
; COMPUTE_PGM_RSRC2:TRAP_HANDLER: 0
; COMPUTE_PGM_RSRC2:TGID_X_EN: 1
; COMPUTE_PGM_RSRC2:TGID_Y_EN: 0
; COMPUTE_PGM_RSRC2:TGID_Z_EN: 0
; COMPUTE_PGM_RSRC2:TIDIG_COMP_CNT: 0
; COMPUTE_PGM_RSRC3_GFX90A:ACCUM_OFFSET: 0
; COMPUTE_PGM_RSRC3_GFX90A:TG_SPLIT: 0
	.section	.text._ZN7rocprim17ROCPRIM_400000_NS6detail17trampoline_kernelINS0_14default_configENS1_27upper_bound_config_selectorIslEEZNS1_14transform_implILb0ES3_S5_N6thrust23THRUST_200600_302600_NS17counting_iteratorIsNS8_11use_defaultESA_SA_EEPlZNS1_13binary_searchIS3_S5_PsSB_SC_NS1_21upper_bound_search_opENS8_6detail16wrapped_functionINS0_4lessIvEEbEEEE10hipError_tPvRmT1_T2_T3_mmT4_T5_P12ihipStream_tbEUlRKsE_EESL_SP_SQ_mSR_SU_bEUlT_E_NS1_11comp_targetILNS1_3genE4ELNS1_11target_archE910ELNS1_3gpuE8ELNS1_3repE0EEENS1_30default_config_static_selectorELNS0_4arch9wavefront6targetE1EEEvSO_,"axG",@progbits,_ZN7rocprim17ROCPRIM_400000_NS6detail17trampoline_kernelINS0_14default_configENS1_27upper_bound_config_selectorIslEEZNS1_14transform_implILb0ES3_S5_N6thrust23THRUST_200600_302600_NS17counting_iteratorIsNS8_11use_defaultESA_SA_EEPlZNS1_13binary_searchIS3_S5_PsSB_SC_NS1_21upper_bound_search_opENS8_6detail16wrapped_functionINS0_4lessIvEEbEEEE10hipError_tPvRmT1_T2_T3_mmT4_T5_P12ihipStream_tbEUlRKsE_EESL_SP_SQ_mSR_SU_bEUlT_E_NS1_11comp_targetILNS1_3genE4ELNS1_11target_archE910ELNS1_3gpuE8ELNS1_3repE0EEENS1_30default_config_static_selectorELNS0_4arch9wavefront6targetE1EEEvSO_,comdat
	.protected	_ZN7rocprim17ROCPRIM_400000_NS6detail17trampoline_kernelINS0_14default_configENS1_27upper_bound_config_selectorIslEEZNS1_14transform_implILb0ES3_S5_N6thrust23THRUST_200600_302600_NS17counting_iteratorIsNS8_11use_defaultESA_SA_EEPlZNS1_13binary_searchIS3_S5_PsSB_SC_NS1_21upper_bound_search_opENS8_6detail16wrapped_functionINS0_4lessIvEEbEEEE10hipError_tPvRmT1_T2_T3_mmT4_T5_P12ihipStream_tbEUlRKsE_EESL_SP_SQ_mSR_SU_bEUlT_E_NS1_11comp_targetILNS1_3genE4ELNS1_11target_archE910ELNS1_3gpuE8ELNS1_3repE0EEENS1_30default_config_static_selectorELNS0_4arch9wavefront6targetE1EEEvSO_ ; -- Begin function _ZN7rocprim17ROCPRIM_400000_NS6detail17trampoline_kernelINS0_14default_configENS1_27upper_bound_config_selectorIslEEZNS1_14transform_implILb0ES3_S5_N6thrust23THRUST_200600_302600_NS17counting_iteratorIsNS8_11use_defaultESA_SA_EEPlZNS1_13binary_searchIS3_S5_PsSB_SC_NS1_21upper_bound_search_opENS8_6detail16wrapped_functionINS0_4lessIvEEbEEEE10hipError_tPvRmT1_T2_T3_mmT4_T5_P12ihipStream_tbEUlRKsE_EESL_SP_SQ_mSR_SU_bEUlT_E_NS1_11comp_targetILNS1_3genE4ELNS1_11target_archE910ELNS1_3gpuE8ELNS1_3repE0EEENS1_30default_config_static_selectorELNS0_4arch9wavefront6targetE1EEEvSO_
	.globl	_ZN7rocprim17ROCPRIM_400000_NS6detail17trampoline_kernelINS0_14default_configENS1_27upper_bound_config_selectorIslEEZNS1_14transform_implILb0ES3_S5_N6thrust23THRUST_200600_302600_NS17counting_iteratorIsNS8_11use_defaultESA_SA_EEPlZNS1_13binary_searchIS3_S5_PsSB_SC_NS1_21upper_bound_search_opENS8_6detail16wrapped_functionINS0_4lessIvEEbEEEE10hipError_tPvRmT1_T2_T3_mmT4_T5_P12ihipStream_tbEUlRKsE_EESL_SP_SQ_mSR_SU_bEUlT_E_NS1_11comp_targetILNS1_3genE4ELNS1_11target_archE910ELNS1_3gpuE8ELNS1_3repE0EEENS1_30default_config_static_selectorELNS0_4arch9wavefront6targetE1EEEvSO_
	.p2align	8
	.type	_ZN7rocprim17ROCPRIM_400000_NS6detail17trampoline_kernelINS0_14default_configENS1_27upper_bound_config_selectorIslEEZNS1_14transform_implILb0ES3_S5_N6thrust23THRUST_200600_302600_NS17counting_iteratorIsNS8_11use_defaultESA_SA_EEPlZNS1_13binary_searchIS3_S5_PsSB_SC_NS1_21upper_bound_search_opENS8_6detail16wrapped_functionINS0_4lessIvEEbEEEE10hipError_tPvRmT1_T2_T3_mmT4_T5_P12ihipStream_tbEUlRKsE_EESL_SP_SQ_mSR_SU_bEUlT_E_NS1_11comp_targetILNS1_3genE4ELNS1_11target_archE910ELNS1_3gpuE8ELNS1_3repE0EEENS1_30default_config_static_selectorELNS0_4arch9wavefront6targetE1EEEvSO_,@function
_ZN7rocprim17ROCPRIM_400000_NS6detail17trampoline_kernelINS0_14default_configENS1_27upper_bound_config_selectorIslEEZNS1_14transform_implILb0ES3_S5_N6thrust23THRUST_200600_302600_NS17counting_iteratorIsNS8_11use_defaultESA_SA_EEPlZNS1_13binary_searchIS3_S5_PsSB_SC_NS1_21upper_bound_search_opENS8_6detail16wrapped_functionINS0_4lessIvEEbEEEE10hipError_tPvRmT1_T2_T3_mmT4_T5_P12ihipStream_tbEUlRKsE_EESL_SP_SQ_mSR_SU_bEUlT_E_NS1_11comp_targetILNS1_3genE4ELNS1_11target_archE910ELNS1_3gpuE8ELNS1_3repE0EEENS1_30default_config_static_selectorELNS0_4arch9wavefront6targetE1EEEvSO_: ; @_ZN7rocprim17ROCPRIM_400000_NS6detail17trampoline_kernelINS0_14default_configENS1_27upper_bound_config_selectorIslEEZNS1_14transform_implILb0ES3_S5_N6thrust23THRUST_200600_302600_NS17counting_iteratorIsNS8_11use_defaultESA_SA_EEPlZNS1_13binary_searchIS3_S5_PsSB_SC_NS1_21upper_bound_search_opENS8_6detail16wrapped_functionINS0_4lessIvEEbEEEE10hipError_tPvRmT1_T2_T3_mmT4_T5_P12ihipStream_tbEUlRKsE_EESL_SP_SQ_mSR_SU_bEUlT_E_NS1_11comp_targetILNS1_3genE4ELNS1_11target_archE910ELNS1_3gpuE8ELNS1_3repE0EEENS1_30default_config_static_selectorELNS0_4arch9wavefront6targetE1EEEvSO_
; %bb.0:
	s_load_dword s16, s[4:5], 0x0
	s_load_dwordx2 s[8:9], s[4:5], 0x8
	s_load_dword s7, s[4:5], 0x38
	s_load_dwordx4 s[0:3], s[4:5], 0x18
	s_load_dwordx2 s[12:13], s[4:5], 0x28
	s_lshl_b32 s10, s6, 8
	s_waitcnt lgkmcnt(0)
	s_add_i32 s16, s16, s8
	s_add_i32 s7, s7, -1
	s_cmp_lg_u32 s6, s7
	s_mov_b32 s11, 0
	s_cbranch_scc0 .LBB161_6
; %bb.1:
	s_mov_b64 s[14:15], 0
	s_cmp_eq_u64 s[12:13], 0
	v_pk_mov_b32 v[2:3], 0, 0
	s_cbranch_scc1 .LBB161_5
; %bb.2:
	v_add_u16_e32 v1, s10, v0
	v_add_u16_e32 v1, s16, v1
	s_mov_b64 s[6:7], 0
	v_pk_mov_b32 v[2:3], 0, 0
	v_pk_mov_b32 v[4:5], s[12:13], s[12:13] op_sel:[0,1]
	v_mov_b32_e32 v6, s3
.LBB161_3:                              ; =>This Inner Loop Header: Depth=1
	v_sub_co_u32_e32 v8, vcc, v4, v2
	v_subb_co_u32_e32 v9, vcc, v5, v3, vcc
	v_lshrrev_b64 v[10:11], 1, v[8:9]
	v_add_co_u32_e32 v7, vcc, v10, v2
	v_lshrrev_b64 v[8:9], 6, v[8:9]
	v_addc_co_u32_e32 v10, vcc, v11, v3, vcc
	v_add_co_u32_e32 v8, vcc, v7, v8
	v_addc_co_u32_e32 v9, vcc, v10, v9, vcc
	v_lshlrev_b64 v[10:11], 1, v[8:9]
	v_add_co_u32_e32 v10, vcc, s2, v10
	v_addc_co_u32_e32 v11, vcc, v6, v11, vcc
	global_load_ushort v7, v[10:11], off
	v_add_co_u32_e32 v10, vcc, 1, v8
	v_addc_co_u32_e32 v11, vcc, 0, v9, vcc
	s_waitcnt vmcnt(0)
	v_cmp_gt_i16_e32 vcc, v7, v1
	v_cndmask_b32_e32 v5, v5, v9, vcc
	v_cndmask_b32_e32 v4, v4, v8, vcc
	;; [unrolled: 1-line block ×4, first 2 shown]
	v_cmp_ge_u64_e32 vcc, v[2:3], v[4:5]
	s_or_b64 s[6:7], vcc, s[6:7]
	s_andn2_b64 exec, exec, s[6:7]
	s_cbranch_execnz .LBB161_3
; %bb.4:
	s_or_b64 exec, exec, s[6:7]
.LBB161_5:
	s_mov_b64 s[6:7], -1
	s_andn2_b64 vcc, exec, s[14:15]
	s_cbranch_vccz .LBB161_7
	s_branch .LBB161_13
.LBB161_6:
	s_mov_b64 s[6:7], 0
                                        ; implicit-def: $vgpr2_vgpr3
.LBB161_7:
	s_load_dword s4, s[4:5], 0x10
                                        ; implicit-def: $vgpr2_vgpr3
	s_waitcnt lgkmcnt(0)
	s_sub_i32 s4, s4, s10
	v_cmp_gt_u32_e64 s[6:7], s4, v0
	s_and_saveexec_b64 s[4:5], s[6:7]
	s_cbranch_execz .LBB161_12
; %bb.8:
	s_mov_b64 s[14:15], 0
	s_cmp_eq_u64 s[12:13], 0
	v_pk_mov_b32 v[2:3], 0, 0
	s_cbranch_scc1 .LBB161_12
; %bb.9:
	v_add_u16_e32 v1, s10, v0
	v_add_u16_e32 v1, s16, v1
	v_pk_mov_b32 v[2:3], 0, 0
	v_pk_mov_b32 v[4:5], s[12:13], s[12:13] op_sel:[0,1]
	v_mov_b32_e32 v6, s3
.LBB161_10:                             ; =>This Inner Loop Header: Depth=1
	v_sub_co_u32_e32 v8, vcc, v4, v2
	v_subb_co_u32_e32 v9, vcc, v5, v3, vcc
	v_lshrrev_b64 v[10:11], 1, v[8:9]
	v_add_co_u32_e32 v7, vcc, v10, v2
	v_lshrrev_b64 v[8:9], 6, v[8:9]
	v_addc_co_u32_e32 v10, vcc, v11, v3, vcc
	v_add_co_u32_e32 v8, vcc, v7, v8
	v_addc_co_u32_e32 v9, vcc, v10, v9, vcc
	v_lshlrev_b64 v[10:11], 1, v[8:9]
	v_add_co_u32_e32 v10, vcc, s2, v10
	v_addc_co_u32_e32 v11, vcc, v6, v11, vcc
	global_load_ushort v7, v[10:11], off
	v_add_co_u32_e32 v10, vcc, 1, v8
	v_addc_co_u32_e32 v11, vcc, 0, v9, vcc
	s_waitcnt vmcnt(0)
	v_cmp_gt_i16_e32 vcc, v7, v1
	v_cndmask_b32_e32 v5, v5, v9, vcc
	v_cndmask_b32_e32 v4, v4, v8, vcc
	;; [unrolled: 1-line block ×4, first 2 shown]
	v_cmp_ge_u64_e32 vcc, v[2:3], v[4:5]
	s_or_b64 s[14:15], vcc, s[14:15]
	s_andn2_b64 exec, exec, s[14:15]
	s_cbranch_execnz .LBB161_10
; %bb.11:
	s_or_b64 exec, exec, s[14:15]
.LBB161_12:
	s_or_b64 exec, exec, s[4:5]
.LBB161_13:
	s_and_saveexec_b64 s[2:3], s[6:7]
	s_cbranch_execnz .LBB161_15
; %bb.14:
	s_endpgm
.LBB161_15:
	s_lshl_b64 s[2:3], s[8:9], 3
	s_add_u32 s2, s0, s2
	s_addc_u32 s3, s1, s3
	s_lshl_b64 s[0:1], s[10:11], 3
	s_add_u32 s0, s2, s0
	s_addc_u32 s1, s3, s1
	v_lshlrev_b32_e32 v0, 3, v0
	global_store_dwordx2 v0, v[2:3], s[0:1]
	s_endpgm
	.section	.rodata,"a",@progbits
	.p2align	6, 0x0
	.amdhsa_kernel _ZN7rocprim17ROCPRIM_400000_NS6detail17trampoline_kernelINS0_14default_configENS1_27upper_bound_config_selectorIslEEZNS1_14transform_implILb0ES3_S5_N6thrust23THRUST_200600_302600_NS17counting_iteratorIsNS8_11use_defaultESA_SA_EEPlZNS1_13binary_searchIS3_S5_PsSB_SC_NS1_21upper_bound_search_opENS8_6detail16wrapped_functionINS0_4lessIvEEbEEEE10hipError_tPvRmT1_T2_T3_mmT4_T5_P12ihipStream_tbEUlRKsE_EESL_SP_SQ_mSR_SU_bEUlT_E_NS1_11comp_targetILNS1_3genE4ELNS1_11target_archE910ELNS1_3gpuE8ELNS1_3repE0EEENS1_30default_config_static_selectorELNS0_4arch9wavefront6targetE1EEEvSO_
		.amdhsa_group_segment_fixed_size 0
		.amdhsa_private_segment_fixed_size 0
		.amdhsa_kernarg_size 312
		.amdhsa_user_sgpr_count 6
		.amdhsa_user_sgpr_private_segment_buffer 1
		.amdhsa_user_sgpr_dispatch_ptr 0
		.amdhsa_user_sgpr_queue_ptr 0
		.amdhsa_user_sgpr_kernarg_segment_ptr 1
		.amdhsa_user_sgpr_dispatch_id 0
		.amdhsa_user_sgpr_flat_scratch_init 0
		.amdhsa_user_sgpr_kernarg_preload_length 0
		.amdhsa_user_sgpr_kernarg_preload_offset 0
		.amdhsa_user_sgpr_private_segment_size 0
		.amdhsa_uses_dynamic_stack 0
		.amdhsa_system_sgpr_private_segment_wavefront_offset 0
		.amdhsa_system_sgpr_workgroup_id_x 1
		.amdhsa_system_sgpr_workgroup_id_y 0
		.amdhsa_system_sgpr_workgroup_id_z 0
		.amdhsa_system_sgpr_workgroup_info 0
		.amdhsa_system_vgpr_workitem_id 0
		.amdhsa_next_free_vgpr 12
		.amdhsa_next_free_sgpr 17
		.amdhsa_accum_offset 12
		.amdhsa_reserve_vcc 1
		.amdhsa_reserve_flat_scratch 0
		.amdhsa_float_round_mode_32 0
		.amdhsa_float_round_mode_16_64 0
		.amdhsa_float_denorm_mode_32 3
		.amdhsa_float_denorm_mode_16_64 3
		.amdhsa_dx10_clamp 1
		.amdhsa_ieee_mode 1
		.amdhsa_fp16_overflow 0
		.amdhsa_tg_split 0
		.amdhsa_exception_fp_ieee_invalid_op 0
		.amdhsa_exception_fp_denorm_src 0
		.amdhsa_exception_fp_ieee_div_zero 0
		.amdhsa_exception_fp_ieee_overflow 0
		.amdhsa_exception_fp_ieee_underflow 0
		.amdhsa_exception_fp_ieee_inexact 0
		.amdhsa_exception_int_div_zero 0
	.end_amdhsa_kernel
	.section	.text._ZN7rocprim17ROCPRIM_400000_NS6detail17trampoline_kernelINS0_14default_configENS1_27upper_bound_config_selectorIslEEZNS1_14transform_implILb0ES3_S5_N6thrust23THRUST_200600_302600_NS17counting_iteratorIsNS8_11use_defaultESA_SA_EEPlZNS1_13binary_searchIS3_S5_PsSB_SC_NS1_21upper_bound_search_opENS8_6detail16wrapped_functionINS0_4lessIvEEbEEEE10hipError_tPvRmT1_T2_T3_mmT4_T5_P12ihipStream_tbEUlRKsE_EESL_SP_SQ_mSR_SU_bEUlT_E_NS1_11comp_targetILNS1_3genE4ELNS1_11target_archE910ELNS1_3gpuE8ELNS1_3repE0EEENS1_30default_config_static_selectorELNS0_4arch9wavefront6targetE1EEEvSO_,"axG",@progbits,_ZN7rocprim17ROCPRIM_400000_NS6detail17trampoline_kernelINS0_14default_configENS1_27upper_bound_config_selectorIslEEZNS1_14transform_implILb0ES3_S5_N6thrust23THRUST_200600_302600_NS17counting_iteratorIsNS8_11use_defaultESA_SA_EEPlZNS1_13binary_searchIS3_S5_PsSB_SC_NS1_21upper_bound_search_opENS8_6detail16wrapped_functionINS0_4lessIvEEbEEEE10hipError_tPvRmT1_T2_T3_mmT4_T5_P12ihipStream_tbEUlRKsE_EESL_SP_SQ_mSR_SU_bEUlT_E_NS1_11comp_targetILNS1_3genE4ELNS1_11target_archE910ELNS1_3gpuE8ELNS1_3repE0EEENS1_30default_config_static_selectorELNS0_4arch9wavefront6targetE1EEEvSO_,comdat
.Lfunc_end161:
	.size	_ZN7rocprim17ROCPRIM_400000_NS6detail17trampoline_kernelINS0_14default_configENS1_27upper_bound_config_selectorIslEEZNS1_14transform_implILb0ES3_S5_N6thrust23THRUST_200600_302600_NS17counting_iteratorIsNS8_11use_defaultESA_SA_EEPlZNS1_13binary_searchIS3_S5_PsSB_SC_NS1_21upper_bound_search_opENS8_6detail16wrapped_functionINS0_4lessIvEEbEEEE10hipError_tPvRmT1_T2_T3_mmT4_T5_P12ihipStream_tbEUlRKsE_EESL_SP_SQ_mSR_SU_bEUlT_E_NS1_11comp_targetILNS1_3genE4ELNS1_11target_archE910ELNS1_3gpuE8ELNS1_3repE0EEENS1_30default_config_static_selectorELNS0_4arch9wavefront6targetE1EEEvSO_, .Lfunc_end161-_ZN7rocprim17ROCPRIM_400000_NS6detail17trampoline_kernelINS0_14default_configENS1_27upper_bound_config_selectorIslEEZNS1_14transform_implILb0ES3_S5_N6thrust23THRUST_200600_302600_NS17counting_iteratorIsNS8_11use_defaultESA_SA_EEPlZNS1_13binary_searchIS3_S5_PsSB_SC_NS1_21upper_bound_search_opENS8_6detail16wrapped_functionINS0_4lessIvEEbEEEE10hipError_tPvRmT1_T2_T3_mmT4_T5_P12ihipStream_tbEUlRKsE_EESL_SP_SQ_mSR_SU_bEUlT_E_NS1_11comp_targetILNS1_3genE4ELNS1_11target_archE910ELNS1_3gpuE8ELNS1_3repE0EEENS1_30default_config_static_selectorELNS0_4arch9wavefront6targetE1EEEvSO_
                                        ; -- End function
	.section	.AMDGPU.csdata,"",@progbits
; Kernel info:
; codeLenInByte = 508
; NumSgprs: 21
; NumVgprs: 12
; NumAgprs: 0
; TotalNumVgprs: 12
; ScratchSize: 0
; MemoryBound: 0
; FloatMode: 240
; IeeeMode: 1
; LDSByteSize: 0 bytes/workgroup (compile time only)
; SGPRBlocks: 2
; VGPRBlocks: 1
; NumSGPRsForWavesPerEU: 21
; NumVGPRsForWavesPerEU: 12
; AccumOffset: 12
; Occupancy: 8
; WaveLimiterHint : 0
; COMPUTE_PGM_RSRC2:SCRATCH_EN: 0
; COMPUTE_PGM_RSRC2:USER_SGPR: 6
; COMPUTE_PGM_RSRC2:TRAP_HANDLER: 0
; COMPUTE_PGM_RSRC2:TGID_X_EN: 1
; COMPUTE_PGM_RSRC2:TGID_Y_EN: 0
; COMPUTE_PGM_RSRC2:TGID_Z_EN: 0
; COMPUTE_PGM_RSRC2:TIDIG_COMP_CNT: 0
; COMPUTE_PGM_RSRC3_GFX90A:ACCUM_OFFSET: 2
; COMPUTE_PGM_RSRC3_GFX90A:TG_SPLIT: 0
	.section	.text._ZN7rocprim17ROCPRIM_400000_NS6detail17trampoline_kernelINS0_14default_configENS1_27upper_bound_config_selectorIslEEZNS1_14transform_implILb0ES3_S5_N6thrust23THRUST_200600_302600_NS17counting_iteratorIsNS8_11use_defaultESA_SA_EEPlZNS1_13binary_searchIS3_S5_PsSB_SC_NS1_21upper_bound_search_opENS8_6detail16wrapped_functionINS0_4lessIvEEbEEEE10hipError_tPvRmT1_T2_T3_mmT4_T5_P12ihipStream_tbEUlRKsE_EESL_SP_SQ_mSR_SU_bEUlT_E_NS1_11comp_targetILNS1_3genE3ELNS1_11target_archE908ELNS1_3gpuE7ELNS1_3repE0EEENS1_30default_config_static_selectorELNS0_4arch9wavefront6targetE1EEEvSO_,"axG",@progbits,_ZN7rocprim17ROCPRIM_400000_NS6detail17trampoline_kernelINS0_14default_configENS1_27upper_bound_config_selectorIslEEZNS1_14transform_implILb0ES3_S5_N6thrust23THRUST_200600_302600_NS17counting_iteratorIsNS8_11use_defaultESA_SA_EEPlZNS1_13binary_searchIS3_S5_PsSB_SC_NS1_21upper_bound_search_opENS8_6detail16wrapped_functionINS0_4lessIvEEbEEEE10hipError_tPvRmT1_T2_T3_mmT4_T5_P12ihipStream_tbEUlRKsE_EESL_SP_SQ_mSR_SU_bEUlT_E_NS1_11comp_targetILNS1_3genE3ELNS1_11target_archE908ELNS1_3gpuE7ELNS1_3repE0EEENS1_30default_config_static_selectorELNS0_4arch9wavefront6targetE1EEEvSO_,comdat
	.protected	_ZN7rocprim17ROCPRIM_400000_NS6detail17trampoline_kernelINS0_14default_configENS1_27upper_bound_config_selectorIslEEZNS1_14transform_implILb0ES3_S5_N6thrust23THRUST_200600_302600_NS17counting_iteratorIsNS8_11use_defaultESA_SA_EEPlZNS1_13binary_searchIS3_S5_PsSB_SC_NS1_21upper_bound_search_opENS8_6detail16wrapped_functionINS0_4lessIvEEbEEEE10hipError_tPvRmT1_T2_T3_mmT4_T5_P12ihipStream_tbEUlRKsE_EESL_SP_SQ_mSR_SU_bEUlT_E_NS1_11comp_targetILNS1_3genE3ELNS1_11target_archE908ELNS1_3gpuE7ELNS1_3repE0EEENS1_30default_config_static_selectorELNS0_4arch9wavefront6targetE1EEEvSO_ ; -- Begin function _ZN7rocprim17ROCPRIM_400000_NS6detail17trampoline_kernelINS0_14default_configENS1_27upper_bound_config_selectorIslEEZNS1_14transform_implILb0ES3_S5_N6thrust23THRUST_200600_302600_NS17counting_iteratorIsNS8_11use_defaultESA_SA_EEPlZNS1_13binary_searchIS3_S5_PsSB_SC_NS1_21upper_bound_search_opENS8_6detail16wrapped_functionINS0_4lessIvEEbEEEE10hipError_tPvRmT1_T2_T3_mmT4_T5_P12ihipStream_tbEUlRKsE_EESL_SP_SQ_mSR_SU_bEUlT_E_NS1_11comp_targetILNS1_3genE3ELNS1_11target_archE908ELNS1_3gpuE7ELNS1_3repE0EEENS1_30default_config_static_selectorELNS0_4arch9wavefront6targetE1EEEvSO_
	.globl	_ZN7rocprim17ROCPRIM_400000_NS6detail17trampoline_kernelINS0_14default_configENS1_27upper_bound_config_selectorIslEEZNS1_14transform_implILb0ES3_S5_N6thrust23THRUST_200600_302600_NS17counting_iteratorIsNS8_11use_defaultESA_SA_EEPlZNS1_13binary_searchIS3_S5_PsSB_SC_NS1_21upper_bound_search_opENS8_6detail16wrapped_functionINS0_4lessIvEEbEEEE10hipError_tPvRmT1_T2_T3_mmT4_T5_P12ihipStream_tbEUlRKsE_EESL_SP_SQ_mSR_SU_bEUlT_E_NS1_11comp_targetILNS1_3genE3ELNS1_11target_archE908ELNS1_3gpuE7ELNS1_3repE0EEENS1_30default_config_static_selectorELNS0_4arch9wavefront6targetE1EEEvSO_
	.p2align	8
	.type	_ZN7rocprim17ROCPRIM_400000_NS6detail17trampoline_kernelINS0_14default_configENS1_27upper_bound_config_selectorIslEEZNS1_14transform_implILb0ES3_S5_N6thrust23THRUST_200600_302600_NS17counting_iteratorIsNS8_11use_defaultESA_SA_EEPlZNS1_13binary_searchIS3_S5_PsSB_SC_NS1_21upper_bound_search_opENS8_6detail16wrapped_functionINS0_4lessIvEEbEEEE10hipError_tPvRmT1_T2_T3_mmT4_T5_P12ihipStream_tbEUlRKsE_EESL_SP_SQ_mSR_SU_bEUlT_E_NS1_11comp_targetILNS1_3genE3ELNS1_11target_archE908ELNS1_3gpuE7ELNS1_3repE0EEENS1_30default_config_static_selectorELNS0_4arch9wavefront6targetE1EEEvSO_,@function
_ZN7rocprim17ROCPRIM_400000_NS6detail17trampoline_kernelINS0_14default_configENS1_27upper_bound_config_selectorIslEEZNS1_14transform_implILb0ES3_S5_N6thrust23THRUST_200600_302600_NS17counting_iteratorIsNS8_11use_defaultESA_SA_EEPlZNS1_13binary_searchIS3_S5_PsSB_SC_NS1_21upper_bound_search_opENS8_6detail16wrapped_functionINS0_4lessIvEEbEEEE10hipError_tPvRmT1_T2_T3_mmT4_T5_P12ihipStream_tbEUlRKsE_EESL_SP_SQ_mSR_SU_bEUlT_E_NS1_11comp_targetILNS1_3genE3ELNS1_11target_archE908ELNS1_3gpuE7ELNS1_3repE0EEENS1_30default_config_static_selectorELNS0_4arch9wavefront6targetE1EEEvSO_: ; @_ZN7rocprim17ROCPRIM_400000_NS6detail17trampoline_kernelINS0_14default_configENS1_27upper_bound_config_selectorIslEEZNS1_14transform_implILb0ES3_S5_N6thrust23THRUST_200600_302600_NS17counting_iteratorIsNS8_11use_defaultESA_SA_EEPlZNS1_13binary_searchIS3_S5_PsSB_SC_NS1_21upper_bound_search_opENS8_6detail16wrapped_functionINS0_4lessIvEEbEEEE10hipError_tPvRmT1_T2_T3_mmT4_T5_P12ihipStream_tbEUlRKsE_EESL_SP_SQ_mSR_SU_bEUlT_E_NS1_11comp_targetILNS1_3genE3ELNS1_11target_archE908ELNS1_3gpuE7ELNS1_3repE0EEENS1_30default_config_static_selectorELNS0_4arch9wavefront6targetE1EEEvSO_
; %bb.0:
	.section	.rodata,"a",@progbits
	.p2align	6, 0x0
	.amdhsa_kernel _ZN7rocprim17ROCPRIM_400000_NS6detail17trampoline_kernelINS0_14default_configENS1_27upper_bound_config_selectorIslEEZNS1_14transform_implILb0ES3_S5_N6thrust23THRUST_200600_302600_NS17counting_iteratorIsNS8_11use_defaultESA_SA_EEPlZNS1_13binary_searchIS3_S5_PsSB_SC_NS1_21upper_bound_search_opENS8_6detail16wrapped_functionINS0_4lessIvEEbEEEE10hipError_tPvRmT1_T2_T3_mmT4_T5_P12ihipStream_tbEUlRKsE_EESL_SP_SQ_mSR_SU_bEUlT_E_NS1_11comp_targetILNS1_3genE3ELNS1_11target_archE908ELNS1_3gpuE7ELNS1_3repE0EEENS1_30default_config_static_selectorELNS0_4arch9wavefront6targetE1EEEvSO_
		.amdhsa_group_segment_fixed_size 0
		.amdhsa_private_segment_fixed_size 0
		.amdhsa_kernarg_size 56
		.amdhsa_user_sgpr_count 6
		.amdhsa_user_sgpr_private_segment_buffer 1
		.amdhsa_user_sgpr_dispatch_ptr 0
		.amdhsa_user_sgpr_queue_ptr 0
		.amdhsa_user_sgpr_kernarg_segment_ptr 1
		.amdhsa_user_sgpr_dispatch_id 0
		.amdhsa_user_sgpr_flat_scratch_init 0
		.amdhsa_user_sgpr_kernarg_preload_length 0
		.amdhsa_user_sgpr_kernarg_preload_offset 0
		.amdhsa_user_sgpr_private_segment_size 0
		.amdhsa_uses_dynamic_stack 0
		.amdhsa_system_sgpr_private_segment_wavefront_offset 0
		.amdhsa_system_sgpr_workgroup_id_x 1
		.amdhsa_system_sgpr_workgroup_id_y 0
		.amdhsa_system_sgpr_workgroup_id_z 0
		.amdhsa_system_sgpr_workgroup_info 0
		.amdhsa_system_vgpr_workitem_id 0
		.amdhsa_next_free_vgpr 1
		.amdhsa_next_free_sgpr 0
		.amdhsa_accum_offset 4
		.amdhsa_reserve_vcc 0
		.amdhsa_reserve_flat_scratch 0
		.amdhsa_float_round_mode_32 0
		.amdhsa_float_round_mode_16_64 0
		.amdhsa_float_denorm_mode_32 3
		.amdhsa_float_denorm_mode_16_64 3
		.amdhsa_dx10_clamp 1
		.amdhsa_ieee_mode 1
		.amdhsa_fp16_overflow 0
		.amdhsa_tg_split 0
		.amdhsa_exception_fp_ieee_invalid_op 0
		.amdhsa_exception_fp_denorm_src 0
		.amdhsa_exception_fp_ieee_div_zero 0
		.amdhsa_exception_fp_ieee_overflow 0
		.amdhsa_exception_fp_ieee_underflow 0
		.amdhsa_exception_fp_ieee_inexact 0
		.amdhsa_exception_int_div_zero 0
	.end_amdhsa_kernel
	.section	.text._ZN7rocprim17ROCPRIM_400000_NS6detail17trampoline_kernelINS0_14default_configENS1_27upper_bound_config_selectorIslEEZNS1_14transform_implILb0ES3_S5_N6thrust23THRUST_200600_302600_NS17counting_iteratorIsNS8_11use_defaultESA_SA_EEPlZNS1_13binary_searchIS3_S5_PsSB_SC_NS1_21upper_bound_search_opENS8_6detail16wrapped_functionINS0_4lessIvEEbEEEE10hipError_tPvRmT1_T2_T3_mmT4_T5_P12ihipStream_tbEUlRKsE_EESL_SP_SQ_mSR_SU_bEUlT_E_NS1_11comp_targetILNS1_3genE3ELNS1_11target_archE908ELNS1_3gpuE7ELNS1_3repE0EEENS1_30default_config_static_selectorELNS0_4arch9wavefront6targetE1EEEvSO_,"axG",@progbits,_ZN7rocprim17ROCPRIM_400000_NS6detail17trampoline_kernelINS0_14default_configENS1_27upper_bound_config_selectorIslEEZNS1_14transform_implILb0ES3_S5_N6thrust23THRUST_200600_302600_NS17counting_iteratorIsNS8_11use_defaultESA_SA_EEPlZNS1_13binary_searchIS3_S5_PsSB_SC_NS1_21upper_bound_search_opENS8_6detail16wrapped_functionINS0_4lessIvEEbEEEE10hipError_tPvRmT1_T2_T3_mmT4_T5_P12ihipStream_tbEUlRKsE_EESL_SP_SQ_mSR_SU_bEUlT_E_NS1_11comp_targetILNS1_3genE3ELNS1_11target_archE908ELNS1_3gpuE7ELNS1_3repE0EEENS1_30default_config_static_selectorELNS0_4arch9wavefront6targetE1EEEvSO_,comdat
.Lfunc_end162:
	.size	_ZN7rocprim17ROCPRIM_400000_NS6detail17trampoline_kernelINS0_14default_configENS1_27upper_bound_config_selectorIslEEZNS1_14transform_implILb0ES3_S5_N6thrust23THRUST_200600_302600_NS17counting_iteratorIsNS8_11use_defaultESA_SA_EEPlZNS1_13binary_searchIS3_S5_PsSB_SC_NS1_21upper_bound_search_opENS8_6detail16wrapped_functionINS0_4lessIvEEbEEEE10hipError_tPvRmT1_T2_T3_mmT4_T5_P12ihipStream_tbEUlRKsE_EESL_SP_SQ_mSR_SU_bEUlT_E_NS1_11comp_targetILNS1_3genE3ELNS1_11target_archE908ELNS1_3gpuE7ELNS1_3repE0EEENS1_30default_config_static_selectorELNS0_4arch9wavefront6targetE1EEEvSO_, .Lfunc_end162-_ZN7rocprim17ROCPRIM_400000_NS6detail17trampoline_kernelINS0_14default_configENS1_27upper_bound_config_selectorIslEEZNS1_14transform_implILb0ES3_S5_N6thrust23THRUST_200600_302600_NS17counting_iteratorIsNS8_11use_defaultESA_SA_EEPlZNS1_13binary_searchIS3_S5_PsSB_SC_NS1_21upper_bound_search_opENS8_6detail16wrapped_functionINS0_4lessIvEEbEEEE10hipError_tPvRmT1_T2_T3_mmT4_T5_P12ihipStream_tbEUlRKsE_EESL_SP_SQ_mSR_SU_bEUlT_E_NS1_11comp_targetILNS1_3genE3ELNS1_11target_archE908ELNS1_3gpuE7ELNS1_3repE0EEENS1_30default_config_static_selectorELNS0_4arch9wavefront6targetE1EEEvSO_
                                        ; -- End function
	.section	.AMDGPU.csdata,"",@progbits
; Kernel info:
; codeLenInByte = 0
; NumSgprs: 4
; NumVgprs: 0
; NumAgprs: 0
; TotalNumVgprs: 0
; ScratchSize: 0
; MemoryBound: 0
; FloatMode: 240
; IeeeMode: 1
; LDSByteSize: 0 bytes/workgroup (compile time only)
; SGPRBlocks: 0
; VGPRBlocks: 0
; NumSGPRsForWavesPerEU: 4
; NumVGPRsForWavesPerEU: 1
; AccumOffset: 4
; Occupancy: 8
; WaveLimiterHint : 0
; COMPUTE_PGM_RSRC2:SCRATCH_EN: 0
; COMPUTE_PGM_RSRC2:USER_SGPR: 6
; COMPUTE_PGM_RSRC2:TRAP_HANDLER: 0
; COMPUTE_PGM_RSRC2:TGID_X_EN: 1
; COMPUTE_PGM_RSRC2:TGID_Y_EN: 0
; COMPUTE_PGM_RSRC2:TGID_Z_EN: 0
; COMPUTE_PGM_RSRC2:TIDIG_COMP_CNT: 0
; COMPUTE_PGM_RSRC3_GFX90A:ACCUM_OFFSET: 0
; COMPUTE_PGM_RSRC3_GFX90A:TG_SPLIT: 0
	.section	.text._ZN7rocprim17ROCPRIM_400000_NS6detail17trampoline_kernelINS0_14default_configENS1_27upper_bound_config_selectorIslEEZNS1_14transform_implILb0ES3_S5_N6thrust23THRUST_200600_302600_NS17counting_iteratorIsNS8_11use_defaultESA_SA_EEPlZNS1_13binary_searchIS3_S5_PsSB_SC_NS1_21upper_bound_search_opENS8_6detail16wrapped_functionINS0_4lessIvEEbEEEE10hipError_tPvRmT1_T2_T3_mmT4_T5_P12ihipStream_tbEUlRKsE_EESL_SP_SQ_mSR_SU_bEUlT_E_NS1_11comp_targetILNS1_3genE2ELNS1_11target_archE906ELNS1_3gpuE6ELNS1_3repE0EEENS1_30default_config_static_selectorELNS0_4arch9wavefront6targetE1EEEvSO_,"axG",@progbits,_ZN7rocprim17ROCPRIM_400000_NS6detail17trampoline_kernelINS0_14default_configENS1_27upper_bound_config_selectorIslEEZNS1_14transform_implILb0ES3_S5_N6thrust23THRUST_200600_302600_NS17counting_iteratorIsNS8_11use_defaultESA_SA_EEPlZNS1_13binary_searchIS3_S5_PsSB_SC_NS1_21upper_bound_search_opENS8_6detail16wrapped_functionINS0_4lessIvEEbEEEE10hipError_tPvRmT1_T2_T3_mmT4_T5_P12ihipStream_tbEUlRKsE_EESL_SP_SQ_mSR_SU_bEUlT_E_NS1_11comp_targetILNS1_3genE2ELNS1_11target_archE906ELNS1_3gpuE6ELNS1_3repE0EEENS1_30default_config_static_selectorELNS0_4arch9wavefront6targetE1EEEvSO_,comdat
	.protected	_ZN7rocprim17ROCPRIM_400000_NS6detail17trampoline_kernelINS0_14default_configENS1_27upper_bound_config_selectorIslEEZNS1_14transform_implILb0ES3_S5_N6thrust23THRUST_200600_302600_NS17counting_iteratorIsNS8_11use_defaultESA_SA_EEPlZNS1_13binary_searchIS3_S5_PsSB_SC_NS1_21upper_bound_search_opENS8_6detail16wrapped_functionINS0_4lessIvEEbEEEE10hipError_tPvRmT1_T2_T3_mmT4_T5_P12ihipStream_tbEUlRKsE_EESL_SP_SQ_mSR_SU_bEUlT_E_NS1_11comp_targetILNS1_3genE2ELNS1_11target_archE906ELNS1_3gpuE6ELNS1_3repE0EEENS1_30default_config_static_selectorELNS0_4arch9wavefront6targetE1EEEvSO_ ; -- Begin function _ZN7rocprim17ROCPRIM_400000_NS6detail17trampoline_kernelINS0_14default_configENS1_27upper_bound_config_selectorIslEEZNS1_14transform_implILb0ES3_S5_N6thrust23THRUST_200600_302600_NS17counting_iteratorIsNS8_11use_defaultESA_SA_EEPlZNS1_13binary_searchIS3_S5_PsSB_SC_NS1_21upper_bound_search_opENS8_6detail16wrapped_functionINS0_4lessIvEEbEEEE10hipError_tPvRmT1_T2_T3_mmT4_T5_P12ihipStream_tbEUlRKsE_EESL_SP_SQ_mSR_SU_bEUlT_E_NS1_11comp_targetILNS1_3genE2ELNS1_11target_archE906ELNS1_3gpuE6ELNS1_3repE0EEENS1_30default_config_static_selectorELNS0_4arch9wavefront6targetE1EEEvSO_
	.globl	_ZN7rocprim17ROCPRIM_400000_NS6detail17trampoline_kernelINS0_14default_configENS1_27upper_bound_config_selectorIslEEZNS1_14transform_implILb0ES3_S5_N6thrust23THRUST_200600_302600_NS17counting_iteratorIsNS8_11use_defaultESA_SA_EEPlZNS1_13binary_searchIS3_S5_PsSB_SC_NS1_21upper_bound_search_opENS8_6detail16wrapped_functionINS0_4lessIvEEbEEEE10hipError_tPvRmT1_T2_T3_mmT4_T5_P12ihipStream_tbEUlRKsE_EESL_SP_SQ_mSR_SU_bEUlT_E_NS1_11comp_targetILNS1_3genE2ELNS1_11target_archE906ELNS1_3gpuE6ELNS1_3repE0EEENS1_30default_config_static_selectorELNS0_4arch9wavefront6targetE1EEEvSO_
	.p2align	8
	.type	_ZN7rocprim17ROCPRIM_400000_NS6detail17trampoline_kernelINS0_14default_configENS1_27upper_bound_config_selectorIslEEZNS1_14transform_implILb0ES3_S5_N6thrust23THRUST_200600_302600_NS17counting_iteratorIsNS8_11use_defaultESA_SA_EEPlZNS1_13binary_searchIS3_S5_PsSB_SC_NS1_21upper_bound_search_opENS8_6detail16wrapped_functionINS0_4lessIvEEbEEEE10hipError_tPvRmT1_T2_T3_mmT4_T5_P12ihipStream_tbEUlRKsE_EESL_SP_SQ_mSR_SU_bEUlT_E_NS1_11comp_targetILNS1_3genE2ELNS1_11target_archE906ELNS1_3gpuE6ELNS1_3repE0EEENS1_30default_config_static_selectorELNS0_4arch9wavefront6targetE1EEEvSO_,@function
_ZN7rocprim17ROCPRIM_400000_NS6detail17trampoline_kernelINS0_14default_configENS1_27upper_bound_config_selectorIslEEZNS1_14transform_implILb0ES3_S5_N6thrust23THRUST_200600_302600_NS17counting_iteratorIsNS8_11use_defaultESA_SA_EEPlZNS1_13binary_searchIS3_S5_PsSB_SC_NS1_21upper_bound_search_opENS8_6detail16wrapped_functionINS0_4lessIvEEbEEEE10hipError_tPvRmT1_T2_T3_mmT4_T5_P12ihipStream_tbEUlRKsE_EESL_SP_SQ_mSR_SU_bEUlT_E_NS1_11comp_targetILNS1_3genE2ELNS1_11target_archE906ELNS1_3gpuE6ELNS1_3repE0EEENS1_30default_config_static_selectorELNS0_4arch9wavefront6targetE1EEEvSO_: ; @_ZN7rocprim17ROCPRIM_400000_NS6detail17trampoline_kernelINS0_14default_configENS1_27upper_bound_config_selectorIslEEZNS1_14transform_implILb0ES3_S5_N6thrust23THRUST_200600_302600_NS17counting_iteratorIsNS8_11use_defaultESA_SA_EEPlZNS1_13binary_searchIS3_S5_PsSB_SC_NS1_21upper_bound_search_opENS8_6detail16wrapped_functionINS0_4lessIvEEbEEEE10hipError_tPvRmT1_T2_T3_mmT4_T5_P12ihipStream_tbEUlRKsE_EESL_SP_SQ_mSR_SU_bEUlT_E_NS1_11comp_targetILNS1_3genE2ELNS1_11target_archE906ELNS1_3gpuE6ELNS1_3repE0EEENS1_30default_config_static_selectorELNS0_4arch9wavefront6targetE1EEEvSO_
; %bb.0:
	.section	.rodata,"a",@progbits
	.p2align	6, 0x0
	.amdhsa_kernel _ZN7rocprim17ROCPRIM_400000_NS6detail17trampoline_kernelINS0_14default_configENS1_27upper_bound_config_selectorIslEEZNS1_14transform_implILb0ES3_S5_N6thrust23THRUST_200600_302600_NS17counting_iteratorIsNS8_11use_defaultESA_SA_EEPlZNS1_13binary_searchIS3_S5_PsSB_SC_NS1_21upper_bound_search_opENS8_6detail16wrapped_functionINS0_4lessIvEEbEEEE10hipError_tPvRmT1_T2_T3_mmT4_T5_P12ihipStream_tbEUlRKsE_EESL_SP_SQ_mSR_SU_bEUlT_E_NS1_11comp_targetILNS1_3genE2ELNS1_11target_archE906ELNS1_3gpuE6ELNS1_3repE0EEENS1_30default_config_static_selectorELNS0_4arch9wavefront6targetE1EEEvSO_
		.amdhsa_group_segment_fixed_size 0
		.amdhsa_private_segment_fixed_size 0
		.amdhsa_kernarg_size 56
		.amdhsa_user_sgpr_count 6
		.amdhsa_user_sgpr_private_segment_buffer 1
		.amdhsa_user_sgpr_dispatch_ptr 0
		.amdhsa_user_sgpr_queue_ptr 0
		.amdhsa_user_sgpr_kernarg_segment_ptr 1
		.amdhsa_user_sgpr_dispatch_id 0
		.amdhsa_user_sgpr_flat_scratch_init 0
		.amdhsa_user_sgpr_kernarg_preload_length 0
		.amdhsa_user_sgpr_kernarg_preload_offset 0
		.amdhsa_user_sgpr_private_segment_size 0
		.amdhsa_uses_dynamic_stack 0
		.amdhsa_system_sgpr_private_segment_wavefront_offset 0
		.amdhsa_system_sgpr_workgroup_id_x 1
		.amdhsa_system_sgpr_workgroup_id_y 0
		.amdhsa_system_sgpr_workgroup_id_z 0
		.amdhsa_system_sgpr_workgroup_info 0
		.amdhsa_system_vgpr_workitem_id 0
		.amdhsa_next_free_vgpr 1
		.amdhsa_next_free_sgpr 0
		.amdhsa_accum_offset 4
		.amdhsa_reserve_vcc 0
		.amdhsa_reserve_flat_scratch 0
		.amdhsa_float_round_mode_32 0
		.amdhsa_float_round_mode_16_64 0
		.amdhsa_float_denorm_mode_32 3
		.amdhsa_float_denorm_mode_16_64 3
		.amdhsa_dx10_clamp 1
		.amdhsa_ieee_mode 1
		.amdhsa_fp16_overflow 0
		.amdhsa_tg_split 0
		.amdhsa_exception_fp_ieee_invalid_op 0
		.amdhsa_exception_fp_denorm_src 0
		.amdhsa_exception_fp_ieee_div_zero 0
		.amdhsa_exception_fp_ieee_overflow 0
		.amdhsa_exception_fp_ieee_underflow 0
		.amdhsa_exception_fp_ieee_inexact 0
		.amdhsa_exception_int_div_zero 0
	.end_amdhsa_kernel
	.section	.text._ZN7rocprim17ROCPRIM_400000_NS6detail17trampoline_kernelINS0_14default_configENS1_27upper_bound_config_selectorIslEEZNS1_14transform_implILb0ES3_S5_N6thrust23THRUST_200600_302600_NS17counting_iteratorIsNS8_11use_defaultESA_SA_EEPlZNS1_13binary_searchIS3_S5_PsSB_SC_NS1_21upper_bound_search_opENS8_6detail16wrapped_functionINS0_4lessIvEEbEEEE10hipError_tPvRmT1_T2_T3_mmT4_T5_P12ihipStream_tbEUlRKsE_EESL_SP_SQ_mSR_SU_bEUlT_E_NS1_11comp_targetILNS1_3genE2ELNS1_11target_archE906ELNS1_3gpuE6ELNS1_3repE0EEENS1_30default_config_static_selectorELNS0_4arch9wavefront6targetE1EEEvSO_,"axG",@progbits,_ZN7rocprim17ROCPRIM_400000_NS6detail17trampoline_kernelINS0_14default_configENS1_27upper_bound_config_selectorIslEEZNS1_14transform_implILb0ES3_S5_N6thrust23THRUST_200600_302600_NS17counting_iteratorIsNS8_11use_defaultESA_SA_EEPlZNS1_13binary_searchIS3_S5_PsSB_SC_NS1_21upper_bound_search_opENS8_6detail16wrapped_functionINS0_4lessIvEEbEEEE10hipError_tPvRmT1_T2_T3_mmT4_T5_P12ihipStream_tbEUlRKsE_EESL_SP_SQ_mSR_SU_bEUlT_E_NS1_11comp_targetILNS1_3genE2ELNS1_11target_archE906ELNS1_3gpuE6ELNS1_3repE0EEENS1_30default_config_static_selectorELNS0_4arch9wavefront6targetE1EEEvSO_,comdat
.Lfunc_end163:
	.size	_ZN7rocprim17ROCPRIM_400000_NS6detail17trampoline_kernelINS0_14default_configENS1_27upper_bound_config_selectorIslEEZNS1_14transform_implILb0ES3_S5_N6thrust23THRUST_200600_302600_NS17counting_iteratorIsNS8_11use_defaultESA_SA_EEPlZNS1_13binary_searchIS3_S5_PsSB_SC_NS1_21upper_bound_search_opENS8_6detail16wrapped_functionINS0_4lessIvEEbEEEE10hipError_tPvRmT1_T2_T3_mmT4_T5_P12ihipStream_tbEUlRKsE_EESL_SP_SQ_mSR_SU_bEUlT_E_NS1_11comp_targetILNS1_3genE2ELNS1_11target_archE906ELNS1_3gpuE6ELNS1_3repE0EEENS1_30default_config_static_selectorELNS0_4arch9wavefront6targetE1EEEvSO_, .Lfunc_end163-_ZN7rocprim17ROCPRIM_400000_NS6detail17trampoline_kernelINS0_14default_configENS1_27upper_bound_config_selectorIslEEZNS1_14transform_implILb0ES3_S5_N6thrust23THRUST_200600_302600_NS17counting_iteratorIsNS8_11use_defaultESA_SA_EEPlZNS1_13binary_searchIS3_S5_PsSB_SC_NS1_21upper_bound_search_opENS8_6detail16wrapped_functionINS0_4lessIvEEbEEEE10hipError_tPvRmT1_T2_T3_mmT4_T5_P12ihipStream_tbEUlRKsE_EESL_SP_SQ_mSR_SU_bEUlT_E_NS1_11comp_targetILNS1_3genE2ELNS1_11target_archE906ELNS1_3gpuE6ELNS1_3repE0EEENS1_30default_config_static_selectorELNS0_4arch9wavefront6targetE1EEEvSO_
                                        ; -- End function
	.section	.AMDGPU.csdata,"",@progbits
; Kernel info:
; codeLenInByte = 0
; NumSgprs: 4
; NumVgprs: 0
; NumAgprs: 0
; TotalNumVgprs: 0
; ScratchSize: 0
; MemoryBound: 0
; FloatMode: 240
; IeeeMode: 1
; LDSByteSize: 0 bytes/workgroup (compile time only)
; SGPRBlocks: 0
; VGPRBlocks: 0
; NumSGPRsForWavesPerEU: 4
; NumVGPRsForWavesPerEU: 1
; AccumOffset: 4
; Occupancy: 8
; WaveLimiterHint : 0
; COMPUTE_PGM_RSRC2:SCRATCH_EN: 0
; COMPUTE_PGM_RSRC2:USER_SGPR: 6
; COMPUTE_PGM_RSRC2:TRAP_HANDLER: 0
; COMPUTE_PGM_RSRC2:TGID_X_EN: 1
; COMPUTE_PGM_RSRC2:TGID_Y_EN: 0
; COMPUTE_PGM_RSRC2:TGID_Z_EN: 0
; COMPUTE_PGM_RSRC2:TIDIG_COMP_CNT: 0
; COMPUTE_PGM_RSRC3_GFX90A:ACCUM_OFFSET: 0
; COMPUTE_PGM_RSRC3_GFX90A:TG_SPLIT: 0
	.section	.text._ZN7rocprim17ROCPRIM_400000_NS6detail17trampoline_kernelINS0_14default_configENS1_27upper_bound_config_selectorIslEEZNS1_14transform_implILb0ES3_S5_N6thrust23THRUST_200600_302600_NS17counting_iteratorIsNS8_11use_defaultESA_SA_EEPlZNS1_13binary_searchIS3_S5_PsSB_SC_NS1_21upper_bound_search_opENS8_6detail16wrapped_functionINS0_4lessIvEEbEEEE10hipError_tPvRmT1_T2_T3_mmT4_T5_P12ihipStream_tbEUlRKsE_EESL_SP_SQ_mSR_SU_bEUlT_E_NS1_11comp_targetILNS1_3genE10ELNS1_11target_archE1201ELNS1_3gpuE5ELNS1_3repE0EEENS1_30default_config_static_selectorELNS0_4arch9wavefront6targetE1EEEvSO_,"axG",@progbits,_ZN7rocprim17ROCPRIM_400000_NS6detail17trampoline_kernelINS0_14default_configENS1_27upper_bound_config_selectorIslEEZNS1_14transform_implILb0ES3_S5_N6thrust23THRUST_200600_302600_NS17counting_iteratorIsNS8_11use_defaultESA_SA_EEPlZNS1_13binary_searchIS3_S5_PsSB_SC_NS1_21upper_bound_search_opENS8_6detail16wrapped_functionINS0_4lessIvEEbEEEE10hipError_tPvRmT1_T2_T3_mmT4_T5_P12ihipStream_tbEUlRKsE_EESL_SP_SQ_mSR_SU_bEUlT_E_NS1_11comp_targetILNS1_3genE10ELNS1_11target_archE1201ELNS1_3gpuE5ELNS1_3repE0EEENS1_30default_config_static_selectorELNS0_4arch9wavefront6targetE1EEEvSO_,comdat
	.protected	_ZN7rocprim17ROCPRIM_400000_NS6detail17trampoline_kernelINS0_14default_configENS1_27upper_bound_config_selectorIslEEZNS1_14transform_implILb0ES3_S5_N6thrust23THRUST_200600_302600_NS17counting_iteratorIsNS8_11use_defaultESA_SA_EEPlZNS1_13binary_searchIS3_S5_PsSB_SC_NS1_21upper_bound_search_opENS8_6detail16wrapped_functionINS0_4lessIvEEbEEEE10hipError_tPvRmT1_T2_T3_mmT4_T5_P12ihipStream_tbEUlRKsE_EESL_SP_SQ_mSR_SU_bEUlT_E_NS1_11comp_targetILNS1_3genE10ELNS1_11target_archE1201ELNS1_3gpuE5ELNS1_3repE0EEENS1_30default_config_static_selectorELNS0_4arch9wavefront6targetE1EEEvSO_ ; -- Begin function _ZN7rocprim17ROCPRIM_400000_NS6detail17trampoline_kernelINS0_14default_configENS1_27upper_bound_config_selectorIslEEZNS1_14transform_implILb0ES3_S5_N6thrust23THRUST_200600_302600_NS17counting_iteratorIsNS8_11use_defaultESA_SA_EEPlZNS1_13binary_searchIS3_S5_PsSB_SC_NS1_21upper_bound_search_opENS8_6detail16wrapped_functionINS0_4lessIvEEbEEEE10hipError_tPvRmT1_T2_T3_mmT4_T5_P12ihipStream_tbEUlRKsE_EESL_SP_SQ_mSR_SU_bEUlT_E_NS1_11comp_targetILNS1_3genE10ELNS1_11target_archE1201ELNS1_3gpuE5ELNS1_3repE0EEENS1_30default_config_static_selectorELNS0_4arch9wavefront6targetE1EEEvSO_
	.globl	_ZN7rocprim17ROCPRIM_400000_NS6detail17trampoline_kernelINS0_14default_configENS1_27upper_bound_config_selectorIslEEZNS1_14transform_implILb0ES3_S5_N6thrust23THRUST_200600_302600_NS17counting_iteratorIsNS8_11use_defaultESA_SA_EEPlZNS1_13binary_searchIS3_S5_PsSB_SC_NS1_21upper_bound_search_opENS8_6detail16wrapped_functionINS0_4lessIvEEbEEEE10hipError_tPvRmT1_T2_T3_mmT4_T5_P12ihipStream_tbEUlRKsE_EESL_SP_SQ_mSR_SU_bEUlT_E_NS1_11comp_targetILNS1_3genE10ELNS1_11target_archE1201ELNS1_3gpuE5ELNS1_3repE0EEENS1_30default_config_static_selectorELNS0_4arch9wavefront6targetE1EEEvSO_
	.p2align	8
	.type	_ZN7rocprim17ROCPRIM_400000_NS6detail17trampoline_kernelINS0_14default_configENS1_27upper_bound_config_selectorIslEEZNS1_14transform_implILb0ES3_S5_N6thrust23THRUST_200600_302600_NS17counting_iteratorIsNS8_11use_defaultESA_SA_EEPlZNS1_13binary_searchIS3_S5_PsSB_SC_NS1_21upper_bound_search_opENS8_6detail16wrapped_functionINS0_4lessIvEEbEEEE10hipError_tPvRmT1_T2_T3_mmT4_T5_P12ihipStream_tbEUlRKsE_EESL_SP_SQ_mSR_SU_bEUlT_E_NS1_11comp_targetILNS1_3genE10ELNS1_11target_archE1201ELNS1_3gpuE5ELNS1_3repE0EEENS1_30default_config_static_selectorELNS0_4arch9wavefront6targetE1EEEvSO_,@function
_ZN7rocprim17ROCPRIM_400000_NS6detail17trampoline_kernelINS0_14default_configENS1_27upper_bound_config_selectorIslEEZNS1_14transform_implILb0ES3_S5_N6thrust23THRUST_200600_302600_NS17counting_iteratorIsNS8_11use_defaultESA_SA_EEPlZNS1_13binary_searchIS3_S5_PsSB_SC_NS1_21upper_bound_search_opENS8_6detail16wrapped_functionINS0_4lessIvEEbEEEE10hipError_tPvRmT1_T2_T3_mmT4_T5_P12ihipStream_tbEUlRKsE_EESL_SP_SQ_mSR_SU_bEUlT_E_NS1_11comp_targetILNS1_3genE10ELNS1_11target_archE1201ELNS1_3gpuE5ELNS1_3repE0EEENS1_30default_config_static_selectorELNS0_4arch9wavefront6targetE1EEEvSO_: ; @_ZN7rocprim17ROCPRIM_400000_NS6detail17trampoline_kernelINS0_14default_configENS1_27upper_bound_config_selectorIslEEZNS1_14transform_implILb0ES3_S5_N6thrust23THRUST_200600_302600_NS17counting_iteratorIsNS8_11use_defaultESA_SA_EEPlZNS1_13binary_searchIS3_S5_PsSB_SC_NS1_21upper_bound_search_opENS8_6detail16wrapped_functionINS0_4lessIvEEbEEEE10hipError_tPvRmT1_T2_T3_mmT4_T5_P12ihipStream_tbEUlRKsE_EESL_SP_SQ_mSR_SU_bEUlT_E_NS1_11comp_targetILNS1_3genE10ELNS1_11target_archE1201ELNS1_3gpuE5ELNS1_3repE0EEENS1_30default_config_static_selectorELNS0_4arch9wavefront6targetE1EEEvSO_
; %bb.0:
	.section	.rodata,"a",@progbits
	.p2align	6, 0x0
	.amdhsa_kernel _ZN7rocprim17ROCPRIM_400000_NS6detail17trampoline_kernelINS0_14default_configENS1_27upper_bound_config_selectorIslEEZNS1_14transform_implILb0ES3_S5_N6thrust23THRUST_200600_302600_NS17counting_iteratorIsNS8_11use_defaultESA_SA_EEPlZNS1_13binary_searchIS3_S5_PsSB_SC_NS1_21upper_bound_search_opENS8_6detail16wrapped_functionINS0_4lessIvEEbEEEE10hipError_tPvRmT1_T2_T3_mmT4_T5_P12ihipStream_tbEUlRKsE_EESL_SP_SQ_mSR_SU_bEUlT_E_NS1_11comp_targetILNS1_3genE10ELNS1_11target_archE1201ELNS1_3gpuE5ELNS1_3repE0EEENS1_30default_config_static_selectorELNS0_4arch9wavefront6targetE1EEEvSO_
		.amdhsa_group_segment_fixed_size 0
		.amdhsa_private_segment_fixed_size 0
		.amdhsa_kernarg_size 56
		.amdhsa_user_sgpr_count 6
		.amdhsa_user_sgpr_private_segment_buffer 1
		.amdhsa_user_sgpr_dispatch_ptr 0
		.amdhsa_user_sgpr_queue_ptr 0
		.amdhsa_user_sgpr_kernarg_segment_ptr 1
		.amdhsa_user_sgpr_dispatch_id 0
		.amdhsa_user_sgpr_flat_scratch_init 0
		.amdhsa_user_sgpr_kernarg_preload_length 0
		.amdhsa_user_sgpr_kernarg_preload_offset 0
		.amdhsa_user_sgpr_private_segment_size 0
		.amdhsa_uses_dynamic_stack 0
		.amdhsa_system_sgpr_private_segment_wavefront_offset 0
		.amdhsa_system_sgpr_workgroup_id_x 1
		.amdhsa_system_sgpr_workgroup_id_y 0
		.amdhsa_system_sgpr_workgroup_id_z 0
		.amdhsa_system_sgpr_workgroup_info 0
		.amdhsa_system_vgpr_workitem_id 0
		.amdhsa_next_free_vgpr 1
		.amdhsa_next_free_sgpr 0
		.amdhsa_accum_offset 4
		.amdhsa_reserve_vcc 0
		.amdhsa_reserve_flat_scratch 0
		.amdhsa_float_round_mode_32 0
		.amdhsa_float_round_mode_16_64 0
		.amdhsa_float_denorm_mode_32 3
		.amdhsa_float_denorm_mode_16_64 3
		.amdhsa_dx10_clamp 1
		.amdhsa_ieee_mode 1
		.amdhsa_fp16_overflow 0
		.amdhsa_tg_split 0
		.amdhsa_exception_fp_ieee_invalid_op 0
		.amdhsa_exception_fp_denorm_src 0
		.amdhsa_exception_fp_ieee_div_zero 0
		.amdhsa_exception_fp_ieee_overflow 0
		.amdhsa_exception_fp_ieee_underflow 0
		.amdhsa_exception_fp_ieee_inexact 0
		.amdhsa_exception_int_div_zero 0
	.end_amdhsa_kernel
	.section	.text._ZN7rocprim17ROCPRIM_400000_NS6detail17trampoline_kernelINS0_14default_configENS1_27upper_bound_config_selectorIslEEZNS1_14transform_implILb0ES3_S5_N6thrust23THRUST_200600_302600_NS17counting_iteratorIsNS8_11use_defaultESA_SA_EEPlZNS1_13binary_searchIS3_S5_PsSB_SC_NS1_21upper_bound_search_opENS8_6detail16wrapped_functionINS0_4lessIvEEbEEEE10hipError_tPvRmT1_T2_T3_mmT4_T5_P12ihipStream_tbEUlRKsE_EESL_SP_SQ_mSR_SU_bEUlT_E_NS1_11comp_targetILNS1_3genE10ELNS1_11target_archE1201ELNS1_3gpuE5ELNS1_3repE0EEENS1_30default_config_static_selectorELNS0_4arch9wavefront6targetE1EEEvSO_,"axG",@progbits,_ZN7rocprim17ROCPRIM_400000_NS6detail17trampoline_kernelINS0_14default_configENS1_27upper_bound_config_selectorIslEEZNS1_14transform_implILb0ES3_S5_N6thrust23THRUST_200600_302600_NS17counting_iteratorIsNS8_11use_defaultESA_SA_EEPlZNS1_13binary_searchIS3_S5_PsSB_SC_NS1_21upper_bound_search_opENS8_6detail16wrapped_functionINS0_4lessIvEEbEEEE10hipError_tPvRmT1_T2_T3_mmT4_T5_P12ihipStream_tbEUlRKsE_EESL_SP_SQ_mSR_SU_bEUlT_E_NS1_11comp_targetILNS1_3genE10ELNS1_11target_archE1201ELNS1_3gpuE5ELNS1_3repE0EEENS1_30default_config_static_selectorELNS0_4arch9wavefront6targetE1EEEvSO_,comdat
.Lfunc_end164:
	.size	_ZN7rocprim17ROCPRIM_400000_NS6detail17trampoline_kernelINS0_14default_configENS1_27upper_bound_config_selectorIslEEZNS1_14transform_implILb0ES3_S5_N6thrust23THRUST_200600_302600_NS17counting_iteratorIsNS8_11use_defaultESA_SA_EEPlZNS1_13binary_searchIS3_S5_PsSB_SC_NS1_21upper_bound_search_opENS8_6detail16wrapped_functionINS0_4lessIvEEbEEEE10hipError_tPvRmT1_T2_T3_mmT4_T5_P12ihipStream_tbEUlRKsE_EESL_SP_SQ_mSR_SU_bEUlT_E_NS1_11comp_targetILNS1_3genE10ELNS1_11target_archE1201ELNS1_3gpuE5ELNS1_3repE0EEENS1_30default_config_static_selectorELNS0_4arch9wavefront6targetE1EEEvSO_, .Lfunc_end164-_ZN7rocprim17ROCPRIM_400000_NS6detail17trampoline_kernelINS0_14default_configENS1_27upper_bound_config_selectorIslEEZNS1_14transform_implILb0ES3_S5_N6thrust23THRUST_200600_302600_NS17counting_iteratorIsNS8_11use_defaultESA_SA_EEPlZNS1_13binary_searchIS3_S5_PsSB_SC_NS1_21upper_bound_search_opENS8_6detail16wrapped_functionINS0_4lessIvEEbEEEE10hipError_tPvRmT1_T2_T3_mmT4_T5_P12ihipStream_tbEUlRKsE_EESL_SP_SQ_mSR_SU_bEUlT_E_NS1_11comp_targetILNS1_3genE10ELNS1_11target_archE1201ELNS1_3gpuE5ELNS1_3repE0EEENS1_30default_config_static_selectorELNS0_4arch9wavefront6targetE1EEEvSO_
                                        ; -- End function
	.section	.AMDGPU.csdata,"",@progbits
; Kernel info:
; codeLenInByte = 0
; NumSgprs: 4
; NumVgprs: 0
; NumAgprs: 0
; TotalNumVgprs: 0
; ScratchSize: 0
; MemoryBound: 0
; FloatMode: 240
; IeeeMode: 1
; LDSByteSize: 0 bytes/workgroup (compile time only)
; SGPRBlocks: 0
; VGPRBlocks: 0
; NumSGPRsForWavesPerEU: 4
; NumVGPRsForWavesPerEU: 1
; AccumOffset: 4
; Occupancy: 8
; WaveLimiterHint : 0
; COMPUTE_PGM_RSRC2:SCRATCH_EN: 0
; COMPUTE_PGM_RSRC2:USER_SGPR: 6
; COMPUTE_PGM_RSRC2:TRAP_HANDLER: 0
; COMPUTE_PGM_RSRC2:TGID_X_EN: 1
; COMPUTE_PGM_RSRC2:TGID_Y_EN: 0
; COMPUTE_PGM_RSRC2:TGID_Z_EN: 0
; COMPUTE_PGM_RSRC2:TIDIG_COMP_CNT: 0
; COMPUTE_PGM_RSRC3_GFX90A:ACCUM_OFFSET: 0
; COMPUTE_PGM_RSRC3_GFX90A:TG_SPLIT: 0
	.section	.text._ZN7rocprim17ROCPRIM_400000_NS6detail17trampoline_kernelINS0_14default_configENS1_27upper_bound_config_selectorIslEEZNS1_14transform_implILb0ES3_S5_N6thrust23THRUST_200600_302600_NS17counting_iteratorIsNS8_11use_defaultESA_SA_EEPlZNS1_13binary_searchIS3_S5_PsSB_SC_NS1_21upper_bound_search_opENS8_6detail16wrapped_functionINS0_4lessIvEEbEEEE10hipError_tPvRmT1_T2_T3_mmT4_T5_P12ihipStream_tbEUlRKsE_EESL_SP_SQ_mSR_SU_bEUlT_E_NS1_11comp_targetILNS1_3genE10ELNS1_11target_archE1200ELNS1_3gpuE4ELNS1_3repE0EEENS1_30default_config_static_selectorELNS0_4arch9wavefront6targetE1EEEvSO_,"axG",@progbits,_ZN7rocprim17ROCPRIM_400000_NS6detail17trampoline_kernelINS0_14default_configENS1_27upper_bound_config_selectorIslEEZNS1_14transform_implILb0ES3_S5_N6thrust23THRUST_200600_302600_NS17counting_iteratorIsNS8_11use_defaultESA_SA_EEPlZNS1_13binary_searchIS3_S5_PsSB_SC_NS1_21upper_bound_search_opENS8_6detail16wrapped_functionINS0_4lessIvEEbEEEE10hipError_tPvRmT1_T2_T3_mmT4_T5_P12ihipStream_tbEUlRKsE_EESL_SP_SQ_mSR_SU_bEUlT_E_NS1_11comp_targetILNS1_3genE10ELNS1_11target_archE1200ELNS1_3gpuE4ELNS1_3repE0EEENS1_30default_config_static_selectorELNS0_4arch9wavefront6targetE1EEEvSO_,comdat
	.protected	_ZN7rocprim17ROCPRIM_400000_NS6detail17trampoline_kernelINS0_14default_configENS1_27upper_bound_config_selectorIslEEZNS1_14transform_implILb0ES3_S5_N6thrust23THRUST_200600_302600_NS17counting_iteratorIsNS8_11use_defaultESA_SA_EEPlZNS1_13binary_searchIS3_S5_PsSB_SC_NS1_21upper_bound_search_opENS8_6detail16wrapped_functionINS0_4lessIvEEbEEEE10hipError_tPvRmT1_T2_T3_mmT4_T5_P12ihipStream_tbEUlRKsE_EESL_SP_SQ_mSR_SU_bEUlT_E_NS1_11comp_targetILNS1_3genE10ELNS1_11target_archE1200ELNS1_3gpuE4ELNS1_3repE0EEENS1_30default_config_static_selectorELNS0_4arch9wavefront6targetE1EEEvSO_ ; -- Begin function _ZN7rocprim17ROCPRIM_400000_NS6detail17trampoline_kernelINS0_14default_configENS1_27upper_bound_config_selectorIslEEZNS1_14transform_implILb0ES3_S5_N6thrust23THRUST_200600_302600_NS17counting_iteratorIsNS8_11use_defaultESA_SA_EEPlZNS1_13binary_searchIS3_S5_PsSB_SC_NS1_21upper_bound_search_opENS8_6detail16wrapped_functionINS0_4lessIvEEbEEEE10hipError_tPvRmT1_T2_T3_mmT4_T5_P12ihipStream_tbEUlRKsE_EESL_SP_SQ_mSR_SU_bEUlT_E_NS1_11comp_targetILNS1_3genE10ELNS1_11target_archE1200ELNS1_3gpuE4ELNS1_3repE0EEENS1_30default_config_static_selectorELNS0_4arch9wavefront6targetE1EEEvSO_
	.globl	_ZN7rocprim17ROCPRIM_400000_NS6detail17trampoline_kernelINS0_14default_configENS1_27upper_bound_config_selectorIslEEZNS1_14transform_implILb0ES3_S5_N6thrust23THRUST_200600_302600_NS17counting_iteratorIsNS8_11use_defaultESA_SA_EEPlZNS1_13binary_searchIS3_S5_PsSB_SC_NS1_21upper_bound_search_opENS8_6detail16wrapped_functionINS0_4lessIvEEbEEEE10hipError_tPvRmT1_T2_T3_mmT4_T5_P12ihipStream_tbEUlRKsE_EESL_SP_SQ_mSR_SU_bEUlT_E_NS1_11comp_targetILNS1_3genE10ELNS1_11target_archE1200ELNS1_3gpuE4ELNS1_3repE0EEENS1_30default_config_static_selectorELNS0_4arch9wavefront6targetE1EEEvSO_
	.p2align	8
	.type	_ZN7rocprim17ROCPRIM_400000_NS6detail17trampoline_kernelINS0_14default_configENS1_27upper_bound_config_selectorIslEEZNS1_14transform_implILb0ES3_S5_N6thrust23THRUST_200600_302600_NS17counting_iteratorIsNS8_11use_defaultESA_SA_EEPlZNS1_13binary_searchIS3_S5_PsSB_SC_NS1_21upper_bound_search_opENS8_6detail16wrapped_functionINS0_4lessIvEEbEEEE10hipError_tPvRmT1_T2_T3_mmT4_T5_P12ihipStream_tbEUlRKsE_EESL_SP_SQ_mSR_SU_bEUlT_E_NS1_11comp_targetILNS1_3genE10ELNS1_11target_archE1200ELNS1_3gpuE4ELNS1_3repE0EEENS1_30default_config_static_selectorELNS0_4arch9wavefront6targetE1EEEvSO_,@function
_ZN7rocprim17ROCPRIM_400000_NS6detail17trampoline_kernelINS0_14default_configENS1_27upper_bound_config_selectorIslEEZNS1_14transform_implILb0ES3_S5_N6thrust23THRUST_200600_302600_NS17counting_iteratorIsNS8_11use_defaultESA_SA_EEPlZNS1_13binary_searchIS3_S5_PsSB_SC_NS1_21upper_bound_search_opENS8_6detail16wrapped_functionINS0_4lessIvEEbEEEE10hipError_tPvRmT1_T2_T3_mmT4_T5_P12ihipStream_tbEUlRKsE_EESL_SP_SQ_mSR_SU_bEUlT_E_NS1_11comp_targetILNS1_3genE10ELNS1_11target_archE1200ELNS1_3gpuE4ELNS1_3repE0EEENS1_30default_config_static_selectorELNS0_4arch9wavefront6targetE1EEEvSO_: ; @_ZN7rocprim17ROCPRIM_400000_NS6detail17trampoline_kernelINS0_14default_configENS1_27upper_bound_config_selectorIslEEZNS1_14transform_implILb0ES3_S5_N6thrust23THRUST_200600_302600_NS17counting_iteratorIsNS8_11use_defaultESA_SA_EEPlZNS1_13binary_searchIS3_S5_PsSB_SC_NS1_21upper_bound_search_opENS8_6detail16wrapped_functionINS0_4lessIvEEbEEEE10hipError_tPvRmT1_T2_T3_mmT4_T5_P12ihipStream_tbEUlRKsE_EESL_SP_SQ_mSR_SU_bEUlT_E_NS1_11comp_targetILNS1_3genE10ELNS1_11target_archE1200ELNS1_3gpuE4ELNS1_3repE0EEENS1_30default_config_static_selectorELNS0_4arch9wavefront6targetE1EEEvSO_
; %bb.0:
	.section	.rodata,"a",@progbits
	.p2align	6, 0x0
	.amdhsa_kernel _ZN7rocprim17ROCPRIM_400000_NS6detail17trampoline_kernelINS0_14default_configENS1_27upper_bound_config_selectorIslEEZNS1_14transform_implILb0ES3_S5_N6thrust23THRUST_200600_302600_NS17counting_iteratorIsNS8_11use_defaultESA_SA_EEPlZNS1_13binary_searchIS3_S5_PsSB_SC_NS1_21upper_bound_search_opENS8_6detail16wrapped_functionINS0_4lessIvEEbEEEE10hipError_tPvRmT1_T2_T3_mmT4_T5_P12ihipStream_tbEUlRKsE_EESL_SP_SQ_mSR_SU_bEUlT_E_NS1_11comp_targetILNS1_3genE10ELNS1_11target_archE1200ELNS1_3gpuE4ELNS1_3repE0EEENS1_30default_config_static_selectorELNS0_4arch9wavefront6targetE1EEEvSO_
		.amdhsa_group_segment_fixed_size 0
		.amdhsa_private_segment_fixed_size 0
		.amdhsa_kernarg_size 56
		.amdhsa_user_sgpr_count 6
		.amdhsa_user_sgpr_private_segment_buffer 1
		.amdhsa_user_sgpr_dispatch_ptr 0
		.amdhsa_user_sgpr_queue_ptr 0
		.amdhsa_user_sgpr_kernarg_segment_ptr 1
		.amdhsa_user_sgpr_dispatch_id 0
		.amdhsa_user_sgpr_flat_scratch_init 0
		.amdhsa_user_sgpr_kernarg_preload_length 0
		.amdhsa_user_sgpr_kernarg_preload_offset 0
		.amdhsa_user_sgpr_private_segment_size 0
		.amdhsa_uses_dynamic_stack 0
		.amdhsa_system_sgpr_private_segment_wavefront_offset 0
		.amdhsa_system_sgpr_workgroup_id_x 1
		.amdhsa_system_sgpr_workgroup_id_y 0
		.amdhsa_system_sgpr_workgroup_id_z 0
		.amdhsa_system_sgpr_workgroup_info 0
		.amdhsa_system_vgpr_workitem_id 0
		.amdhsa_next_free_vgpr 1
		.amdhsa_next_free_sgpr 0
		.amdhsa_accum_offset 4
		.amdhsa_reserve_vcc 0
		.amdhsa_reserve_flat_scratch 0
		.amdhsa_float_round_mode_32 0
		.amdhsa_float_round_mode_16_64 0
		.amdhsa_float_denorm_mode_32 3
		.amdhsa_float_denorm_mode_16_64 3
		.amdhsa_dx10_clamp 1
		.amdhsa_ieee_mode 1
		.amdhsa_fp16_overflow 0
		.amdhsa_tg_split 0
		.amdhsa_exception_fp_ieee_invalid_op 0
		.amdhsa_exception_fp_denorm_src 0
		.amdhsa_exception_fp_ieee_div_zero 0
		.amdhsa_exception_fp_ieee_overflow 0
		.amdhsa_exception_fp_ieee_underflow 0
		.amdhsa_exception_fp_ieee_inexact 0
		.amdhsa_exception_int_div_zero 0
	.end_amdhsa_kernel
	.section	.text._ZN7rocprim17ROCPRIM_400000_NS6detail17trampoline_kernelINS0_14default_configENS1_27upper_bound_config_selectorIslEEZNS1_14transform_implILb0ES3_S5_N6thrust23THRUST_200600_302600_NS17counting_iteratorIsNS8_11use_defaultESA_SA_EEPlZNS1_13binary_searchIS3_S5_PsSB_SC_NS1_21upper_bound_search_opENS8_6detail16wrapped_functionINS0_4lessIvEEbEEEE10hipError_tPvRmT1_T2_T3_mmT4_T5_P12ihipStream_tbEUlRKsE_EESL_SP_SQ_mSR_SU_bEUlT_E_NS1_11comp_targetILNS1_3genE10ELNS1_11target_archE1200ELNS1_3gpuE4ELNS1_3repE0EEENS1_30default_config_static_selectorELNS0_4arch9wavefront6targetE1EEEvSO_,"axG",@progbits,_ZN7rocprim17ROCPRIM_400000_NS6detail17trampoline_kernelINS0_14default_configENS1_27upper_bound_config_selectorIslEEZNS1_14transform_implILb0ES3_S5_N6thrust23THRUST_200600_302600_NS17counting_iteratorIsNS8_11use_defaultESA_SA_EEPlZNS1_13binary_searchIS3_S5_PsSB_SC_NS1_21upper_bound_search_opENS8_6detail16wrapped_functionINS0_4lessIvEEbEEEE10hipError_tPvRmT1_T2_T3_mmT4_T5_P12ihipStream_tbEUlRKsE_EESL_SP_SQ_mSR_SU_bEUlT_E_NS1_11comp_targetILNS1_3genE10ELNS1_11target_archE1200ELNS1_3gpuE4ELNS1_3repE0EEENS1_30default_config_static_selectorELNS0_4arch9wavefront6targetE1EEEvSO_,comdat
.Lfunc_end165:
	.size	_ZN7rocprim17ROCPRIM_400000_NS6detail17trampoline_kernelINS0_14default_configENS1_27upper_bound_config_selectorIslEEZNS1_14transform_implILb0ES3_S5_N6thrust23THRUST_200600_302600_NS17counting_iteratorIsNS8_11use_defaultESA_SA_EEPlZNS1_13binary_searchIS3_S5_PsSB_SC_NS1_21upper_bound_search_opENS8_6detail16wrapped_functionINS0_4lessIvEEbEEEE10hipError_tPvRmT1_T2_T3_mmT4_T5_P12ihipStream_tbEUlRKsE_EESL_SP_SQ_mSR_SU_bEUlT_E_NS1_11comp_targetILNS1_3genE10ELNS1_11target_archE1200ELNS1_3gpuE4ELNS1_3repE0EEENS1_30default_config_static_selectorELNS0_4arch9wavefront6targetE1EEEvSO_, .Lfunc_end165-_ZN7rocprim17ROCPRIM_400000_NS6detail17trampoline_kernelINS0_14default_configENS1_27upper_bound_config_selectorIslEEZNS1_14transform_implILb0ES3_S5_N6thrust23THRUST_200600_302600_NS17counting_iteratorIsNS8_11use_defaultESA_SA_EEPlZNS1_13binary_searchIS3_S5_PsSB_SC_NS1_21upper_bound_search_opENS8_6detail16wrapped_functionINS0_4lessIvEEbEEEE10hipError_tPvRmT1_T2_T3_mmT4_T5_P12ihipStream_tbEUlRKsE_EESL_SP_SQ_mSR_SU_bEUlT_E_NS1_11comp_targetILNS1_3genE10ELNS1_11target_archE1200ELNS1_3gpuE4ELNS1_3repE0EEENS1_30default_config_static_selectorELNS0_4arch9wavefront6targetE1EEEvSO_
                                        ; -- End function
	.section	.AMDGPU.csdata,"",@progbits
; Kernel info:
; codeLenInByte = 0
; NumSgprs: 4
; NumVgprs: 0
; NumAgprs: 0
; TotalNumVgprs: 0
; ScratchSize: 0
; MemoryBound: 0
; FloatMode: 240
; IeeeMode: 1
; LDSByteSize: 0 bytes/workgroup (compile time only)
; SGPRBlocks: 0
; VGPRBlocks: 0
; NumSGPRsForWavesPerEU: 4
; NumVGPRsForWavesPerEU: 1
; AccumOffset: 4
; Occupancy: 8
; WaveLimiterHint : 0
; COMPUTE_PGM_RSRC2:SCRATCH_EN: 0
; COMPUTE_PGM_RSRC2:USER_SGPR: 6
; COMPUTE_PGM_RSRC2:TRAP_HANDLER: 0
; COMPUTE_PGM_RSRC2:TGID_X_EN: 1
; COMPUTE_PGM_RSRC2:TGID_Y_EN: 0
; COMPUTE_PGM_RSRC2:TGID_Z_EN: 0
; COMPUTE_PGM_RSRC2:TIDIG_COMP_CNT: 0
; COMPUTE_PGM_RSRC3_GFX90A:ACCUM_OFFSET: 0
; COMPUTE_PGM_RSRC3_GFX90A:TG_SPLIT: 0
	.section	.text._ZN7rocprim17ROCPRIM_400000_NS6detail17trampoline_kernelINS0_14default_configENS1_27upper_bound_config_selectorIslEEZNS1_14transform_implILb0ES3_S5_N6thrust23THRUST_200600_302600_NS17counting_iteratorIsNS8_11use_defaultESA_SA_EEPlZNS1_13binary_searchIS3_S5_PsSB_SC_NS1_21upper_bound_search_opENS8_6detail16wrapped_functionINS0_4lessIvEEbEEEE10hipError_tPvRmT1_T2_T3_mmT4_T5_P12ihipStream_tbEUlRKsE_EESL_SP_SQ_mSR_SU_bEUlT_E_NS1_11comp_targetILNS1_3genE9ELNS1_11target_archE1100ELNS1_3gpuE3ELNS1_3repE0EEENS1_30default_config_static_selectorELNS0_4arch9wavefront6targetE1EEEvSO_,"axG",@progbits,_ZN7rocprim17ROCPRIM_400000_NS6detail17trampoline_kernelINS0_14default_configENS1_27upper_bound_config_selectorIslEEZNS1_14transform_implILb0ES3_S5_N6thrust23THRUST_200600_302600_NS17counting_iteratorIsNS8_11use_defaultESA_SA_EEPlZNS1_13binary_searchIS3_S5_PsSB_SC_NS1_21upper_bound_search_opENS8_6detail16wrapped_functionINS0_4lessIvEEbEEEE10hipError_tPvRmT1_T2_T3_mmT4_T5_P12ihipStream_tbEUlRKsE_EESL_SP_SQ_mSR_SU_bEUlT_E_NS1_11comp_targetILNS1_3genE9ELNS1_11target_archE1100ELNS1_3gpuE3ELNS1_3repE0EEENS1_30default_config_static_selectorELNS0_4arch9wavefront6targetE1EEEvSO_,comdat
	.protected	_ZN7rocprim17ROCPRIM_400000_NS6detail17trampoline_kernelINS0_14default_configENS1_27upper_bound_config_selectorIslEEZNS1_14transform_implILb0ES3_S5_N6thrust23THRUST_200600_302600_NS17counting_iteratorIsNS8_11use_defaultESA_SA_EEPlZNS1_13binary_searchIS3_S5_PsSB_SC_NS1_21upper_bound_search_opENS8_6detail16wrapped_functionINS0_4lessIvEEbEEEE10hipError_tPvRmT1_T2_T3_mmT4_T5_P12ihipStream_tbEUlRKsE_EESL_SP_SQ_mSR_SU_bEUlT_E_NS1_11comp_targetILNS1_3genE9ELNS1_11target_archE1100ELNS1_3gpuE3ELNS1_3repE0EEENS1_30default_config_static_selectorELNS0_4arch9wavefront6targetE1EEEvSO_ ; -- Begin function _ZN7rocprim17ROCPRIM_400000_NS6detail17trampoline_kernelINS0_14default_configENS1_27upper_bound_config_selectorIslEEZNS1_14transform_implILb0ES3_S5_N6thrust23THRUST_200600_302600_NS17counting_iteratorIsNS8_11use_defaultESA_SA_EEPlZNS1_13binary_searchIS3_S5_PsSB_SC_NS1_21upper_bound_search_opENS8_6detail16wrapped_functionINS0_4lessIvEEbEEEE10hipError_tPvRmT1_T2_T3_mmT4_T5_P12ihipStream_tbEUlRKsE_EESL_SP_SQ_mSR_SU_bEUlT_E_NS1_11comp_targetILNS1_3genE9ELNS1_11target_archE1100ELNS1_3gpuE3ELNS1_3repE0EEENS1_30default_config_static_selectorELNS0_4arch9wavefront6targetE1EEEvSO_
	.globl	_ZN7rocprim17ROCPRIM_400000_NS6detail17trampoline_kernelINS0_14default_configENS1_27upper_bound_config_selectorIslEEZNS1_14transform_implILb0ES3_S5_N6thrust23THRUST_200600_302600_NS17counting_iteratorIsNS8_11use_defaultESA_SA_EEPlZNS1_13binary_searchIS3_S5_PsSB_SC_NS1_21upper_bound_search_opENS8_6detail16wrapped_functionINS0_4lessIvEEbEEEE10hipError_tPvRmT1_T2_T3_mmT4_T5_P12ihipStream_tbEUlRKsE_EESL_SP_SQ_mSR_SU_bEUlT_E_NS1_11comp_targetILNS1_3genE9ELNS1_11target_archE1100ELNS1_3gpuE3ELNS1_3repE0EEENS1_30default_config_static_selectorELNS0_4arch9wavefront6targetE1EEEvSO_
	.p2align	8
	.type	_ZN7rocprim17ROCPRIM_400000_NS6detail17trampoline_kernelINS0_14default_configENS1_27upper_bound_config_selectorIslEEZNS1_14transform_implILb0ES3_S5_N6thrust23THRUST_200600_302600_NS17counting_iteratorIsNS8_11use_defaultESA_SA_EEPlZNS1_13binary_searchIS3_S5_PsSB_SC_NS1_21upper_bound_search_opENS8_6detail16wrapped_functionINS0_4lessIvEEbEEEE10hipError_tPvRmT1_T2_T3_mmT4_T5_P12ihipStream_tbEUlRKsE_EESL_SP_SQ_mSR_SU_bEUlT_E_NS1_11comp_targetILNS1_3genE9ELNS1_11target_archE1100ELNS1_3gpuE3ELNS1_3repE0EEENS1_30default_config_static_selectorELNS0_4arch9wavefront6targetE1EEEvSO_,@function
_ZN7rocprim17ROCPRIM_400000_NS6detail17trampoline_kernelINS0_14default_configENS1_27upper_bound_config_selectorIslEEZNS1_14transform_implILb0ES3_S5_N6thrust23THRUST_200600_302600_NS17counting_iteratorIsNS8_11use_defaultESA_SA_EEPlZNS1_13binary_searchIS3_S5_PsSB_SC_NS1_21upper_bound_search_opENS8_6detail16wrapped_functionINS0_4lessIvEEbEEEE10hipError_tPvRmT1_T2_T3_mmT4_T5_P12ihipStream_tbEUlRKsE_EESL_SP_SQ_mSR_SU_bEUlT_E_NS1_11comp_targetILNS1_3genE9ELNS1_11target_archE1100ELNS1_3gpuE3ELNS1_3repE0EEENS1_30default_config_static_selectorELNS0_4arch9wavefront6targetE1EEEvSO_: ; @_ZN7rocprim17ROCPRIM_400000_NS6detail17trampoline_kernelINS0_14default_configENS1_27upper_bound_config_selectorIslEEZNS1_14transform_implILb0ES3_S5_N6thrust23THRUST_200600_302600_NS17counting_iteratorIsNS8_11use_defaultESA_SA_EEPlZNS1_13binary_searchIS3_S5_PsSB_SC_NS1_21upper_bound_search_opENS8_6detail16wrapped_functionINS0_4lessIvEEbEEEE10hipError_tPvRmT1_T2_T3_mmT4_T5_P12ihipStream_tbEUlRKsE_EESL_SP_SQ_mSR_SU_bEUlT_E_NS1_11comp_targetILNS1_3genE9ELNS1_11target_archE1100ELNS1_3gpuE3ELNS1_3repE0EEENS1_30default_config_static_selectorELNS0_4arch9wavefront6targetE1EEEvSO_
; %bb.0:
	.section	.rodata,"a",@progbits
	.p2align	6, 0x0
	.amdhsa_kernel _ZN7rocprim17ROCPRIM_400000_NS6detail17trampoline_kernelINS0_14default_configENS1_27upper_bound_config_selectorIslEEZNS1_14transform_implILb0ES3_S5_N6thrust23THRUST_200600_302600_NS17counting_iteratorIsNS8_11use_defaultESA_SA_EEPlZNS1_13binary_searchIS3_S5_PsSB_SC_NS1_21upper_bound_search_opENS8_6detail16wrapped_functionINS0_4lessIvEEbEEEE10hipError_tPvRmT1_T2_T3_mmT4_T5_P12ihipStream_tbEUlRKsE_EESL_SP_SQ_mSR_SU_bEUlT_E_NS1_11comp_targetILNS1_3genE9ELNS1_11target_archE1100ELNS1_3gpuE3ELNS1_3repE0EEENS1_30default_config_static_selectorELNS0_4arch9wavefront6targetE1EEEvSO_
		.amdhsa_group_segment_fixed_size 0
		.amdhsa_private_segment_fixed_size 0
		.amdhsa_kernarg_size 56
		.amdhsa_user_sgpr_count 6
		.amdhsa_user_sgpr_private_segment_buffer 1
		.amdhsa_user_sgpr_dispatch_ptr 0
		.amdhsa_user_sgpr_queue_ptr 0
		.amdhsa_user_sgpr_kernarg_segment_ptr 1
		.amdhsa_user_sgpr_dispatch_id 0
		.amdhsa_user_sgpr_flat_scratch_init 0
		.amdhsa_user_sgpr_kernarg_preload_length 0
		.amdhsa_user_sgpr_kernarg_preload_offset 0
		.amdhsa_user_sgpr_private_segment_size 0
		.amdhsa_uses_dynamic_stack 0
		.amdhsa_system_sgpr_private_segment_wavefront_offset 0
		.amdhsa_system_sgpr_workgroup_id_x 1
		.amdhsa_system_sgpr_workgroup_id_y 0
		.amdhsa_system_sgpr_workgroup_id_z 0
		.amdhsa_system_sgpr_workgroup_info 0
		.amdhsa_system_vgpr_workitem_id 0
		.amdhsa_next_free_vgpr 1
		.amdhsa_next_free_sgpr 0
		.amdhsa_accum_offset 4
		.amdhsa_reserve_vcc 0
		.amdhsa_reserve_flat_scratch 0
		.amdhsa_float_round_mode_32 0
		.amdhsa_float_round_mode_16_64 0
		.amdhsa_float_denorm_mode_32 3
		.amdhsa_float_denorm_mode_16_64 3
		.amdhsa_dx10_clamp 1
		.amdhsa_ieee_mode 1
		.amdhsa_fp16_overflow 0
		.amdhsa_tg_split 0
		.amdhsa_exception_fp_ieee_invalid_op 0
		.amdhsa_exception_fp_denorm_src 0
		.amdhsa_exception_fp_ieee_div_zero 0
		.amdhsa_exception_fp_ieee_overflow 0
		.amdhsa_exception_fp_ieee_underflow 0
		.amdhsa_exception_fp_ieee_inexact 0
		.amdhsa_exception_int_div_zero 0
	.end_amdhsa_kernel
	.section	.text._ZN7rocprim17ROCPRIM_400000_NS6detail17trampoline_kernelINS0_14default_configENS1_27upper_bound_config_selectorIslEEZNS1_14transform_implILb0ES3_S5_N6thrust23THRUST_200600_302600_NS17counting_iteratorIsNS8_11use_defaultESA_SA_EEPlZNS1_13binary_searchIS3_S5_PsSB_SC_NS1_21upper_bound_search_opENS8_6detail16wrapped_functionINS0_4lessIvEEbEEEE10hipError_tPvRmT1_T2_T3_mmT4_T5_P12ihipStream_tbEUlRKsE_EESL_SP_SQ_mSR_SU_bEUlT_E_NS1_11comp_targetILNS1_3genE9ELNS1_11target_archE1100ELNS1_3gpuE3ELNS1_3repE0EEENS1_30default_config_static_selectorELNS0_4arch9wavefront6targetE1EEEvSO_,"axG",@progbits,_ZN7rocprim17ROCPRIM_400000_NS6detail17trampoline_kernelINS0_14default_configENS1_27upper_bound_config_selectorIslEEZNS1_14transform_implILb0ES3_S5_N6thrust23THRUST_200600_302600_NS17counting_iteratorIsNS8_11use_defaultESA_SA_EEPlZNS1_13binary_searchIS3_S5_PsSB_SC_NS1_21upper_bound_search_opENS8_6detail16wrapped_functionINS0_4lessIvEEbEEEE10hipError_tPvRmT1_T2_T3_mmT4_T5_P12ihipStream_tbEUlRKsE_EESL_SP_SQ_mSR_SU_bEUlT_E_NS1_11comp_targetILNS1_3genE9ELNS1_11target_archE1100ELNS1_3gpuE3ELNS1_3repE0EEENS1_30default_config_static_selectorELNS0_4arch9wavefront6targetE1EEEvSO_,comdat
.Lfunc_end166:
	.size	_ZN7rocprim17ROCPRIM_400000_NS6detail17trampoline_kernelINS0_14default_configENS1_27upper_bound_config_selectorIslEEZNS1_14transform_implILb0ES3_S5_N6thrust23THRUST_200600_302600_NS17counting_iteratorIsNS8_11use_defaultESA_SA_EEPlZNS1_13binary_searchIS3_S5_PsSB_SC_NS1_21upper_bound_search_opENS8_6detail16wrapped_functionINS0_4lessIvEEbEEEE10hipError_tPvRmT1_T2_T3_mmT4_T5_P12ihipStream_tbEUlRKsE_EESL_SP_SQ_mSR_SU_bEUlT_E_NS1_11comp_targetILNS1_3genE9ELNS1_11target_archE1100ELNS1_3gpuE3ELNS1_3repE0EEENS1_30default_config_static_selectorELNS0_4arch9wavefront6targetE1EEEvSO_, .Lfunc_end166-_ZN7rocprim17ROCPRIM_400000_NS6detail17trampoline_kernelINS0_14default_configENS1_27upper_bound_config_selectorIslEEZNS1_14transform_implILb0ES3_S5_N6thrust23THRUST_200600_302600_NS17counting_iteratorIsNS8_11use_defaultESA_SA_EEPlZNS1_13binary_searchIS3_S5_PsSB_SC_NS1_21upper_bound_search_opENS8_6detail16wrapped_functionINS0_4lessIvEEbEEEE10hipError_tPvRmT1_T2_T3_mmT4_T5_P12ihipStream_tbEUlRKsE_EESL_SP_SQ_mSR_SU_bEUlT_E_NS1_11comp_targetILNS1_3genE9ELNS1_11target_archE1100ELNS1_3gpuE3ELNS1_3repE0EEENS1_30default_config_static_selectorELNS0_4arch9wavefront6targetE1EEEvSO_
                                        ; -- End function
	.section	.AMDGPU.csdata,"",@progbits
; Kernel info:
; codeLenInByte = 0
; NumSgprs: 4
; NumVgprs: 0
; NumAgprs: 0
; TotalNumVgprs: 0
; ScratchSize: 0
; MemoryBound: 0
; FloatMode: 240
; IeeeMode: 1
; LDSByteSize: 0 bytes/workgroup (compile time only)
; SGPRBlocks: 0
; VGPRBlocks: 0
; NumSGPRsForWavesPerEU: 4
; NumVGPRsForWavesPerEU: 1
; AccumOffset: 4
; Occupancy: 8
; WaveLimiterHint : 0
; COMPUTE_PGM_RSRC2:SCRATCH_EN: 0
; COMPUTE_PGM_RSRC2:USER_SGPR: 6
; COMPUTE_PGM_RSRC2:TRAP_HANDLER: 0
; COMPUTE_PGM_RSRC2:TGID_X_EN: 1
; COMPUTE_PGM_RSRC2:TGID_Y_EN: 0
; COMPUTE_PGM_RSRC2:TGID_Z_EN: 0
; COMPUTE_PGM_RSRC2:TIDIG_COMP_CNT: 0
; COMPUTE_PGM_RSRC3_GFX90A:ACCUM_OFFSET: 0
; COMPUTE_PGM_RSRC3_GFX90A:TG_SPLIT: 0
	.section	.text._ZN7rocprim17ROCPRIM_400000_NS6detail17trampoline_kernelINS0_14default_configENS1_27upper_bound_config_selectorIslEEZNS1_14transform_implILb0ES3_S5_N6thrust23THRUST_200600_302600_NS17counting_iteratorIsNS8_11use_defaultESA_SA_EEPlZNS1_13binary_searchIS3_S5_PsSB_SC_NS1_21upper_bound_search_opENS8_6detail16wrapped_functionINS0_4lessIvEEbEEEE10hipError_tPvRmT1_T2_T3_mmT4_T5_P12ihipStream_tbEUlRKsE_EESL_SP_SQ_mSR_SU_bEUlT_E_NS1_11comp_targetILNS1_3genE8ELNS1_11target_archE1030ELNS1_3gpuE2ELNS1_3repE0EEENS1_30default_config_static_selectorELNS0_4arch9wavefront6targetE1EEEvSO_,"axG",@progbits,_ZN7rocprim17ROCPRIM_400000_NS6detail17trampoline_kernelINS0_14default_configENS1_27upper_bound_config_selectorIslEEZNS1_14transform_implILb0ES3_S5_N6thrust23THRUST_200600_302600_NS17counting_iteratorIsNS8_11use_defaultESA_SA_EEPlZNS1_13binary_searchIS3_S5_PsSB_SC_NS1_21upper_bound_search_opENS8_6detail16wrapped_functionINS0_4lessIvEEbEEEE10hipError_tPvRmT1_T2_T3_mmT4_T5_P12ihipStream_tbEUlRKsE_EESL_SP_SQ_mSR_SU_bEUlT_E_NS1_11comp_targetILNS1_3genE8ELNS1_11target_archE1030ELNS1_3gpuE2ELNS1_3repE0EEENS1_30default_config_static_selectorELNS0_4arch9wavefront6targetE1EEEvSO_,comdat
	.protected	_ZN7rocprim17ROCPRIM_400000_NS6detail17trampoline_kernelINS0_14default_configENS1_27upper_bound_config_selectorIslEEZNS1_14transform_implILb0ES3_S5_N6thrust23THRUST_200600_302600_NS17counting_iteratorIsNS8_11use_defaultESA_SA_EEPlZNS1_13binary_searchIS3_S5_PsSB_SC_NS1_21upper_bound_search_opENS8_6detail16wrapped_functionINS0_4lessIvEEbEEEE10hipError_tPvRmT1_T2_T3_mmT4_T5_P12ihipStream_tbEUlRKsE_EESL_SP_SQ_mSR_SU_bEUlT_E_NS1_11comp_targetILNS1_3genE8ELNS1_11target_archE1030ELNS1_3gpuE2ELNS1_3repE0EEENS1_30default_config_static_selectorELNS0_4arch9wavefront6targetE1EEEvSO_ ; -- Begin function _ZN7rocprim17ROCPRIM_400000_NS6detail17trampoline_kernelINS0_14default_configENS1_27upper_bound_config_selectorIslEEZNS1_14transform_implILb0ES3_S5_N6thrust23THRUST_200600_302600_NS17counting_iteratorIsNS8_11use_defaultESA_SA_EEPlZNS1_13binary_searchIS3_S5_PsSB_SC_NS1_21upper_bound_search_opENS8_6detail16wrapped_functionINS0_4lessIvEEbEEEE10hipError_tPvRmT1_T2_T3_mmT4_T5_P12ihipStream_tbEUlRKsE_EESL_SP_SQ_mSR_SU_bEUlT_E_NS1_11comp_targetILNS1_3genE8ELNS1_11target_archE1030ELNS1_3gpuE2ELNS1_3repE0EEENS1_30default_config_static_selectorELNS0_4arch9wavefront6targetE1EEEvSO_
	.globl	_ZN7rocprim17ROCPRIM_400000_NS6detail17trampoline_kernelINS0_14default_configENS1_27upper_bound_config_selectorIslEEZNS1_14transform_implILb0ES3_S5_N6thrust23THRUST_200600_302600_NS17counting_iteratorIsNS8_11use_defaultESA_SA_EEPlZNS1_13binary_searchIS3_S5_PsSB_SC_NS1_21upper_bound_search_opENS8_6detail16wrapped_functionINS0_4lessIvEEbEEEE10hipError_tPvRmT1_T2_T3_mmT4_T5_P12ihipStream_tbEUlRKsE_EESL_SP_SQ_mSR_SU_bEUlT_E_NS1_11comp_targetILNS1_3genE8ELNS1_11target_archE1030ELNS1_3gpuE2ELNS1_3repE0EEENS1_30default_config_static_selectorELNS0_4arch9wavefront6targetE1EEEvSO_
	.p2align	8
	.type	_ZN7rocprim17ROCPRIM_400000_NS6detail17trampoline_kernelINS0_14default_configENS1_27upper_bound_config_selectorIslEEZNS1_14transform_implILb0ES3_S5_N6thrust23THRUST_200600_302600_NS17counting_iteratorIsNS8_11use_defaultESA_SA_EEPlZNS1_13binary_searchIS3_S5_PsSB_SC_NS1_21upper_bound_search_opENS8_6detail16wrapped_functionINS0_4lessIvEEbEEEE10hipError_tPvRmT1_T2_T3_mmT4_T5_P12ihipStream_tbEUlRKsE_EESL_SP_SQ_mSR_SU_bEUlT_E_NS1_11comp_targetILNS1_3genE8ELNS1_11target_archE1030ELNS1_3gpuE2ELNS1_3repE0EEENS1_30default_config_static_selectorELNS0_4arch9wavefront6targetE1EEEvSO_,@function
_ZN7rocprim17ROCPRIM_400000_NS6detail17trampoline_kernelINS0_14default_configENS1_27upper_bound_config_selectorIslEEZNS1_14transform_implILb0ES3_S5_N6thrust23THRUST_200600_302600_NS17counting_iteratorIsNS8_11use_defaultESA_SA_EEPlZNS1_13binary_searchIS3_S5_PsSB_SC_NS1_21upper_bound_search_opENS8_6detail16wrapped_functionINS0_4lessIvEEbEEEE10hipError_tPvRmT1_T2_T3_mmT4_T5_P12ihipStream_tbEUlRKsE_EESL_SP_SQ_mSR_SU_bEUlT_E_NS1_11comp_targetILNS1_3genE8ELNS1_11target_archE1030ELNS1_3gpuE2ELNS1_3repE0EEENS1_30default_config_static_selectorELNS0_4arch9wavefront6targetE1EEEvSO_: ; @_ZN7rocprim17ROCPRIM_400000_NS6detail17trampoline_kernelINS0_14default_configENS1_27upper_bound_config_selectorIslEEZNS1_14transform_implILb0ES3_S5_N6thrust23THRUST_200600_302600_NS17counting_iteratorIsNS8_11use_defaultESA_SA_EEPlZNS1_13binary_searchIS3_S5_PsSB_SC_NS1_21upper_bound_search_opENS8_6detail16wrapped_functionINS0_4lessIvEEbEEEE10hipError_tPvRmT1_T2_T3_mmT4_T5_P12ihipStream_tbEUlRKsE_EESL_SP_SQ_mSR_SU_bEUlT_E_NS1_11comp_targetILNS1_3genE8ELNS1_11target_archE1030ELNS1_3gpuE2ELNS1_3repE0EEENS1_30default_config_static_selectorELNS0_4arch9wavefront6targetE1EEEvSO_
; %bb.0:
	.section	.rodata,"a",@progbits
	.p2align	6, 0x0
	.amdhsa_kernel _ZN7rocprim17ROCPRIM_400000_NS6detail17trampoline_kernelINS0_14default_configENS1_27upper_bound_config_selectorIslEEZNS1_14transform_implILb0ES3_S5_N6thrust23THRUST_200600_302600_NS17counting_iteratorIsNS8_11use_defaultESA_SA_EEPlZNS1_13binary_searchIS3_S5_PsSB_SC_NS1_21upper_bound_search_opENS8_6detail16wrapped_functionINS0_4lessIvEEbEEEE10hipError_tPvRmT1_T2_T3_mmT4_T5_P12ihipStream_tbEUlRKsE_EESL_SP_SQ_mSR_SU_bEUlT_E_NS1_11comp_targetILNS1_3genE8ELNS1_11target_archE1030ELNS1_3gpuE2ELNS1_3repE0EEENS1_30default_config_static_selectorELNS0_4arch9wavefront6targetE1EEEvSO_
		.amdhsa_group_segment_fixed_size 0
		.amdhsa_private_segment_fixed_size 0
		.amdhsa_kernarg_size 56
		.amdhsa_user_sgpr_count 6
		.amdhsa_user_sgpr_private_segment_buffer 1
		.amdhsa_user_sgpr_dispatch_ptr 0
		.amdhsa_user_sgpr_queue_ptr 0
		.amdhsa_user_sgpr_kernarg_segment_ptr 1
		.amdhsa_user_sgpr_dispatch_id 0
		.amdhsa_user_sgpr_flat_scratch_init 0
		.amdhsa_user_sgpr_kernarg_preload_length 0
		.amdhsa_user_sgpr_kernarg_preload_offset 0
		.amdhsa_user_sgpr_private_segment_size 0
		.amdhsa_uses_dynamic_stack 0
		.amdhsa_system_sgpr_private_segment_wavefront_offset 0
		.amdhsa_system_sgpr_workgroup_id_x 1
		.amdhsa_system_sgpr_workgroup_id_y 0
		.amdhsa_system_sgpr_workgroup_id_z 0
		.amdhsa_system_sgpr_workgroup_info 0
		.amdhsa_system_vgpr_workitem_id 0
		.amdhsa_next_free_vgpr 1
		.amdhsa_next_free_sgpr 0
		.amdhsa_accum_offset 4
		.amdhsa_reserve_vcc 0
		.amdhsa_reserve_flat_scratch 0
		.amdhsa_float_round_mode_32 0
		.amdhsa_float_round_mode_16_64 0
		.amdhsa_float_denorm_mode_32 3
		.amdhsa_float_denorm_mode_16_64 3
		.amdhsa_dx10_clamp 1
		.amdhsa_ieee_mode 1
		.amdhsa_fp16_overflow 0
		.amdhsa_tg_split 0
		.amdhsa_exception_fp_ieee_invalid_op 0
		.amdhsa_exception_fp_denorm_src 0
		.amdhsa_exception_fp_ieee_div_zero 0
		.amdhsa_exception_fp_ieee_overflow 0
		.amdhsa_exception_fp_ieee_underflow 0
		.amdhsa_exception_fp_ieee_inexact 0
		.amdhsa_exception_int_div_zero 0
	.end_amdhsa_kernel
	.section	.text._ZN7rocprim17ROCPRIM_400000_NS6detail17trampoline_kernelINS0_14default_configENS1_27upper_bound_config_selectorIslEEZNS1_14transform_implILb0ES3_S5_N6thrust23THRUST_200600_302600_NS17counting_iteratorIsNS8_11use_defaultESA_SA_EEPlZNS1_13binary_searchIS3_S5_PsSB_SC_NS1_21upper_bound_search_opENS8_6detail16wrapped_functionINS0_4lessIvEEbEEEE10hipError_tPvRmT1_T2_T3_mmT4_T5_P12ihipStream_tbEUlRKsE_EESL_SP_SQ_mSR_SU_bEUlT_E_NS1_11comp_targetILNS1_3genE8ELNS1_11target_archE1030ELNS1_3gpuE2ELNS1_3repE0EEENS1_30default_config_static_selectorELNS0_4arch9wavefront6targetE1EEEvSO_,"axG",@progbits,_ZN7rocprim17ROCPRIM_400000_NS6detail17trampoline_kernelINS0_14default_configENS1_27upper_bound_config_selectorIslEEZNS1_14transform_implILb0ES3_S5_N6thrust23THRUST_200600_302600_NS17counting_iteratorIsNS8_11use_defaultESA_SA_EEPlZNS1_13binary_searchIS3_S5_PsSB_SC_NS1_21upper_bound_search_opENS8_6detail16wrapped_functionINS0_4lessIvEEbEEEE10hipError_tPvRmT1_T2_T3_mmT4_T5_P12ihipStream_tbEUlRKsE_EESL_SP_SQ_mSR_SU_bEUlT_E_NS1_11comp_targetILNS1_3genE8ELNS1_11target_archE1030ELNS1_3gpuE2ELNS1_3repE0EEENS1_30default_config_static_selectorELNS0_4arch9wavefront6targetE1EEEvSO_,comdat
.Lfunc_end167:
	.size	_ZN7rocprim17ROCPRIM_400000_NS6detail17trampoline_kernelINS0_14default_configENS1_27upper_bound_config_selectorIslEEZNS1_14transform_implILb0ES3_S5_N6thrust23THRUST_200600_302600_NS17counting_iteratorIsNS8_11use_defaultESA_SA_EEPlZNS1_13binary_searchIS3_S5_PsSB_SC_NS1_21upper_bound_search_opENS8_6detail16wrapped_functionINS0_4lessIvEEbEEEE10hipError_tPvRmT1_T2_T3_mmT4_T5_P12ihipStream_tbEUlRKsE_EESL_SP_SQ_mSR_SU_bEUlT_E_NS1_11comp_targetILNS1_3genE8ELNS1_11target_archE1030ELNS1_3gpuE2ELNS1_3repE0EEENS1_30default_config_static_selectorELNS0_4arch9wavefront6targetE1EEEvSO_, .Lfunc_end167-_ZN7rocprim17ROCPRIM_400000_NS6detail17trampoline_kernelINS0_14default_configENS1_27upper_bound_config_selectorIslEEZNS1_14transform_implILb0ES3_S5_N6thrust23THRUST_200600_302600_NS17counting_iteratorIsNS8_11use_defaultESA_SA_EEPlZNS1_13binary_searchIS3_S5_PsSB_SC_NS1_21upper_bound_search_opENS8_6detail16wrapped_functionINS0_4lessIvEEbEEEE10hipError_tPvRmT1_T2_T3_mmT4_T5_P12ihipStream_tbEUlRKsE_EESL_SP_SQ_mSR_SU_bEUlT_E_NS1_11comp_targetILNS1_3genE8ELNS1_11target_archE1030ELNS1_3gpuE2ELNS1_3repE0EEENS1_30default_config_static_selectorELNS0_4arch9wavefront6targetE1EEEvSO_
                                        ; -- End function
	.section	.AMDGPU.csdata,"",@progbits
; Kernel info:
; codeLenInByte = 0
; NumSgprs: 4
; NumVgprs: 0
; NumAgprs: 0
; TotalNumVgprs: 0
; ScratchSize: 0
; MemoryBound: 0
; FloatMode: 240
; IeeeMode: 1
; LDSByteSize: 0 bytes/workgroup (compile time only)
; SGPRBlocks: 0
; VGPRBlocks: 0
; NumSGPRsForWavesPerEU: 4
; NumVGPRsForWavesPerEU: 1
; AccumOffset: 4
; Occupancy: 8
; WaveLimiterHint : 0
; COMPUTE_PGM_RSRC2:SCRATCH_EN: 0
; COMPUTE_PGM_RSRC2:USER_SGPR: 6
; COMPUTE_PGM_RSRC2:TRAP_HANDLER: 0
; COMPUTE_PGM_RSRC2:TGID_X_EN: 1
; COMPUTE_PGM_RSRC2:TGID_Y_EN: 0
; COMPUTE_PGM_RSRC2:TGID_Z_EN: 0
; COMPUTE_PGM_RSRC2:TIDIG_COMP_CNT: 0
; COMPUTE_PGM_RSRC3_GFX90A:ACCUM_OFFSET: 0
; COMPUTE_PGM_RSRC3_GFX90A:TG_SPLIT: 0
	.section	.text._ZN6thrust23THRUST_200600_302600_NS11hip_rocprim14__parallel_for6kernelILj256ENS1_20__uninitialized_fill7functorINS0_10device_ptrIbEEbEEmLj1EEEvT0_T1_SA_,"axG",@progbits,_ZN6thrust23THRUST_200600_302600_NS11hip_rocprim14__parallel_for6kernelILj256ENS1_20__uninitialized_fill7functorINS0_10device_ptrIbEEbEEmLj1EEEvT0_T1_SA_,comdat
	.protected	_ZN6thrust23THRUST_200600_302600_NS11hip_rocprim14__parallel_for6kernelILj256ENS1_20__uninitialized_fill7functorINS0_10device_ptrIbEEbEEmLj1EEEvT0_T1_SA_ ; -- Begin function _ZN6thrust23THRUST_200600_302600_NS11hip_rocprim14__parallel_for6kernelILj256ENS1_20__uninitialized_fill7functorINS0_10device_ptrIbEEbEEmLj1EEEvT0_T1_SA_
	.globl	_ZN6thrust23THRUST_200600_302600_NS11hip_rocprim14__parallel_for6kernelILj256ENS1_20__uninitialized_fill7functorINS0_10device_ptrIbEEbEEmLj1EEEvT0_T1_SA_
	.p2align	8
	.type	_ZN6thrust23THRUST_200600_302600_NS11hip_rocprim14__parallel_for6kernelILj256ENS1_20__uninitialized_fill7functorINS0_10device_ptrIbEEbEEmLj1EEEvT0_T1_SA_,@function
_ZN6thrust23THRUST_200600_302600_NS11hip_rocprim14__parallel_for6kernelILj256ENS1_20__uninitialized_fill7functorINS0_10device_ptrIbEEbEEmLj1EEEvT0_T1_SA_: ; @_ZN6thrust23THRUST_200600_302600_NS11hip_rocprim14__parallel_for6kernelILj256ENS1_20__uninitialized_fill7functorINS0_10device_ptrIbEEbEEmLj1EEEvT0_T1_SA_
; %bb.0:
	s_load_dwordx4 s[0:3], s[4:5], 0x10
	s_lshl_b32 s6, s6, 8
	v_mov_b32_e32 v2, 0x100
	v_mov_b32_e32 v3, 0
	s_waitcnt lgkmcnt(0)
	s_add_u32 s6, s6, s2
	s_addc_u32 s7, 0, s3
	s_sub_u32 s0, s0, s6
	s_subb_u32 s1, s1, s7
	v_cmp_lt_u64_e32 vcc, s[0:1], v[2:3]
	s_cbranch_vccz .LBB168_2
; %bb.1:
	v_cmp_gt_u32_e32 vcc, s0, v0
	s_and_b64 s[0:1], vcc, exec
	s_cbranch_execz .LBB168_3
	s_branch .LBB168_4
.LBB168_2:
	s_mov_b64 s[0:1], 0
.LBB168_3:
	s_or_b64 s[0:1], s[0:1], exec
.LBB168_4:
	s_and_saveexec_b64 s[2:3], s[0:1]
	s_cbranch_execnz .LBB168_6
; %bb.5:
	s_endpgm
.LBB168_6:
	s_load_dwordx2 s[0:1], s[4:5], 0x0
	s_load_dword s2, s[4:5], 0x8
	s_waitcnt lgkmcnt(0)
	s_add_u32 s0, s0, s6
	s_addc_u32 s1, s1, s7
	v_mov_b32_e32 v1, s1
	v_add_co_u32_e32 v0, vcc, s0, v0
	v_addc_co_u32_e32 v1, vcc, 0, v1, vcc
	v_mov_b32_e32 v2, s2
	flat_store_byte v[0:1], v2
	s_endpgm
	.section	.rodata,"a",@progbits
	.p2align	6, 0x0
	.amdhsa_kernel _ZN6thrust23THRUST_200600_302600_NS11hip_rocprim14__parallel_for6kernelILj256ENS1_20__uninitialized_fill7functorINS0_10device_ptrIbEEbEEmLj1EEEvT0_T1_SA_
		.amdhsa_group_segment_fixed_size 0
		.amdhsa_private_segment_fixed_size 0
		.amdhsa_kernarg_size 32
		.amdhsa_user_sgpr_count 6
		.amdhsa_user_sgpr_private_segment_buffer 1
		.amdhsa_user_sgpr_dispatch_ptr 0
		.amdhsa_user_sgpr_queue_ptr 0
		.amdhsa_user_sgpr_kernarg_segment_ptr 1
		.amdhsa_user_sgpr_dispatch_id 0
		.amdhsa_user_sgpr_flat_scratch_init 0
		.amdhsa_user_sgpr_kernarg_preload_length 0
		.amdhsa_user_sgpr_kernarg_preload_offset 0
		.amdhsa_user_sgpr_private_segment_size 0
		.amdhsa_uses_dynamic_stack 0
		.amdhsa_system_sgpr_private_segment_wavefront_offset 0
		.amdhsa_system_sgpr_workgroup_id_x 1
		.amdhsa_system_sgpr_workgroup_id_y 0
		.amdhsa_system_sgpr_workgroup_id_z 0
		.amdhsa_system_sgpr_workgroup_info 0
		.amdhsa_system_vgpr_workitem_id 0
		.amdhsa_next_free_vgpr 4
		.amdhsa_next_free_sgpr 8
		.amdhsa_accum_offset 4
		.amdhsa_reserve_vcc 1
		.amdhsa_reserve_flat_scratch 0
		.amdhsa_float_round_mode_32 0
		.amdhsa_float_round_mode_16_64 0
		.amdhsa_float_denorm_mode_32 3
		.amdhsa_float_denorm_mode_16_64 3
		.amdhsa_dx10_clamp 1
		.amdhsa_ieee_mode 1
		.amdhsa_fp16_overflow 0
		.amdhsa_tg_split 0
		.amdhsa_exception_fp_ieee_invalid_op 0
		.amdhsa_exception_fp_denorm_src 0
		.amdhsa_exception_fp_ieee_div_zero 0
		.amdhsa_exception_fp_ieee_overflow 0
		.amdhsa_exception_fp_ieee_underflow 0
		.amdhsa_exception_fp_ieee_inexact 0
		.amdhsa_exception_int_div_zero 0
	.end_amdhsa_kernel
	.section	.text._ZN6thrust23THRUST_200600_302600_NS11hip_rocprim14__parallel_for6kernelILj256ENS1_20__uninitialized_fill7functorINS0_10device_ptrIbEEbEEmLj1EEEvT0_T1_SA_,"axG",@progbits,_ZN6thrust23THRUST_200600_302600_NS11hip_rocprim14__parallel_for6kernelILj256ENS1_20__uninitialized_fill7functorINS0_10device_ptrIbEEbEEmLj1EEEvT0_T1_SA_,comdat
.Lfunc_end168:
	.size	_ZN6thrust23THRUST_200600_302600_NS11hip_rocprim14__parallel_for6kernelILj256ENS1_20__uninitialized_fill7functorINS0_10device_ptrIbEEbEEmLj1EEEvT0_T1_SA_, .Lfunc_end168-_ZN6thrust23THRUST_200600_302600_NS11hip_rocprim14__parallel_for6kernelILj256ENS1_20__uninitialized_fill7functorINS0_10device_ptrIbEEbEEmLj1EEEvT0_T1_SA_
                                        ; -- End function
	.section	.AMDGPU.csdata,"",@progbits
; Kernel info:
; codeLenInByte = 144
; NumSgprs: 12
; NumVgprs: 4
; NumAgprs: 0
; TotalNumVgprs: 4
; ScratchSize: 0
; MemoryBound: 0
; FloatMode: 240
; IeeeMode: 1
; LDSByteSize: 0 bytes/workgroup (compile time only)
; SGPRBlocks: 1
; VGPRBlocks: 0
; NumSGPRsForWavesPerEU: 12
; NumVGPRsForWavesPerEU: 4
; AccumOffset: 4
; Occupancy: 8
; WaveLimiterHint : 0
; COMPUTE_PGM_RSRC2:SCRATCH_EN: 0
; COMPUTE_PGM_RSRC2:USER_SGPR: 6
; COMPUTE_PGM_RSRC2:TRAP_HANDLER: 0
; COMPUTE_PGM_RSRC2:TGID_X_EN: 1
; COMPUTE_PGM_RSRC2:TGID_Y_EN: 0
; COMPUTE_PGM_RSRC2:TGID_Z_EN: 0
; COMPUTE_PGM_RSRC2:TIDIG_COMP_CNT: 0
; COMPUTE_PGM_RSRC3_GFX90A:ACCUM_OFFSET: 0
; COMPUTE_PGM_RSRC3_GFX90A:TG_SPLIT: 0
	.section	.text._Z20binary_search_kernelIdEvmPT_Pb,"axG",@progbits,_Z20binary_search_kernelIdEvmPT_Pb,comdat
	.protected	_Z20binary_search_kernelIdEvmPT_Pb ; -- Begin function _Z20binary_search_kernelIdEvmPT_Pb
	.globl	_Z20binary_search_kernelIdEvmPT_Pb
	.p2align	8
	.type	_Z20binary_search_kernelIdEvmPT_Pb,@function
_Z20binary_search_kernelIdEvmPT_Pb:     ; @_Z20binary_search_kernelIdEvmPT_Pb
; %bb.0:
	s_load_dwordx4 s[8:11], s[4:5], 0x0
	s_load_dwordx2 s[2:3], s[4:5], 0x10
	s_mov_b32 s6, 0
	v_pk_mov_b32 v[0:1], 0, 0
	v_mov_b32_e32 v2, 0
	s_waitcnt lgkmcnt(0)
	s_lshl_b64 s[0:1], s[8:9], 3
	s_ashr_i64 s[4:5], s[0:1], 3
	v_cmp_gt_i64_e64 s[0:1], s[4:5], 0
	v_cndmask_b32_e64 v3, 0, 1, s[0:1]
	v_cmp_ne_u32_e64 s[0:1], 1, v3
	s_mov_b32 s7, 0x40240000
	s_movk_i32 s16, 0xffe0
	s_branch .LBB169_2
.LBB169_1:                              ;   in Loop: Header=BB169_2 Depth=1
	v_add_f64 v[0:1], v[0:1], 1.0
	v_add_f64 v[4:5], -v[0:1], s[6:7]
	v_trunc_f64_e32 v[4:5], v[4:5]
	v_ldexp_f64 v[6:7], v[4:5], s16
	v_floor_f64_e32 v[6:7], v[6:7]
	v_fmac_f64_e32 v[4:5], 0xc1f00000, v[6:7]
	v_cndmask_b32_e64 v3, 0, 1, s[14:15]
	v_cvt_u32_f64_e32 v4, v[4:5]
	v_cvt_i32_f64_e32 v5, v[6:7]
	global_store_byte v2, v3, s[2:3]
	s_add_u32 s2, s2, 1
	v_cmp_ne_u64_e32 vcc, 0, v[4:5]
	s_addc_u32 s3, s3, 0
	s_cbranch_vccz .LBB169_7
.LBB169_2:                              ; =>This Loop Header: Depth=1
                                        ;     Child Loop BB169_4 Depth 2
	s_and_b64 vcc, exec, s[0:1]
	s_mov_b64 s[12:13], 0
	s_cbranch_vccnz .LBB169_5
; %bb.3:                                ;   in Loop: Header=BB169_2 Depth=1
	s_mov_b64 s[14:15], s[4:5]
.LBB169_4:                              ;   Parent Loop BB169_2 Depth=1
                                        ; =>  This Inner Loop Header: Depth=2
	s_sub_u32 s17, s14, s12
	s_subb_u32 s19, s15, s13
	s_lshr_b32 s18, s19, 31
	s_add_u32 s18, s17, s18
	s_addc_u32 s19, s19, 0
	s_ashr_i64 s[18:19], s[18:19], 1
	s_add_u32 s18, s18, s12
	s_addc_u32 s19, s19, s13
	s_lshl_b64 s[20:21], s[18:19], 3
	s_add_u32 s20, s10, s20
	s_addc_u32 s21, s11, s21
	s_load_dwordx2 s[20:21], s[20:21], 0x0
	s_add_u32 s17, s18, 1
	s_addc_u32 s22, s19, 0
	s_waitcnt lgkmcnt(0)
	v_cmp_lt_f64_e32 vcc, s[20:21], v[0:1]
	s_and_b64 s[20:21], vcc, exec
	s_cselect_b32 s15, s15, s19
	s_cselect_b32 s14, s14, s18
	;; [unrolled: 1-line block ×4, first 2 shown]
	v_pk_mov_b32 v[4:5], s[14:15], s[14:15] op_sel:[0,1]
	v_cmp_lt_i64_e32 vcc, s[12:13], v[4:5]
	s_cbranch_vccnz .LBB169_4
.LBB169_5:                              ;   in Loop: Header=BB169_2 Depth=1
	s_cmp_eq_u64 s[12:13], s[8:9]
	s_mov_b64 s[14:15], 0
	s_cbranch_scc1 .LBB169_1
; %bb.6:                                ;   in Loop: Header=BB169_2 Depth=1
	s_lshl_b64 s[12:13], s[12:13], 3
	s_add_u32 s12, s10, s12
	s_addc_u32 s13, s11, s13
	s_load_dwordx2 s[12:13], s[12:13], 0x0
	s_waitcnt lgkmcnt(0)
	v_cmp_ngt_f64_e64 s[14:15], s[12:13], v[0:1]
	s_branch .LBB169_1
.LBB169_7:
	s_endpgm
	.section	.rodata,"a",@progbits
	.p2align	6, 0x0
	.amdhsa_kernel _Z20binary_search_kernelIdEvmPT_Pb
		.amdhsa_group_segment_fixed_size 0
		.amdhsa_private_segment_fixed_size 0
		.amdhsa_kernarg_size 24
		.amdhsa_user_sgpr_count 6
		.amdhsa_user_sgpr_private_segment_buffer 1
		.amdhsa_user_sgpr_dispatch_ptr 0
		.amdhsa_user_sgpr_queue_ptr 0
		.amdhsa_user_sgpr_kernarg_segment_ptr 1
		.amdhsa_user_sgpr_dispatch_id 0
		.amdhsa_user_sgpr_flat_scratch_init 0
		.amdhsa_user_sgpr_kernarg_preload_length 0
		.amdhsa_user_sgpr_kernarg_preload_offset 0
		.amdhsa_user_sgpr_private_segment_size 0
		.amdhsa_uses_dynamic_stack 0
		.amdhsa_system_sgpr_private_segment_wavefront_offset 0
		.amdhsa_system_sgpr_workgroup_id_x 1
		.amdhsa_system_sgpr_workgroup_id_y 0
		.amdhsa_system_sgpr_workgroup_id_z 0
		.amdhsa_system_sgpr_workgroup_info 0
		.amdhsa_system_vgpr_workitem_id 0
		.amdhsa_next_free_vgpr 8
		.amdhsa_next_free_sgpr 23
		.amdhsa_accum_offset 8
		.amdhsa_reserve_vcc 1
		.amdhsa_reserve_flat_scratch 0
		.amdhsa_float_round_mode_32 0
		.amdhsa_float_round_mode_16_64 0
		.amdhsa_float_denorm_mode_32 3
		.amdhsa_float_denorm_mode_16_64 3
		.amdhsa_dx10_clamp 1
		.amdhsa_ieee_mode 1
		.amdhsa_fp16_overflow 0
		.amdhsa_tg_split 0
		.amdhsa_exception_fp_ieee_invalid_op 0
		.amdhsa_exception_fp_denorm_src 0
		.amdhsa_exception_fp_ieee_div_zero 0
		.amdhsa_exception_fp_ieee_overflow 0
		.amdhsa_exception_fp_ieee_underflow 0
		.amdhsa_exception_fp_ieee_inexact 0
		.amdhsa_exception_int_div_zero 0
	.end_amdhsa_kernel
	.section	.text._Z20binary_search_kernelIdEvmPT_Pb,"axG",@progbits,_Z20binary_search_kernelIdEvmPT_Pb,comdat
.Lfunc_end169:
	.size	_Z20binary_search_kernelIdEvmPT_Pb, .Lfunc_end169-_Z20binary_search_kernelIdEvmPT_Pb
                                        ; -- End function
	.section	.AMDGPU.csdata,"",@progbits
; Kernel info:
; codeLenInByte = 336
; NumSgprs: 27
; NumVgprs: 8
; NumAgprs: 0
; TotalNumVgprs: 8
; ScratchSize: 0
; MemoryBound: 0
; FloatMode: 240
; IeeeMode: 1
; LDSByteSize: 0 bytes/workgroup (compile time only)
; SGPRBlocks: 3
; VGPRBlocks: 0
; NumSGPRsForWavesPerEU: 27
; NumVGPRsForWavesPerEU: 8
; AccumOffset: 8
; Occupancy: 8
; WaveLimiterHint : 0
; COMPUTE_PGM_RSRC2:SCRATCH_EN: 0
; COMPUTE_PGM_RSRC2:USER_SGPR: 6
; COMPUTE_PGM_RSRC2:TRAP_HANDLER: 0
; COMPUTE_PGM_RSRC2:TGID_X_EN: 1
; COMPUTE_PGM_RSRC2:TGID_Y_EN: 0
; COMPUTE_PGM_RSRC2:TGID_Z_EN: 0
; COMPUTE_PGM_RSRC2:TIDIG_COMP_CNT: 0
; COMPUTE_PGM_RSRC3_GFX90A:ACCUM_OFFSET: 1
; COMPUTE_PGM_RSRC3_GFX90A:TG_SPLIT: 0
	.section	.text._ZN7rocprim17ROCPRIM_400000_NS6detail17trampoline_kernelINS0_14default_configENS1_29binary_search_config_selectorIdbEEZNS1_14transform_implILb0ES3_S5_N6thrust23THRUST_200600_302600_NS17counting_iteratorIdNS8_11use_defaultESA_SA_EEPbZNS1_13binary_searchIS3_S5_PdSB_SC_NS1_16binary_search_opENS8_6detail16wrapped_functionINS0_4lessIvEEbEEEE10hipError_tPvRmT1_T2_T3_mmT4_T5_P12ihipStream_tbEUlRKdE_EESL_SP_SQ_mSR_SU_bEUlT_E_NS1_11comp_targetILNS1_3genE0ELNS1_11target_archE4294967295ELNS1_3gpuE0ELNS1_3repE0EEENS1_30default_config_static_selectorELNS0_4arch9wavefront6targetE1EEEvSO_,"axG",@progbits,_ZN7rocprim17ROCPRIM_400000_NS6detail17trampoline_kernelINS0_14default_configENS1_29binary_search_config_selectorIdbEEZNS1_14transform_implILb0ES3_S5_N6thrust23THRUST_200600_302600_NS17counting_iteratorIdNS8_11use_defaultESA_SA_EEPbZNS1_13binary_searchIS3_S5_PdSB_SC_NS1_16binary_search_opENS8_6detail16wrapped_functionINS0_4lessIvEEbEEEE10hipError_tPvRmT1_T2_T3_mmT4_T5_P12ihipStream_tbEUlRKdE_EESL_SP_SQ_mSR_SU_bEUlT_E_NS1_11comp_targetILNS1_3genE0ELNS1_11target_archE4294967295ELNS1_3gpuE0ELNS1_3repE0EEENS1_30default_config_static_selectorELNS0_4arch9wavefront6targetE1EEEvSO_,comdat
	.protected	_ZN7rocprim17ROCPRIM_400000_NS6detail17trampoline_kernelINS0_14default_configENS1_29binary_search_config_selectorIdbEEZNS1_14transform_implILb0ES3_S5_N6thrust23THRUST_200600_302600_NS17counting_iteratorIdNS8_11use_defaultESA_SA_EEPbZNS1_13binary_searchIS3_S5_PdSB_SC_NS1_16binary_search_opENS8_6detail16wrapped_functionINS0_4lessIvEEbEEEE10hipError_tPvRmT1_T2_T3_mmT4_T5_P12ihipStream_tbEUlRKdE_EESL_SP_SQ_mSR_SU_bEUlT_E_NS1_11comp_targetILNS1_3genE0ELNS1_11target_archE4294967295ELNS1_3gpuE0ELNS1_3repE0EEENS1_30default_config_static_selectorELNS0_4arch9wavefront6targetE1EEEvSO_ ; -- Begin function _ZN7rocprim17ROCPRIM_400000_NS6detail17trampoline_kernelINS0_14default_configENS1_29binary_search_config_selectorIdbEEZNS1_14transform_implILb0ES3_S5_N6thrust23THRUST_200600_302600_NS17counting_iteratorIdNS8_11use_defaultESA_SA_EEPbZNS1_13binary_searchIS3_S5_PdSB_SC_NS1_16binary_search_opENS8_6detail16wrapped_functionINS0_4lessIvEEbEEEE10hipError_tPvRmT1_T2_T3_mmT4_T5_P12ihipStream_tbEUlRKdE_EESL_SP_SQ_mSR_SU_bEUlT_E_NS1_11comp_targetILNS1_3genE0ELNS1_11target_archE4294967295ELNS1_3gpuE0ELNS1_3repE0EEENS1_30default_config_static_selectorELNS0_4arch9wavefront6targetE1EEEvSO_
	.globl	_ZN7rocprim17ROCPRIM_400000_NS6detail17trampoline_kernelINS0_14default_configENS1_29binary_search_config_selectorIdbEEZNS1_14transform_implILb0ES3_S5_N6thrust23THRUST_200600_302600_NS17counting_iteratorIdNS8_11use_defaultESA_SA_EEPbZNS1_13binary_searchIS3_S5_PdSB_SC_NS1_16binary_search_opENS8_6detail16wrapped_functionINS0_4lessIvEEbEEEE10hipError_tPvRmT1_T2_T3_mmT4_T5_P12ihipStream_tbEUlRKdE_EESL_SP_SQ_mSR_SU_bEUlT_E_NS1_11comp_targetILNS1_3genE0ELNS1_11target_archE4294967295ELNS1_3gpuE0ELNS1_3repE0EEENS1_30default_config_static_selectorELNS0_4arch9wavefront6targetE1EEEvSO_
	.p2align	8
	.type	_ZN7rocprim17ROCPRIM_400000_NS6detail17trampoline_kernelINS0_14default_configENS1_29binary_search_config_selectorIdbEEZNS1_14transform_implILb0ES3_S5_N6thrust23THRUST_200600_302600_NS17counting_iteratorIdNS8_11use_defaultESA_SA_EEPbZNS1_13binary_searchIS3_S5_PdSB_SC_NS1_16binary_search_opENS8_6detail16wrapped_functionINS0_4lessIvEEbEEEE10hipError_tPvRmT1_T2_T3_mmT4_T5_P12ihipStream_tbEUlRKdE_EESL_SP_SQ_mSR_SU_bEUlT_E_NS1_11comp_targetILNS1_3genE0ELNS1_11target_archE4294967295ELNS1_3gpuE0ELNS1_3repE0EEENS1_30default_config_static_selectorELNS0_4arch9wavefront6targetE1EEEvSO_,@function
_ZN7rocprim17ROCPRIM_400000_NS6detail17trampoline_kernelINS0_14default_configENS1_29binary_search_config_selectorIdbEEZNS1_14transform_implILb0ES3_S5_N6thrust23THRUST_200600_302600_NS17counting_iteratorIdNS8_11use_defaultESA_SA_EEPbZNS1_13binary_searchIS3_S5_PdSB_SC_NS1_16binary_search_opENS8_6detail16wrapped_functionINS0_4lessIvEEbEEEE10hipError_tPvRmT1_T2_T3_mmT4_T5_P12ihipStream_tbEUlRKdE_EESL_SP_SQ_mSR_SU_bEUlT_E_NS1_11comp_targetILNS1_3genE0ELNS1_11target_archE4294967295ELNS1_3gpuE0ELNS1_3repE0EEENS1_30default_config_static_selectorELNS0_4arch9wavefront6targetE1EEEvSO_: ; @_ZN7rocprim17ROCPRIM_400000_NS6detail17trampoline_kernelINS0_14default_configENS1_29binary_search_config_selectorIdbEEZNS1_14transform_implILb0ES3_S5_N6thrust23THRUST_200600_302600_NS17counting_iteratorIdNS8_11use_defaultESA_SA_EEPbZNS1_13binary_searchIS3_S5_PdSB_SC_NS1_16binary_search_opENS8_6detail16wrapped_functionINS0_4lessIvEEbEEEE10hipError_tPvRmT1_T2_T3_mmT4_T5_P12ihipStream_tbEUlRKdE_EESL_SP_SQ_mSR_SU_bEUlT_E_NS1_11comp_targetILNS1_3genE0ELNS1_11target_archE4294967295ELNS1_3gpuE0ELNS1_3repE0EEENS1_30default_config_static_selectorELNS0_4arch9wavefront6targetE1EEEvSO_
; %bb.0:
	.section	.rodata,"a",@progbits
	.p2align	6, 0x0
	.amdhsa_kernel _ZN7rocprim17ROCPRIM_400000_NS6detail17trampoline_kernelINS0_14default_configENS1_29binary_search_config_selectorIdbEEZNS1_14transform_implILb0ES3_S5_N6thrust23THRUST_200600_302600_NS17counting_iteratorIdNS8_11use_defaultESA_SA_EEPbZNS1_13binary_searchIS3_S5_PdSB_SC_NS1_16binary_search_opENS8_6detail16wrapped_functionINS0_4lessIvEEbEEEE10hipError_tPvRmT1_T2_T3_mmT4_T5_P12ihipStream_tbEUlRKdE_EESL_SP_SQ_mSR_SU_bEUlT_E_NS1_11comp_targetILNS1_3genE0ELNS1_11target_archE4294967295ELNS1_3gpuE0ELNS1_3repE0EEENS1_30default_config_static_selectorELNS0_4arch9wavefront6targetE1EEEvSO_
		.amdhsa_group_segment_fixed_size 0
		.amdhsa_private_segment_fixed_size 0
		.amdhsa_kernarg_size 56
		.amdhsa_user_sgpr_count 6
		.amdhsa_user_sgpr_private_segment_buffer 1
		.amdhsa_user_sgpr_dispatch_ptr 0
		.amdhsa_user_sgpr_queue_ptr 0
		.amdhsa_user_sgpr_kernarg_segment_ptr 1
		.amdhsa_user_sgpr_dispatch_id 0
		.amdhsa_user_sgpr_flat_scratch_init 0
		.amdhsa_user_sgpr_kernarg_preload_length 0
		.amdhsa_user_sgpr_kernarg_preload_offset 0
		.amdhsa_user_sgpr_private_segment_size 0
		.amdhsa_uses_dynamic_stack 0
		.amdhsa_system_sgpr_private_segment_wavefront_offset 0
		.amdhsa_system_sgpr_workgroup_id_x 1
		.amdhsa_system_sgpr_workgroup_id_y 0
		.amdhsa_system_sgpr_workgroup_id_z 0
		.amdhsa_system_sgpr_workgroup_info 0
		.amdhsa_system_vgpr_workitem_id 0
		.amdhsa_next_free_vgpr 1
		.amdhsa_next_free_sgpr 0
		.amdhsa_accum_offset 4
		.amdhsa_reserve_vcc 0
		.amdhsa_reserve_flat_scratch 0
		.amdhsa_float_round_mode_32 0
		.amdhsa_float_round_mode_16_64 0
		.amdhsa_float_denorm_mode_32 3
		.amdhsa_float_denorm_mode_16_64 3
		.amdhsa_dx10_clamp 1
		.amdhsa_ieee_mode 1
		.amdhsa_fp16_overflow 0
		.amdhsa_tg_split 0
		.amdhsa_exception_fp_ieee_invalid_op 0
		.amdhsa_exception_fp_denorm_src 0
		.amdhsa_exception_fp_ieee_div_zero 0
		.amdhsa_exception_fp_ieee_overflow 0
		.amdhsa_exception_fp_ieee_underflow 0
		.amdhsa_exception_fp_ieee_inexact 0
		.amdhsa_exception_int_div_zero 0
	.end_amdhsa_kernel
	.section	.text._ZN7rocprim17ROCPRIM_400000_NS6detail17trampoline_kernelINS0_14default_configENS1_29binary_search_config_selectorIdbEEZNS1_14transform_implILb0ES3_S5_N6thrust23THRUST_200600_302600_NS17counting_iteratorIdNS8_11use_defaultESA_SA_EEPbZNS1_13binary_searchIS3_S5_PdSB_SC_NS1_16binary_search_opENS8_6detail16wrapped_functionINS0_4lessIvEEbEEEE10hipError_tPvRmT1_T2_T3_mmT4_T5_P12ihipStream_tbEUlRKdE_EESL_SP_SQ_mSR_SU_bEUlT_E_NS1_11comp_targetILNS1_3genE0ELNS1_11target_archE4294967295ELNS1_3gpuE0ELNS1_3repE0EEENS1_30default_config_static_selectorELNS0_4arch9wavefront6targetE1EEEvSO_,"axG",@progbits,_ZN7rocprim17ROCPRIM_400000_NS6detail17trampoline_kernelINS0_14default_configENS1_29binary_search_config_selectorIdbEEZNS1_14transform_implILb0ES3_S5_N6thrust23THRUST_200600_302600_NS17counting_iteratorIdNS8_11use_defaultESA_SA_EEPbZNS1_13binary_searchIS3_S5_PdSB_SC_NS1_16binary_search_opENS8_6detail16wrapped_functionINS0_4lessIvEEbEEEE10hipError_tPvRmT1_T2_T3_mmT4_T5_P12ihipStream_tbEUlRKdE_EESL_SP_SQ_mSR_SU_bEUlT_E_NS1_11comp_targetILNS1_3genE0ELNS1_11target_archE4294967295ELNS1_3gpuE0ELNS1_3repE0EEENS1_30default_config_static_selectorELNS0_4arch9wavefront6targetE1EEEvSO_,comdat
.Lfunc_end170:
	.size	_ZN7rocprim17ROCPRIM_400000_NS6detail17trampoline_kernelINS0_14default_configENS1_29binary_search_config_selectorIdbEEZNS1_14transform_implILb0ES3_S5_N6thrust23THRUST_200600_302600_NS17counting_iteratorIdNS8_11use_defaultESA_SA_EEPbZNS1_13binary_searchIS3_S5_PdSB_SC_NS1_16binary_search_opENS8_6detail16wrapped_functionINS0_4lessIvEEbEEEE10hipError_tPvRmT1_T2_T3_mmT4_T5_P12ihipStream_tbEUlRKdE_EESL_SP_SQ_mSR_SU_bEUlT_E_NS1_11comp_targetILNS1_3genE0ELNS1_11target_archE4294967295ELNS1_3gpuE0ELNS1_3repE0EEENS1_30default_config_static_selectorELNS0_4arch9wavefront6targetE1EEEvSO_, .Lfunc_end170-_ZN7rocprim17ROCPRIM_400000_NS6detail17trampoline_kernelINS0_14default_configENS1_29binary_search_config_selectorIdbEEZNS1_14transform_implILb0ES3_S5_N6thrust23THRUST_200600_302600_NS17counting_iteratorIdNS8_11use_defaultESA_SA_EEPbZNS1_13binary_searchIS3_S5_PdSB_SC_NS1_16binary_search_opENS8_6detail16wrapped_functionINS0_4lessIvEEbEEEE10hipError_tPvRmT1_T2_T3_mmT4_T5_P12ihipStream_tbEUlRKdE_EESL_SP_SQ_mSR_SU_bEUlT_E_NS1_11comp_targetILNS1_3genE0ELNS1_11target_archE4294967295ELNS1_3gpuE0ELNS1_3repE0EEENS1_30default_config_static_selectorELNS0_4arch9wavefront6targetE1EEEvSO_
                                        ; -- End function
	.section	.AMDGPU.csdata,"",@progbits
; Kernel info:
; codeLenInByte = 0
; NumSgprs: 4
; NumVgprs: 0
; NumAgprs: 0
; TotalNumVgprs: 0
; ScratchSize: 0
; MemoryBound: 0
; FloatMode: 240
; IeeeMode: 1
; LDSByteSize: 0 bytes/workgroup (compile time only)
; SGPRBlocks: 0
; VGPRBlocks: 0
; NumSGPRsForWavesPerEU: 4
; NumVGPRsForWavesPerEU: 1
; AccumOffset: 4
; Occupancy: 8
; WaveLimiterHint : 0
; COMPUTE_PGM_RSRC2:SCRATCH_EN: 0
; COMPUTE_PGM_RSRC2:USER_SGPR: 6
; COMPUTE_PGM_RSRC2:TRAP_HANDLER: 0
; COMPUTE_PGM_RSRC2:TGID_X_EN: 1
; COMPUTE_PGM_RSRC2:TGID_Y_EN: 0
; COMPUTE_PGM_RSRC2:TGID_Z_EN: 0
; COMPUTE_PGM_RSRC2:TIDIG_COMP_CNT: 0
; COMPUTE_PGM_RSRC3_GFX90A:ACCUM_OFFSET: 0
; COMPUTE_PGM_RSRC3_GFX90A:TG_SPLIT: 0
	.section	.text._ZN7rocprim17ROCPRIM_400000_NS6detail17trampoline_kernelINS0_14default_configENS1_29binary_search_config_selectorIdbEEZNS1_14transform_implILb0ES3_S5_N6thrust23THRUST_200600_302600_NS17counting_iteratorIdNS8_11use_defaultESA_SA_EEPbZNS1_13binary_searchIS3_S5_PdSB_SC_NS1_16binary_search_opENS8_6detail16wrapped_functionINS0_4lessIvEEbEEEE10hipError_tPvRmT1_T2_T3_mmT4_T5_P12ihipStream_tbEUlRKdE_EESL_SP_SQ_mSR_SU_bEUlT_E_NS1_11comp_targetILNS1_3genE5ELNS1_11target_archE942ELNS1_3gpuE9ELNS1_3repE0EEENS1_30default_config_static_selectorELNS0_4arch9wavefront6targetE1EEEvSO_,"axG",@progbits,_ZN7rocprim17ROCPRIM_400000_NS6detail17trampoline_kernelINS0_14default_configENS1_29binary_search_config_selectorIdbEEZNS1_14transform_implILb0ES3_S5_N6thrust23THRUST_200600_302600_NS17counting_iteratorIdNS8_11use_defaultESA_SA_EEPbZNS1_13binary_searchIS3_S5_PdSB_SC_NS1_16binary_search_opENS8_6detail16wrapped_functionINS0_4lessIvEEbEEEE10hipError_tPvRmT1_T2_T3_mmT4_T5_P12ihipStream_tbEUlRKdE_EESL_SP_SQ_mSR_SU_bEUlT_E_NS1_11comp_targetILNS1_3genE5ELNS1_11target_archE942ELNS1_3gpuE9ELNS1_3repE0EEENS1_30default_config_static_selectorELNS0_4arch9wavefront6targetE1EEEvSO_,comdat
	.protected	_ZN7rocprim17ROCPRIM_400000_NS6detail17trampoline_kernelINS0_14default_configENS1_29binary_search_config_selectorIdbEEZNS1_14transform_implILb0ES3_S5_N6thrust23THRUST_200600_302600_NS17counting_iteratorIdNS8_11use_defaultESA_SA_EEPbZNS1_13binary_searchIS3_S5_PdSB_SC_NS1_16binary_search_opENS8_6detail16wrapped_functionINS0_4lessIvEEbEEEE10hipError_tPvRmT1_T2_T3_mmT4_T5_P12ihipStream_tbEUlRKdE_EESL_SP_SQ_mSR_SU_bEUlT_E_NS1_11comp_targetILNS1_3genE5ELNS1_11target_archE942ELNS1_3gpuE9ELNS1_3repE0EEENS1_30default_config_static_selectorELNS0_4arch9wavefront6targetE1EEEvSO_ ; -- Begin function _ZN7rocprim17ROCPRIM_400000_NS6detail17trampoline_kernelINS0_14default_configENS1_29binary_search_config_selectorIdbEEZNS1_14transform_implILb0ES3_S5_N6thrust23THRUST_200600_302600_NS17counting_iteratorIdNS8_11use_defaultESA_SA_EEPbZNS1_13binary_searchIS3_S5_PdSB_SC_NS1_16binary_search_opENS8_6detail16wrapped_functionINS0_4lessIvEEbEEEE10hipError_tPvRmT1_T2_T3_mmT4_T5_P12ihipStream_tbEUlRKdE_EESL_SP_SQ_mSR_SU_bEUlT_E_NS1_11comp_targetILNS1_3genE5ELNS1_11target_archE942ELNS1_3gpuE9ELNS1_3repE0EEENS1_30default_config_static_selectorELNS0_4arch9wavefront6targetE1EEEvSO_
	.globl	_ZN7rocprim17ROCPRIM_400000_NS6detail17trampoline_kernelINS0_14default_configENS1_29binary_search_config_selectorIdbEEZNS1_14transform_implILb0ES3_S5_N6thrust23THRUST_200600_302600_NS17counting_iteratorIdNS8_11use_defaultESA_SA_EEPbZNS1_13binary_searchIS3_S5_PdSB_SC_NS1_16binary_search_opENS8_6detail16wrapped_functionINS0_4lessIvEEbEEEE10hipError_tPvRmT1_T2_T3_mmT4_T5_P12ihipStream_tbEUlRKdE_EESL_SP_SQ_mSR_SU_bEUlT_E_NS1_11comp_targetILNS1_3genE5ELNS1_11target_archE942ELNS1_3gpuE9ELNS1_3repE0EEENS1_30default_config_static_selectorELNS0_4arch9wavefront6targetE1EEEvSO_
	.p2align	8
	.type	_ZN7rocprim17ROCPRIM_400000_NS6detail17trampoline_kernelINS0_14default_configENS1_29binary_search_config_selectorIdbEEZNS1_14transform_implILb0ES3_S5_N6thrust23THRUST_200600_302600_NS17counting_iteratorIdNS8_11use_defaultESA_SA_EEPbZNS1_13binary_searchIS3_S5_PdSB_SC_NS1_16binary_search_opENS8_6detail16wrapped_functionINS0_4lessIvEEbEEEE10hipError_tPvRmT1_T2_T3_mmT4_T5_P12ihipStream_tbEUlRKdE_EESL_SP_SQ_mSR_SU_bEUlT_E_NS1_11comp_targetILNS1_3genE5ELNS1_11target_archE942ELNS1_3gpuE9ELNS1_3repE0EEENS1_30default_config_static_selectorELNS0_4arch9wavefront6targetE1EEEvSO_,@function
_ZN7rocprim17ROCPRIM_400000_NS6detail17trampoline_kernelINS0_14default_configENS1_29binary_search_config_selectorIdbEEZNS1_14transform_implILb0ES3_S5_N6thrust23THRUST_200600_302600_NS17counting_iteratorIdNS8_11use_defaultESA_SA_EEPbZNS1_13binary_searchIS3_S5_PdSB_SC_NS1_16binary_search_opENS8_6detail16wrapped_functionINS0_4lessIvEEbEEEE10hipError_tPvRmT1_T2_T3_mmT4_T5_P12ihipStream_tbEUlRKdE_EESL_SP_SQ_mSR_SU_bEUlT_E_NS1_11comp_targetILNS1_3genE5ELNS1_11target_archE942ELNS1_3gpuE9ELNS1_3repE0EEENS1_30default_config_static_selectorELNS0_4arch9wavefront6targetE1EEEvSO_: ; @_ZN7rocprim17ROCPRIM_400000_NS6detail17trampoline_kernelINS0_14default_configENS1_29binary_search_config_selectorIdbEEZNS1_14transform_implILb0ES3_S5_N6thrust23THRUST_200600_302600_NS17counting_iteratorIdNS8_11use_defaultESA_SA_EEPbZNS1_13binary_searchIS3_S5_PdSB_SC_NS1_16binary_search_opENS8_6detail16wrapped_functionINS0_4lessIvEEbEEEE10hipError_tPvRmT1_T2_T3_mmT4_T5_P12ihipStream_tbEUlRKdE_EESL_SP_SQ_mSR_SU_bEUlT_E_NS1_11comp_targetILNS1_3genE5ELNS1_11target_archE942ELNS1_3gpuE9ELNS1_3repE0EEENS1_30default_config_static_selectorELNS0_4arch9wavefront6targetE1EEEvSO_
; %bb.0:
	.section	.rodata,"a",@progbits
	.p2align	6, 0x0
	.amdhsa_kernel _ZN7rocprim17ROCPRIM_400000_NS6detail17trampoline_kernelINS0_14default_configENS1_29binary_search_config_selectorIdbEEZNS1_14transform_implILb0ES3_S5_N6thrust23THRUST_200600_302600_NS17counting_iteratorIdNS8_11use_defaultESA_SA_EEPbZNS1_13binary_searchIS3_S5_PdSB_SC_NS1_16binary_search_opENS8_6detail16wrapped_functionINS0_4lessIvEEbEEEE10hipError_tPvRmT1_T2_T3_mmT4_T5_P12ihipStream_tbEUlRKdE_EESL_SP_SQ_mSR_SU_bEUlT_E_NS1_11comp_targetILNS1_3genE5ELNS1_11target_archE942ELNS1_3gpuE9ELNS1_3repE0EEENS1_30default_config_static_selectorELNS0_4arch9wavefront6targetE1EEEvSO_
		.amdhsa_group_segment_fixed_size 0
		.amdhsa_private_segment_fixed_size 0
		.amdhsa_kernarg_size 56
		.amdhsa_user_sgpr_count 6
		.amdhsa_user_sgpr_private_segment_buffer 1
		.amdhsa_user_sgpr_dispatch_ptr 0
		.amdhsa_user_sgpr_queue_ptr 0
		.amdhsa_user_sgpr_kernarg_segment_ptr 1
		.amdhsa_user_sgpr_dispatch_id 0
		.amdhsa_user_sgpr_flat_scratch_init 0
		.amdhsa_user_sgpr_kernarg_preload_length 0
		.amdhsa_user_sgpr_kernarg_preload_offset 0
		.amdhsa_user_sgpr_private_segment_size 0
		.amdhsa_uses_dynamic_stack 0
		.amdhsa_system_sgpr_private_segment_wavefront_offset 0
		.amdhsa_system_sgpr_workgroup_id_x 1
		.amdhsa_system_sgpr_workgroup_id_y 0
		.amdhsa_system_sgpr_workgroup_id_z 0
		.amdhsa_system_sgpr_workgroup_info 0
		.amdhsa_system_vgpr_workitem_id 0
		.amdhsa_next_free_vgpr 1
		.amdhsa_next_free_sgpr 0
		.amdhsa_accum_offset 4
		.amdhsa_reserve_vcc 0
		.amdhsa_reserve_flat_scratch 0
		.amdhsa_float_round_mode_32 0
		.amdhsa_float_round_mode_16_64 0
		.amdhsa_float_denorm_mode_32 3
		.amdhsa_float_denorm_mode_16_64 3
		.amdhsa_dx10_clamp 1
		.amdhsa_ieee_mode 1
		.amdhsa_fp16_overflow 0
		.amdhsa_tg_split 0
		.amdhsa_exception_fp_ieee_invalid_op 0
		.amdhsa_exception_fp_denorm_src 0
		.amdhsa_exception_fp_ieee_div_zero 0
		.amdhsa_exception_fp_ieee_overflow 0
		.amdhsa_exception_fp_ieee_underflow 0
		.amdhsa_exception_fp_ieee_inexact 0
		.amdhsa_exception_int_div_zero 0
	.end_amdhsa_kernel
	.section	.text._ZN7rocprim17ROCPRIM_400000_NS6detail17trampoline_kernelINS0_14default_configENS1_29binary_search_config_selectorIdbEEZNS1_14transform_implILb0ES3_S5_N6thrust23THRUST_200600_302600_NS17counting_iteratorIdNS8_11use_defaultESA_SA_EEPbZNS1_13binary_searchIS3_S5_PdSB_SC_NS1_16binary_search_opENS8_6detail16wrapped_functionINS0_4lessIvEEbEEEE10hipError_tPvRmT1_T2_T3_mmT4_T5_P12ihipStream_tbEUlRKdE_EESL_SP_SQ_mSR_SU_bEUlT_E_NS1_11comp_targetILNS1_3genE5ELNS1_11target_archE942ELNS1_3gpuE9ELNS1_3repE0EEENS1_30default_config_static_selectorELNS0_4arch9wavefront6targetE1EEEvSO_,"axG",@progbits,_ZN7rocprim17ROCPRIM_400000_NS6detail17trampoline_kernelINS0_14default_configENS1_29binary_search_config_selectorIdbEEZNS1_14transform_implILb0ES3_S5_N6thrust23THRUST_200600_302600_NS17counting_iteratorIdNS8_11use_defaultESA_SA_EEPbZNS1_13binary_searchIS3_S5_PdSB_SC_NS1_16binary_search_opENS8_6detail16wrapped_functionINS0_4lessIvEEbEEEE10hipError_tPvRmT1_T2_T3_mmT4_T5_P12ihipStream_tbEUlRKdE_EESL_SP_SQ_mSR_SU_bEUlT_E_NS1_11comp_targetILNS1_3genE5ELNS1_11target_archE942ELNS1_3gpuE9ELNS1_3repE0EEENS1_30default_config_static_selectorELNS0_4arch9wavefront6targetE1EEEvSO_,comdat
.Lfunc_end171:
	.size	_ZN7rocprim17ROCPRIM_400000_NS6detail17trampoline_kernelINS0_14default_configENS1_29binary_search_config_selectorIdbEEZNS1_14transform_implILb0ES3_S5_N6thrust23THRUST_200600_302600_NS17counting_iteratorIdNS8_11use_defaultESA_SA_EEPbZNS1_13binary_searchIS3_S5_PdSB_SC_NS1_16binary_search_opENS8_6detail16wrapped_functionINS0_4lessIvEEbEEEE10hipError_tPvRmT1_T2_T3_mmT4_T5_P12ihipStream_tbEUlRKdE_EESL_SP_SQ_mSR_SU_bEUlT_E_NS1_11comp_targetILNS1_3genE5ELNS1_11target_archE942ELNS1_3gpuE9ELNS1_3repE0EEENS1_30default_config_static_selectorELNS0_4arch9wavefront6targetE1EEEvSO_, .Lfunc_end171-_ZN7rocprim17ROCPRIM_400000_NS6detail17trampoline_kernelINS0_14default_configENS1_29binary_search_config_selectorIdbEEZNS1_14transform_implILb0ES3_S5_N6thrust23THRUST_200600_302600_NS17counting_iteratorIdNS8_11use_defaultESA_SA_EEPbZNS1_13binary_searchIS3_S5_PdSB_SC_NS1_16binary_search_opENS8_6detail16wrapped_functionINS0_4lessIvEEbEEEE10hipError_tPvRmT1_T2_T3_mmT4_T5_P12ihipStream_tbEUlRKdE_EESL_SP_SQ_mSR_SU_bEUlT_E_NS1_11comp_targetILNS1_3genE5ELNS1_11target_archE942ELNS1_3gpuE9ELNS1_3repE0EEENS1_30default_config_static_selectorELNS0_4arch9wavefront6targetE1EEEvSO_
                                        ; -- End function
	.section	.AMDGPU.csdata,"",@progbits
; Kernel info:
; codeLenInByte = 0
; NumSgprs: 4
; NumVgprs: 0
; NumAgprs: 0
; TotalNumVgprs: 0
; ScratchSize: 0
; MemoryBound: 0
; FloatMode: 240
; IeeeMode: 1
; LDSByteSize: 0 bytes/workgroup (compile time only)
; SGPRBlocks: 0
; VGPRBlocks: 0
; NumSGPRsForWavesPerEU: 4
; NumVGPRsForWavesPerEU: 1
; AccumOffset: 4
; Occupancy: 8
; WaveLimiterHint : 0
; COMPUTE_PGM_RSRC2:SCRATCH_EN: 0
; COMPUTE_PGM_RSRC2:USER_SGPR: 6
; COMPUTE_PGM_RSRC2:TRAP_HANDLER: 0
; COMPUTE_PGM_RSRC2:TGID_X_EN: 1
; COMPUTE_PGM_RSRC2:TGID_Y_EN: 0
; COMPUTE_PGM_RSRC2:TGID_Z_EN: 0
; COMPUTE_PGM_RSRC2:TIDIG_COMP_CNT: 0
; COMPUTE_PGM_RSRC3_GFX90A:ACCUM_OFFSET: 0
; COMPUTE_PGM_RSRC3_GFX90A:TG_SPLIT: 0
	.section	.text._ZN7rocprim17ROCPRIM_400000_NS6detail17trampoline_kernelINS0_14default_configENS1_29binary_search_config_selectorIdbEEZNS1_14transform_implILb0ES3_S5_N6thrust23THRUST_200600_302600_NS17counting_iteratorIdNS8_11use_defaultESA_SA_EEPbZNS1_13binary_searchIS3_S5_PdSB_SC_NS1_16binary_search_opENS8_6detail16wrapped_functionINS0_4lessIvEEbEEEE10hipError_tPvRmT1_T2_T3_mmT4_T5_P12ihipStream_tbEUlRKdE_EESL_SP_SQ_mSR_SU_bEUlT_E_NS1_11comp_targetILNS1_3genE4ELNS1_11target_archE910ELNS1_3gpuE8ELNS1_3repE0EEENS1_30default_config_static_selectorELNS0_4arch9wavefront6targetE1EEEvSO_,"axG",@progbits,_ZN7rocprim17ROCPRIM_400000_NS6detail17trampoline_kernelINS0_14default_configENS1_29binary_search_config_selectorIdbEEZNS1_14transform_implILb0ES3_S5_N6thrust23THRUST_200600_302600_NS17counting_iteratorIdNS8_11use_defaultESA_SA_EEPbZNS1_13binary_searchIS3_S5_PdSB_SC_NS1_16binary_search_opENS8_6detail16wrapped_functionINS0_4lessIvEEbEEEE10hipError_tPvRmT1_T2_T3_mmT4_T5_P12ihipStream_tbEUlRKdE_EESL_SP_SQ_mSR_SU_bEUlT_E_NS1_11comp_targetILNS1_3genE4ELNS1_11target_archE910ELNS1_3gpuE8ELNS1_3repE0EEENS1_30default_config_static_selectorELNS0_4arch9wavefront6targetE1EEEvSO_,comdat
	.protected	_ZN7rocprim17ROCPRIM_400000_NS6detail17trampoline_kernelINS0_14default_configENS1_29binary_search_config_selectorIdbEEZNS1_14transform_implILb0ES3_S5_N6thrust23THRUST_200600_302600_NS17counting_iteratorIdNS8_11use_defaultESA_SA_EEPbZNS1_13binary_searchIS3_S5_PdSB_SC_NS1_16binary_search_opENS8_6detail16wrapped_functionINS0_4lessIvEEbEEEE10hipError_tPvRmT1_T2_T3_mmT4_T5_P12ihipStream_tbEUlRKdE_EESL_SP_SQ_mSR_SU_bEUlT_E_NS1_11comp_targetILNS1_3genE4ELNS1_11target_archE910ELNS1_3gpuE8ELNS1_3repE0EEENS1_30default_config_static_selectorELNS0_4arch9wavefront6targetE1EEEvSO_ ; -- Begin function _ZN7rocprim17ROCPRIM_400000_NS6detail17trampoline_kernelINS0_14default_configENS1_29binary_search_config_selectorIdbEEZNS1_14transform_implILb0ES3_S5_N6thrust23THRUST_200600_302600_NS17counting_iteratorIdNS8_11use_defaultESA_SA_EEPbZNS1_13binary_searchIS3_S5_PdSB_SC_NS1_16binary_search_opENS8_6detail16wrapped_functionINS0_4lessIvEEbEEEE10hipError_tPvRmT1_T2_T3_mmT4_T5_P12ihipStream_tbEUlRKdE_EESL_SP_SQ_mSR_SU_bEUlT_E_NS1_11comp_targetILNS1_3genE4ELNS1_11target_archE910ELNS1_3gpuE8ELNS1_3repE0EEENS1_30default_config_static_selectorELNS0_4arch9wavefront6targetE1EEEvSO_
	.globl	_ZN7rocprim17ROCPRIM_400000_NS6detail17trampoline_kernelINS0_14default_configENS1_29binary_search_config_selectorIdbEEZNS1_14transform_implILb0ES3_S5_N6thrust23THRUST_200600_302600_NS17counting_iteratorIdNS8_11use_defaultESA_SA_EEPbZNS1_13binary_searchIS3_S5_PdSB_SC_NS1_16binary_search_opENS8_6detail16wrapped_functionINS0_4lessIvEEbEEEE10hipError_tPvRmT1_T2_T3_mmT4_T5_P12ihipStream_tbEUlRKdE_EESL_SP_SQ_mSR_SU_bEUlT_E_NS1_11comp_targetILNS1_3genE4ELNS1_11target_archE910ELNS1_3gpuE8ELNS1_3repE0EEENS1_30default_config_static_selectorELNS0_4arch9wavefront6targetE1EEEvSO_
	.p2align	8
	.type	_ZN7rocprim17ROCPRIM_400000_NS6detail17trampoline_kernelINS0_14default_configENS1_29binary_search_config_selectorIdbEEZNS1_14transform_implILb0ES3_S5_N6thrust23THRUST_200600_302600_NS17counting_iteratorIdNS8_11use_defaultESA_SA_EEPbZNS1_13binary_searchIS3_S5_PdSB_SC_NS1_16binary_search_opENS8_6detail16wrapped_functionINS0_4lessIvEEbEEEE10hipError_tPvRmT1_T2_T3_mmT4_T5_P12ihipStream_tbEUlRKdE_EESL_SP_SQ_mSR_SU_bEUlT_E_NS1_11comp_targetILNS1_3genE4ELNS1_11target_archE910ELNS1_3gpuE8ELNS1_3repE0EEENS1_30default_config_static_selectorELNS0_4arch9wavefront6targetE1EEEvSO_,@function
_ZN7rocprim17ROCPRIM_400000_NS6detail17trampoline_kernelINS0_14default_configENS1_29binary_search_config_selectorIdbEEZNS1_14transform_implILb0ES3_S5_N6thrust23THRUST_200600_302600_NS17counting_iteratorIdNS8_11use_defaultESA_SA_EEPbZNS1_13binary_searchIS3_S5_PdSB_SC_NS1_16binary_search_opENS8_6detail16wrapped_functionINS0_4lessIvEEbEEEE10hipError_tPvRmT1_T2_T3_mmT4_T5_P12ihipStream_tbEUlRKdE_EESL_SP_SQ_mSR_SU_bEUlT_E_NS1_11comp_targetILNS1_3genE4ELNS1_11target_archE910ELNS1_3gpuE8ELNS1_3repE0EEENS1_30default_config_static_selectorELNS0_4arch9wavefront6targetE1EEEvSO_: ; @_ZN7rocprim17ROCPRIM_400000_NS6detail17trampoline_kernelINS0_14default_configENS1_29binary_search_config_selectorIdbEEZNS1_14transform_implILb0ES3_S5_N6thrust23THRUST_200600_302600_NS17counting_iteratorIdNS8_11use_defaultESA_SA_EEPbZNS1_13binary_searchIS3_S5_PdSB_SC_NS1_16binary_search_opENS8_6detail16wrapped_functionINS0_4lessIvEEbEEEE10hipError_tPvRmT1_T2_T3_mmT4_T5_P12ihipStream_tbEUlRKdE_EESL_SP_SQ_mSR_SU_bEUlT_E_NS1_11comp_targetILNS1_3genE4ELNS1_11target_archE910ELNS1_3gpuE8ELNS1_3repE0EEENS1_30default_config_static_selectorELNS0_4arch9wavefront6targetE1EEEvSO_
; %bb.0:
	s_load_dwordx4 s[0:3], s[4:5], 0x0
	s_load_dwordx4 s[8:11], s[4:5], 0x18
	s_load_dwordx2 s[12:13], s[4:5], 0x28
	s_load_dword s7, s[4:5], 0x38
	s_lshl_b32 s16, s6, 6
	s_waitcnt lgkmcnt(0)
	v_cvt_f64_i32_e32 v[2:3], s3
	v_ldexp_f64 v[2:3], v[2:3], 32
	v_cvt_f64_u32_e32 v[4:5], s2
	v_add_f64 v[2:3], v[2:3], v[4:5]
	s_add_i32 s7, s7, -1
	s_cmp_lg_u32 s6, s7
	v_add_f64 v[2:3], s[0:1], v[2:3]
	s_cbranch_scc0 .LBB172_8
; %bb.1:
	v_cvt_f64_u32_e32 v[4:5], s16
	v_add_f64 v[4:5], v[2:3], v[4:5]
	v_cvt_f64_u32_e32 v[6:7], v0
	v_add_f64 v[4:5], v[4:5], v[6:7]
	s_mov_b64 s[0:1], 0
	s_cmp_eq_u64 s[12:13], 0
	v_pk_mov_b32 v[6:7], 0, 0
	s_cbranch_scc1 .LBB172_5
; %bb.2:
	v_pk_mov_b32 v[6:7], 0, 0
	v_pk_mov_b32 v[8:9], s[12:13], s[12:13] op_sel:[0,1]
	v_mov_b32_e32 v1, s11
.LBB172_3:                              ; =>This Inner Loop Header: Depth=1
	v_sub_co_u32_e32 v10, vcc, v8, v6
	v_subb_co_u32_e32 v11, vcc, v9, v7, vcc
	v_lshrrev_b64 v[12:13], 1, v[10:11]
	v_add_co_u32_e32 v12, vcc, v12, v6
	v_lshrrev_b64 v[10:11], 6, v[10:11]
	v_addc_co_u32_e32 v13, vcc, v13, v7, vcc
	v_add_co_u32_e32 v10, vcc, v12, v10
	v_addc_co_u32_e32 v11, vcc, v13, v11, vcc
	v_lshlrev_b64 v[12:13], 3, v[10:11]
	v_add_co_u32_e32 v12, vcc, s10, v12
	v_addc_co_u32_e32 v13, vcc, v1, v13, vcc
	global_load_dwordx2 v[12:13], v[12:13], off
	v_add_co_u32_e32 v14, vcc, 1, v10
	v_addc_co_u32_e32 v15, vcc, 0, v11, vcc
	s_waitcnt vmcnt(0)
	v_cmp_lt_f64_e32 vcc, v[12:13], v[4:5]
	v_cndmask_b32_e32 v9, v11, v9, vcc
	v_cndmask_b32_e32 v8, v10, v8, vcc
	;; [unrolled: 1-line block ×4, first 2 shown]
	v_cmp_ge_u64_e32 vcc, v[6:7], v[8:9]
	s_or_b64 s[0:1], vcc, s[0:1]
	s_andn2_b64 exec, exec, s[0:1]
	s_cbranch_execnz .LBB172_3
; %bb.4:
	s_or_b64 exec, exec, s[0:1]
.LBB172_5:
	v_cmp_ne_u64_e32 vcc, s[12:13], v[6:7]
	s_mov_b64 s[6:7], 0
	s_mov_b64 s[14:15], 0
	s_and_saveexec_b64 s[0:1], vcc
	s_cbranch_execz .LBB172_7
; %bb.6:
	v_lshlrev_b64 v[6:7], 3, v[6:7]
	v_mov_b32_e32 v1, s11
	v_add_co_u32_e32 v6, vcc, s10, v6
	v_addc_co_u32_e32 v7, vcc, v1, v7, vcc
	global_load_dwordx2 v[6:7], v[6:7], off
	s_waitcnt vmcnt(0)
	v_cmp_ngt_f64_e32 vcc, v[6:7], v[4:5]
	s_and_b64 s[14:15], vcc, exec
.LBB172_7:
	s_or_b64 exec, exec, s[0:1]
	v_cndmask_b32_e64 v1, 0, 1, s[14:15]
	s_mov_b64 s[0:1], -1
	s_and_b64 vcc, exec, s[6:7]
	s_cbranch_vccnz .LBB172_9
	s_branch .LBB172_18
.LBB172_8:
	s_mov_b64 s[0:1], 0
                                        ; implicit-def: $vgpr1
	s_cbranch_execz .LBB172_18
.LBB172_9:
	s_load_dword s0, s[4:5], 0x10
                                        ; implicit-def: $vgpr1
	s_waitcnt lgkmcnt(0)
	s_sub_i32 s0, s0, s16
	v_cmp_gt_u32_e64 s[0:1], s0, v0
	s_and_saveexec_b64 s[4:5], s[0:1]
	s_cbranch_execz .LBB172_17
; %bb.10:
	v_cvt_f64_u32_e32 v[4:5], s16
	v_add_f64 v[2:3], v[2:3], v[4:5]
	v_cvt_f64_u32_e32 v[4:5], v0
	v_add_f64 v[2:3], v[2:3], v[4:5]
	s_mov_b64 s[6:7], 0
	s_cmp_eq_u64 s[12:13], 0
	v_pk_mov_b32 v[4:5], 0, 0
	s_cbranch_scc1 .LBB172_14
; %bb.11:
	v_pk_mov_b32 v[4:5], 0, 0
	v_pk_mov_b32 v[6:7], s[12:13], s[12:13] op_sel:[0,1]
	v_mov_b32_e32 v1, s11
.LBB172_12:                             ; =>This Inner Loop Header: Depth=1
	v_sub_co_u32_e32 v8, vcc, v6, v4
	v_subb_co_u32_e32 v9, vcc, v7, v5, vcc
	v_lshrrev_b64 v[10:11], 1, v[8:9]
	v_add_co_u32_e32 v10, vcc, v10, v4
	v_lshrrev_b64 v[8:9], 6, v[8:9]
	v_addc_co_u32_e32 v11, vcc, v11, v5, vcc
	v_add_co_u32_e32 v8, vcc, v10, v8
	v_addc_co_u32_e32 v9, vcc, v11, v9, vcc
	v_lshlrev_b64 v[10:11], 3, v[8:9]
	v_add_co_u32_e32 v10, vcc, s10, v10
	v_addc_co_u32_e32 v11, vcc, v1, v11, vcc
	global_load_dwordx2 v[10:11], v[10:11], off
	v_add_co_u32_e32 v12, vcc, 1, v8
	v_addc_co_u32_e32 v13, vcc, 0, v9, vcc
	s_waitcnt vmcnt(0)
	v_cmp_lt_f64_e32 vcc, v[10:11], v[2:3]
	v_cndmask_b32_e32 v7, v9, v7, vcc
	v_cndmask_b32_e32 v6, v8, v6, vcc
	;; [unrolled: 1-line block ×4, first 2 shown]
	v_cmp_ge_u64_e32 vcc, v[4:5], v[6:7]
	s_or_b64 s[6:7], vcc, s[6:7]
	s_andn2_b64 exec, exec, s[6:7]
	s_cbranch_execnz .LBB172_12
; %bb.13:
	s_or_b64 exec, exec, s[6:7]
.LBB172_14:
	v_cmp_ne_u64_e32 vcc, s[12:13], v[4:5]
	s_mov_b64 s[12:13], 0
	s_and_saveexec_b64 s[6:7], vcc
	s_cbranch_execz .LBB172_16
; %bb.15:
	v_lshlrev_b64 v[4:5], 3, v[4:5]
	v_mov_b32_e32 v1, s11
	v_add_co_u32_e32 v4, vcc, s10, v4
	v_addc_co_u32_e32 v5, vcc, v1, v5, vcc
	global_load_dwordx2 v[4:5], v[4:5], off
	s_waitcnt vmcnt(0)
	v_cmp_ngt_f64_e32 vcc, v[4:5], v[2:3]
	s_and_b64 s[12:13], vcc, exec
.LBB172_16:
	s_or_b64 exec, exec, s[6:7]
	v_cndmask_b32_e64 v1, 0, 1, s[12:13]
.LBB172_17:
	s_or_b64 exec, exec, s[4:5]
.LBB172_18:
	s_and_saveexec_b64 s[4:5], s[0:1]
	s_cbranch_execz .LBB172_20
; %bb.19:
	s_add_u32 s0, s8, s2
	s_addc_u32 s1, s9, s3
	s_add_u32 s0, s0, s16
	s_addc_u32 s1, s1, 0
	global_store_byte v0, v1, s[0:1]
.LBB172_20:
	s_endpgm
	.section	.rodata,"a",@progbits
	.p2align	6, 0x0
	.amdhsa_kernel _ZN7rocprim17ROCPRIM_400000_NS6detail17trampoline_kernelINS0_14default_configENS1_29binary_search_config_selectorIdbEEZNS1_14transform_implILb0ES3_S5_N6thrust23THRUST_200600_302600_NS17counting_iteratorIdNS8_11use_defaultESA_SA_EEPbZNS1_13binary_searchIS3_S5_PdSB_SC_NS1_16binary_search_opENS8_6detail16wrapped_functionINS0_4lessIvEEbEEEE10hipError_tPvRmT1_T2_T3_mmT4_T5_P12ihipStream_tbEUlRKdE_EESL_SP_SQ_mSR_SU_bEUlT_E_NS1_11comp_targetILNS1_3genE4ELNS1_11target_archE910ELNS1_3gpuE8ELNS1_3repE0EEENS1_30default_config_static_selectorELNS0_4arch9wavefront6targetE1EEEvSO_
		.amdhsa_group_segment_fixed_size 0
		.amdhsa_private_segment_fixed_size 0
		.amdhsa_kernarg_size 312
		.amdhsa_user_sgpr_count 6
		.amdhsa_user_sgpr_private_segment_buffer 1
		.amdhsa_user_sgpr_dispatch_ptr 0
		.amdhsa_user_sgpr_queue_ptr 0
		.amdhsa_user_sgpr_kernarg_segment_ptr 1
		.amdhsa_user_sgpr_dispatch_id 0
		.amdhsa_user_sgpr_flat_scratch_init 0
		.amdhsa_user_sgpr_kernarg_preload_length 0
		.amdhsa_user_sgpr_kernarg_preload_offset 0
		.amdhsa_user_sgpr_private_segment_size 0
		.amdhsa_uses_dynamic_stack 0
		.amdhsa_system_sgpr_private_segment_wavefront_offset 0
		.amdhsa_system_sgpr_workgroup_id_x 1
		.amdhsa_system_sgpr_workgroup_id_y 0
		.amdhsa_system_sgpr_workgroup_id_z 0
		.amdhsa_system_sgpr_workgroup_info 0
		.amdhsa_system_vgpr_workitem_id 0
		.amdhsa_next_free_vgpr 16
		.amdhsa_next_free_sgpr 17
		.amdhsa_accum_offset 16
		.amdhsa_reserve_vcc 1
		.amdhsa_reserve_flat_scratch 0
		.amdhsa_float_round_mode_32 0
		.amdhsa_float_round_mode_16_64 0
		.amdhsa_float_denorm_mode_32 3
		.amdhsa_float_denorm_mode_16_64 3
		.amdhsa_dx10_clamp 1
		.amdhsa_ieee_mode 1
		.amdhsa_fp16_overflow 0
		.amdhsa_tg_split 0
		.amdhsa_exception_fp_ieee_invalid_op 0
		.amdhsa_exception_fp_denorm_src 0
		.amdhsa_exception_fp_ieee_div_zero 0
		.amdhsa_exception_fp_ieee_overflow 0
		.amdhsa_exception_fp_ieee_underflow 0
		.amdhsa_exception_fp_ieee_inexact 0
		.amdhsa_exception_int_div_zero 0
	.end_amdhsa_kernel
	.section	.text._ZN7rocprim17ROCPRIM_400000_NS6detail17trampoline_kernelINS0_14default_configENS1_29binary_search_config_selectorIdbEEZNS1_14transform_implILb0ES3_S5_N6thrust23THRUST_200600_302600_NS17counting_iteratorIdNS8_11use_defaultESA_SA_EEPbZNS1_13binary_searchIS3_S5_PdSB_SC_NS1_16binary_search_opENS8_6detail16wrapped_functionINS0_4lessIvEEbEEEE10hipError_tPvRmT1_T2_T3_mmT4_T5_P12ihipStream_tbEUlRKdE_EESL_SP_SQ_mSR_SU_bEUlT_E_NS1_11comp_targetILNS1_3genE4ELNS1_11target_archE910ELNS1_3gpuE8ELNS1_3repE0EEENS1_30default_config_static_selectorELNS0_4arch9wavefront6targetE1EEEvSO_,"axG",@progbits,_ZN7rocprim17ROCPRIM_400000_NS6detail17trampoline_kernelINS0_14default_configENS1_29binary_search_config_selectorIdbEEZNS1_14transform_implILb0ES3_S5_N6thrust23THRUST_200600_302600_NS17counting_iteratorIdNS8_11use_defaultESA_SA_EEPbZNS1_13binary_searchIS3_S5_PdSB_SC_NS1_16binary_search_opENS8_6detail16wrapped_functionINS0_4lessIvEEbEEEE10hipError_tPvRmT1_T2_T3_mmT4_T5_P12ihipStream_tbEUlRKdE_EESL_SP_SQ_mSR_SU_bEUlT_E_NS1_11comp_targetILNS1_3genE4ELNS1_11target_archE910ELNS1_3gpuE8ELNS1_3repE0EEENS1_30default_config_static_selectorELNS0_4arch9wavefront6targetE1EEEvSO_,comdat
.Lfunc_end172:
	.size	_ZN7rocprim17ROCPRIM_400000_NS6detail17trampoline_kernelINS0_14default_configENS1_29binary_search_config_selectorIdbEEZNS1_14transform_implILb0ES3_S5_N6thrust23THRUST_200600_302600_NS17counting_iteratorIdNS8_11use_defaultESA_SA_EEPbZNS1_13binary_searchIS3_S5_PdSB_SC_NS1_16binary_search_opENS8_6detail16wrapped_functionINS0_4lessIvEEbEEEE10hipError_tPvRmT1_T2_T3_mmT4_T5_P12ihipStream_tbEUlRKdE_EESL_SP_SQ_mSR_SU_bEUlT_E_NS1_11comp_targetILNS1_3genE4ELNS1_11target_archE910ELNS1_3gpuE8ELNS1_3repE0EEENS1_30default_config_static_selectorELNS0_4arch9wavefront6targetE1EEEvSO_, .Lfunc_end172-_ZN7rocprim17ROCPRIM_400000_NS6detail17trampoline_kernelINS0_14default_configENS1_29binary_search_config_selectorIdbEEZNS1_14transform_implILb0ES3_S5_N6thrust23THRUST_200600_302600_NS17counting_iteratorIdNS8_11use_defaultESA_SA_EEPbZNS1_13binary_searchIS3_S5_PdSB_SC_NS1_16binary_search_opENS8_6detail16wrapped_functionINS0_4lessIvEEbEEEE10hipError_tPvRmT1_T2_T3_mmT4_T5_P12ihipStream_tbEUlRKdE_EESL_SP_SQ_mSR_SU_bEUlT_E_NS1_11comp_targetILNS1_3genE4ELNS1_11target_archE910ELNS1_3gpuE8ELNS1_3repE0EEENS1_30default_config_static_selectorELNS0_4arch9wavefront6targetE1EEEvSO_
                                        ; -- End function
	.section	.AMDGPU.csdata,"",@progbits
; Kernel info:
; codeLenInByte = 680
; NumSgprs: 21
; NumVgprs: 16
; NumAgprs: 0
; TotalNumVgprs: 16
; ScratchSize: 0
; MemoryBound: 0
; FloatMode: 240
; IeeeMode: 1
; LDSByteSize: 0 bytes/workgroup (compile time only)
; SGPRBlocks: 2
; VGPRBlocks: 1
; NumSGPRsForWavesPerEU: 21
; NumVGPRsForWavesPerEU: 16
; AccumOffset: 16
; Occupancy: 8
; WaveLimiterHint : 0
; COMPUTE_PGM_RSRC2:SCRATCH_EN: 0
; COMPUTE_PGM_RSRC2:USER_SGPR: 6
; COMPUTE_PGM_RSRC2:TRAP_HANDLER: 0
; COMPUTE_PGM_RSRC2:TGID_X_EN: 1
; COMPUTE_PGM_RSRC2:TGID_Y_EN: 0
; COMPUTE_PGM_RSRC2:TGID_Z_EN: 0
; COMPUTE_PGM_RSRC2:TIDIG_COMP_CNT: 0
; COMPUTE_PGM_RSRC3_GFX90A:ACCUM_OFFSET: 3
; COMPUTE_PGM_RSRC3_GFX90A:TG_SPLIT: 0
	.section	.text._ZN7rocprim17ROCPRIM_400000_NS6detail17trampoline_kernelINS0_14default_configENS1_29binary_search_config_selectorIdbEEZNS1_14transform_implILb0ES3_S5_N6thrust23THRUST_200600_302600_NS17counting_iteratorIdNS8_11use_defaultESA_SA_EEPbZNS1_13binary_searchIS3_S5_PdSB_SC_NS1_16binary_search_opENS8_6detail16wrapped_functionINS0_4lessIvEEbEEEE10hipError_tPvRmT1_T2_T3_mmT4_T5_P12ihipStream_tbEUlRKdE_EESL_SP_SQ_mSR_SU_bEUlT_E_NS1_11comp_targetILNS1_3genE3ELNS1_11target_archE908ELNS1_3gpuE7ELNS1_3repE0EEENS1_30default_config_static_selectorELNS0_4arch9wavefront6targetE1EEEvSO_,"axG",@progbits,_ZN7rocprim17ROCPRIM_400000_NS6detail17trampoline_kernelINS0_14default_configENS1_29binary_search_config_selectorIdbEEZNS1_14transform_implILb0ES3_S5_N6thrust23THRUST_200600_302600_NS17counting_iteratorIdNS8_11use_defaultESA_SA_EEPbZNS1_13binary_searchIS3_S5_PdSB_SC_NS1_16binary_search_opENS8_6detail16wrapped_functionINS0_4lessIvEEbEEEE10hipError_tPvRmT1_T2_T3_mmT4_T5_P12ihipStream_tbEUlRKdE_EESL_SP_SQ_mSR_SU_bEUlT_E_NS1_11comp_targetILNS1_3genE3ELNS1_11target_archE908ELNS1_3gpuE7ELNS1_3repE0EEENS1_30default_config_static_selectorELNS0_4arch9wavefront6targetE1EEEvSO_,comdat
	.protected	_ZN7rocprim17ROCPRIM_400000_NS6detail17trampoline_kernelINS0_14default_configENS1_29binary_search_config_selectorIdbEEZNS1_14transform_implILb0ES3_S5_N6thrust23THRUST_200600_302600_NS17counting_iteratorIdNS8_11use_defaultESA_SA_EEPbZNS1_13binary_searchIS3_S5_PdSB_SC_NS1_16binary_search_opENS8_6detail16wrapped_functionINS0_4lessIvEEbEEEE10hipError_tPvRmT1_T2_T3_mmT4_T5_P12ihipStream_tbEUlRKdE_EESL_SP_SQ_mSR_SU_bEUlT_E_NS1_11comp_targetILNS1_3genE3ELNS1_11target_archE908ELNS1_3gpuE7ELNS1_3repE0EEENS1_30default_config_static_selectorELNS0_4arch9wavefront6targetE1EEEvSO_ ; -- Begin function _ZN7rocprim17ROCPRIM_400000_NS6detail17trampoline_kernelINS0_14default_configENS1_29binary_search_config_selectorIdbEEZNS1_14transform_implILb0ES3_S5_N6thrust23THRUST_200600_302600_NS17counting_iteratorIdNS8_11use_defaultESA_SA_EEPbZNS1_13binary_searchIS3_S5_PdSB_SC_NS1_16binary_search_opENS8_6detail16wrapped_functionINS0_4lessIvEEbEEEE10hipError_tPvRmT1_T2_T3_mmT4_T5_P12ihipStream_tbEUlRKdE_EESL_SP_SQ_mSR_SU_bEUlT_E_NS1_11comp_targetILNS1_3genE3ELNS1_11target_archE908ELNS1_3gpuE7ELNS1_3repE0EEENS1_30default_config_static_selectorELNS0_4arch9wavefront6targetE1EEEvSO_
	.globl	_ZN7rocprim17ROCPRIM_400000_NS6detail17trampoline_kernelINS0_14default_configENS1_29binary_search_config_selectorIdbEEZNS1_14transform_implILb0ES3_S5_N6thrust23THRUST_200600_302600_NS17counting_iteratorIdNS8_11use_defaultESA_SA_EEPbZNS1_13binary_searchIS3_S5_PdSB_SC_NS1_16binary_search_opENS8_6detail16wrapped_functionINS0_4lessIvEEbEEEE10hipError_tPvRmT1_T2_T3_mmT4_T5_P12ihipStream_tbEUlRKdE_EESL_SP_SQ_mSR_SU_bEUlT_E_NS1_11comp_targetILNS1_3genE3ELNS1_11target_archE908ELNS1_3gpuE7ELNS1_3repE0EEENS1_30default_config_static_selectorELNS0_4arch9wavefront6targetE1EEEvSO_
	.p2align	8
	.type	_ZN7rocprim17ROCPRIM_400000_NS6detail17trampoline_kernelINS0_14default_configENS1_29binary_search_config_selectorIdbEEZNS1_14transform_implILb0ES3_S5_N6thrust23THRUST_200600_302600_NS17counting_iteratorIdNS8_11use_defaultESA_SA_EEPbZNS1_13binary_searchIS3_S5_PdSB_SC_NS1_16binary_search_opENS8_6detail16wrapped_functionINS0_4lessIvEEbEEEE10hipError_tPvRmT1_T2_T3_mmT4_T5_P12ihipStream_tbEUlRKdE_EESL_SP_SQ_mSR_SU_bEUlT_E_NS1_11comp_targetILNS1_3genE3ELNS1_11target_archE908ELNS1_3gpuE7ELNS1_3repE0EEENS1_30default_config_static_selectorELNS0_4arch9wavefront6targetE1EEEvSO_,@function
_ZN7rocprim17ROCPRIM_400000_NS6detail17trampoline_kernelINS0_14default_configENS1_29binary_search_config_selectorIdbEEZNS1_14transform_implILb0ES3_S5_N6thrust23THRUST_200600_302600_NS17counting_iteratorIdNS8_11use_defaultESA_SA_EEPbZNS1_13binary_searchIS3_S5_PdSB_SC_NS1_16binary_search_opENS8_6detail16wrapped_functionINS0_4lessIvEEbEEEE10hipError_tPvRmT1_T2_T3_mmT4_T5_P12ihipStream_tbEUlRKdE_EESL_SP_SQ_mSR_SU_bEUlT_E_NS1_11comp_targetILNS1_3genE3ELNS1_11target_archE908ELNS1_3gpuE7ELNS1_3repE0EEENS1_30default_config_static_selectorELNS0_4arch9wavefront6targetE1EEEvSO_: ; @_ZN7rocprim17ROCPRIM_400000_NS6detail17trampoline_kernelINS0_14default_configENS1_29binary_search_config_selectorIdbEEZNS1_14transform_implILb0ES3_S5_N6thrust23THRUST_200600_302600_NS17counting_iteratorIdNS8_11use_defaultESA_SA_EEPbZNS1_13binary_searchIS3_S5_PdSB_SC_NS1_16binary_search_opENS8_6detail16wrapped_functionINS0_4lessIvEEbEEEE10hipError_tPvRmT1_T2_T3_mmT4_T5_P12ihipStream_tbEUlRKdE_EESL_SP_SQ_mSR_SU_bEUlT_E_NS1_11comp_targetILNS1_3genE3ELNS1_11target_archE908ELNS1_3gpuE7ELNS1_3repE0EEENS1_30default_config_static_selectorELNS0_4arch9wavefront6targetE1EEEvSO_
; %bb.0:
	.section	.rodata,"a",@progbits
	.p2align	6, 0x0
	.amdhsa_kernel _ZN7rocprim17ROCPRIM_400000_NS6detail17trampoline_kernelINS0_14default_configENS1_29binary_search_config_selectorIdbEEZNS1_14transform_implILb0ES3_S5_N6thrust23THRUST_200600_302600_NS17counting_iteratorIdNS8_11use_defaultESA_SA_EEPbZNS1_13binary_searchIS3_S5_PdSB_SC_NS1_16binary_search_opENS8_6detail16wrapped_functionINS0_4lessIvEEbEEEE10hipError_tPvRmT1_T2_T3_mmT4_T5_P12ihipStream_tbEUlRKdE_EESL_SP_SQ_mSR_SU_bEUlT_E_NS1_11comp_targetILNS1_3genE3ELNS1_11target_archE908ELNS1_3gpuE7ELNS1_3repE0EEENS1_30default_config_static_selectorELNS0_4arch9wavefront6targetE1EEEvSO_
		.amdhsa_group_segment_fixed_size 0
		.amdhsa_private_segment_fixed_size 0
		.amdhsa_kernarg_size 56
		.amdhsa_user_sgpr_count 6
		.amdhsa_user_sgpr_private_segment_buffer 1
		.amdhsa_user_sgpr_dispatch_ptr 0
		.amdhsa_user_sgpr_queue_ptr 0
		.amdhsa_user_sgpr_kernarg_segment_ptr 1
		.amdhsa_user_sgpr_dispatch_id 0
		.amdhsa_user_sgpr_flat_scratch_init 0
		.amdhsa_user_sgpr_kernarg_preload_length 0
		.amdhsa_user_sgpr_kernarg_preload_offset 0
		.amdhsa_user_sgpr_private_segment_size 0
		.amdhsa_uses_dynamic_stack 0
		.amdhsa_system_sgpr_private_segment_wavefront_offset 0
		.amdhsa_system_sgpr_workgroup_id_x 1
		.amdhsa_system_sgpr_workgroup_id_y 0
		.amdhsa_system_sgpr_workgroup_id_z 0
		.amdhsa_system_sgpr_workgroup_info 0
		.amdhsa_system_vgpr_workitem_id 0
		.amdhsa_next_free_vgpr 1
		.amdhsa_next_free_sgpr 0
		.amdhsa_accum_offset 4
		.amdhsa_reserve_vcc 0
		.amdhsa_reserve_flat_scratch 0
		.amdhsa_float_round_mode_32 0
		.amdhsa_float_round_mode_16_64 0
		.amdhsa_float_denorm_mode_32 3
		.amdhsa_float_denorm_mode_16_64 3
		.amdhsa_dx10_clamp 1
		.amdhsa_ieee_mode 1
		.amdhsa_fp16_overflow 0
		.amdhsa_tg_split 0
		.amdhsa_exception_fp_ieee_invalid_op 0
		.amdhsa_exception_fp_denorm_src 0
		.amdhsa_exception_fp_ieee_div_zero 0
		.amdhsa_exception_fp_ieee_overflow 0
		.amdhsa_exception_fp_ieee_underflow 0
		.amdhsa_exception_fp_ieee_inexact 0
		.amdhsa_exception_int_div_zero 0
	.end_amdhsa_kernel
	.section	.text._ZN7rocprim17ROCPRIM_400000_NS6detail17trampoline_kernelINS0_14default_configENS1_29binary_search_config_selectorIdbEEZNS1_14transform_implILb0ES3_S5_N6thrust23THRUST_200600_302600_NS17counting_iteratorIdNS8_11use_defaultESA_SA_EEPbZNS1_13binary_searchIS3_S5_PdSB_SC_NS1_16binary_search_opENS8_6detail16wrapped_functionINS0_4lessIvEEbEEEE10hipError_tPvRmT1_T2_T3_mmT4_T5_P12ihipStream_tbEUlRKdE_EESL_SP_SQ_mSR_SU_bEUlT_E_NS1_11comp_targetILNS1_3genE3ELNS1_11target_archE908ELNS1_3gpuE7ELNS1_3repE0EEENS1_30default_config_static_selectorELNS0_4arch9wavefront6targetE1EEEvSO_,"axG",@progbits,_ZN7rocprim17ROCPRIM_400000_NS6detail17trampoline_kernelINS0_14default_configENS1_29binary_search_config_selectorIdbEEZNS1_14transform_implILb0ES3_S5_N6thrust23THRUST_200600_302600_NS17counting_iteratorIdNS8_11use_defaultESA_SA_EEPbZNS1_13binary_searchIS3_S5_PdSB_SC_NS1_16binary_search_opENS8_6detail16wrapped_functionINS0_4lessIvEEbEEEE10hipError_tPvRmT1_T2_T3_mmT4_T5_P12ihipStream_tbEUlRKdE_EESL_SP_SQ_mSR_SU_bEUlT_E_NS1_11comp_targetILNS1_3genE3ELNS1_11target_archE908ELNS1_3gpuE7ELNS1_3repE0EEENS1_30default_config_static_selectorELNS0_4arch9wavefront6targetE1EEEvSO_,comdat
.Lfunc_end173:
	.size	_ZN7rocprim17ROCPRIM_400000_NS6detail17trampoline_kernelINS0_14default_configENS1_29binary_search_config_selectorIdbEEZNS1_14transform_implILb0ES3_S5_N6thrust23THRUST_200600_302600_NS17counting_iteratorIdNS8_11use_defaultESA_SA_EEPbZNS1_13binary_searchIS3_S5_PdSB_SC_NS1_16binary_search_opENS8_6detail16wrapped_functionINS0_4lessIvEEbEEEE10hipError_tPvRmT1_T2_T3_mmT4_T5_P12ihipStream_tbEUlRKdE_EESL_SP_SQ_mSR_SU_bEUlT_E_NS1_11comp_targetILNS1_3genE3ELNS1_11target_archE908ELNS1_3gpuE7ELNS1_3repE0EEENS1_30default_config_static_selectorELNS0_4arch9wavefront6targetE1EEEvSO_, .Lfunc_end173-_ZN7rocprim17ROCPRIM_400000_NS6detail17trampoline_kernelINS0_14default_configENS1_29binary_search_config_selectorIdbEEZNS1_14transform_implILb0ES3_S5_N6thrust23THRUST_200600_302600_NS17counting_iteratorIdNS8_11use_defaultESA_SA_EEPbZNS1_13binary_searchIS3_S5_PdSB_SC_NS1_16binary_search_opENS8_6detail16wrapped_functionINS0_4lessIvEEbEEEE10hipError_tPvRmT1_T2_T3_mmT4_T5_P12ihipStream_tbEUlRKdE_EESL_SP_SQ_mSR_SU_bEUlT_E_NS1_11comp_targetILNS1_3genE3ELNS1_11target_archE908ELNS1_3gpuE7ELNS1_3repE0EEENS1_30default_config_static_selectorELNS0_4arch9wavefront6targetE1EEEvSO_
                                        ; -- End function
	.section	.AMDGPU.csdata,"",@progbits
; Kernel info:
; codeLenInByte = 0
; NumSgprs: 4
; NumVgprs: 0
; NumAgprs: 0
; TotalNumVgprs: 0
; ScratchSize: 0
; MemoryBound: 0
; FloatMode: 240
; IeeeMode: 1
; LDSByteSize: 0 bytes/workgroup (compile time only)
; SGPRBlocks: 0
; VGPRBlocks: 0
; NumSGPRsForWavesPerEU: 4
; NumVGPRsForWavesPerEU: 1
; AccumOffset: 4
; Occupancy: 8
; WaveLimiterHint : 0
; COMPUTE_PGM_RSRC2:SCRATCH_EN: 0
; COMPUTE_PGM_RSRC2:USER_SGPR: 6
; COMPUTE_PGM_RSRC2:TRAP_HANDLER: 0
; COMPUTE_PGM_RSRC2:TGID_X_EN: 1
; COMPUTE_PGM_RSRC2:TGID_Y_EN: 0
; COMPUTE_PGM_RSRC2:TGID_Z_EN: 0
; COMPUTE_PGM_RSRC2:TIDIG_COMP_CNT: 0
; COMPUTE_PGM_RSRC3_GFX90A:ACCUM_OFFSET: 0
; COMPUTE_PGM_RSRC3_GFX90A:TG_SPLIT: 0
	.section	.text._ZN7rocprim17ROCPRIM_400000_NS6detail17trampoline_kernelINS0_14default_configENS1_29binary_search_config_selectorIdbEEZNS1_14transform_implILb0ES3_S5_N6thrust23THRUST_200600_302600_NS17counting_iteratorIdNS8_11use_defaultESA_SA_EEPbZNS1_13binary_searchIS3_S5_PdSB_SC_NS1_16binary_search_opENS8_6detail16wrapped_functionINS0_4lessIvEEbEEEE10hipError_tPvRmT1_T2_T3_mmT4_T5_P12ihipStream_tbEUlRKdE_EESL_SP_SQ_mSR_SU_bEUlT_E_NS1_11comp_targetILNS1_3genE2ELNS1_11target_archE906ELNS1_3gpuE6ELNS1_3repE0EEENS1_30default_config_static_selectorELNS0_4arch9wavefront6targetE1EEEvSO_,"axG",@progbits,_ZN7rocprim17ROCPRIM_400000_NS6detail17trampoline_kernelINS0_14default_configENS1_29binary_search_config_selectorIdbEEZNS1_14transform_implILb0ES3_S5_N6thrust23THRUST_200600_302600_NS17counting_iteratorIdNS8_11use_defaultESA_SA_EEPbZNS1_13binary_searchIS3_S5_PdSB_SC_NS1_16binary_search_opENS8_6detail16wrapped_functionINS0_4lessIvEEbEEEE10hipError_tPvRmT1_T2_T3_mmT4_T5_P12ihipStream_tbEUlRKdE_EESL_SP_SQ_mSR_SU_bEUlT_E_NS1_11comp_targetILNS1_3genE2ELNS1_11target_archE906ELNS1_3gpuE6ELNS1_3repE0EEENS1_30default_config_static_selectorELNS0_4arch9wavefront6targetE1EEEvSO_,comdat
	.protected	_ZN7rocprim17ROCPRIM_400000_NS6detail17trampoline_kernelINS0_14default_configENS1_29binary_search_config_selectorIdbEEZNS1_14transform_implILb0ES3_S5_N6thrust23THRUST_200600_302600_NS17counting_iteratorIdNS8_11use_defaultESA_SA_EEPbZNS1_13binary_searchIS3_S5_PdSB_SC_NS1_16binary_search_opENS8_6detail16wrapped_functionINS0_4lessIvEEbEEEE10hipError_tPvRmT1_T2_T3_mmT4_T5_P12ihipStream_tbEUlRKdE_EESL_SP_SQ_mSR_SU_bEUlT_E_NS1_11comp_targetILNS1_3genE2ELNS1_11target_archE906ELNS1_3gpuE6ELNS1_3repE0EEENS1_30default_config_static_selectorELNS0_4arch9wavefront6targetE1EEEvSO_ ; -- Begin function _ZN7rocprim17ROCPRIM_400000_NS6detail17trampoline_kernelINS0_14default_configENS1_29binary_search_config_selectorIdbEEZNS1_14transform_implILb0ES3_S5_N6thrust23THRUST_200600_302600_NS17counting_iteratorIdNS8_11use_defaultESA_SA_EEPbZNS1_13binary_searchIS3_S5_PdSB_SC_NS1_16binary_search_opENS8_6detail16wrapped_functionINS0_4lessIvEEbEEEE10hipError_tPvRmT1_T2_T3_mmT4_T5_P12ihipStream_tbEUlRKdE_EESL_SP_SQ_mSR_SU_bEUlT_E_NS1_11comp_targetILNS1_3genE2ELNS1_11target_archE906ELNS1_3gpuE6ELNS1_3repE0EEENS1_30default_config_static_selectorELNS0_4arch9wavefront6targetE1EEEvSO_
	.globl	_ZN7rocprim17ROCPRIM_400000_NS6detail17trampoline_kernelINS0_14default_configENS1_29binary_search_config_selectorIdbEEZNS1_14transform_implILb0ES3_S5_N6thrust23THRUST_200600_302600_NS17counting_iteratorIdNS8_11use_defaultESA_SA_EEPbZNS1_13binary_searchIS3_S5_PdSB_SC_NS1_16binary_search_opENS8_6detail16wrapped_functionINS0_4lessIvEEbEEEE10hipError_tPvRmT1_T2_T3_mmT4_T5_P12ihipStream_tbEUlRKdE_EESL_SP_SQ_mSR_SU_bEUlT_E_NS1_11comp_targetILNS1_3genE2ELNS1_11target_archE906ELNS1_3gpuE6ELNS1_3repE0EEENS1_30default_config_static_selectorELNS0_4arch9wavefront6targetE1EEEvSO_
	.p2align	8
	.type	_ZN7rocprim17ROCPRIM_400000_NS6detail17trampoline_kernelINS0_14default_configENS1_29binary_search_config_selectorIdbEEZNS1_14transform_implILb0ES3_S5_N6thrust23THRUST_200600_302600_NS17counting_iteratorIdNS8_11use_defaultESA_SA_EEPbZNS1_13binary_searchIS3_S5_PdSB_SC_NS1_16binary_search_opENS8_6detail16wrapped_functionINS0_4lessIvEEbEEEE10hipError_tPvRmT1_T2_T3_mmT4_T5_P12ihipStream_tbEUlRKdE_EESL_SP_SQ_mSR_SU_bEUlT_E_NS1_11comp_targetILNS1_3genE2ELNS1_11target_archE906ELNS1_3gpuE6ELNS1_3repE0EEENS1_30default_config_static_selectorELNS0_4arch9wavefront6targetE1EEEvSO_,@function
_ZN7rocprim17ROCPRIM_400000_NS6detail17trampoline_kernelINS0_14default_configENS1_29binary_search_config_selectorIdbEEZNS1_14transform_implILb0ES3_S5_N6thrust23THRUST_200600_302600_NS17counting_iteratorIdNS8_11use_defaultESA_SA_EEPbZNS1_13binary_searchIS3_S5_PdSB_SC_NS1_16binary_search_opENS8_6detail16wrapped_functionINS0_4lessIvEEbEEEE10hipError_tPvRmT1_T2_T3_mmT4_T5_P12ihipStream_tbEUlRKdE_EESL_SP_SQ_mSR_SU_bEUlT_E_NS1_11comp_targetILNS1_3genE2ELNS1_11target_archE906ELNS1_3gpuE6ELNS1_3repE0EEENS1_30default_config_static_selectorELNS0_4arch9wavefront6targetE1EEEvSO_: ; @_ZN7rocprim17ROCPRIM_400000_NS6detail17trampoline_kernelINS0_14default_configENS1_29binary_search_config_selectorIdbEEZNS1_14transform_implILb0ES3_S5_N6thrust23THRUST_200600_302600_NS17counting_iteratorIdNS8_11use_defaultESA_SA_EEPbZNS1_13binary_searchIS3_S5_PdSB_SC_NS1_16binary_search_opENS8_6detail16wrapped_functionINS0_4lessIvEEbEEEE10hipError_tPvRmT1_T2_T3_mmT4_T5_P12ihipStream_tbEUlRKdE_EESL_SP_SQ_mSR_SU_bEUlT_E_NS1_11comp_targetILNS1_3genE2ELNS1_11target_archE906ELNS1_3gpuE6ELNS1_3repE0EEENS1_30default_config_static_selectorELNS0_4arch9wavefront6targetE1EEEvSO_
; %bb.0:
	.section	.rodata,"a",@progbits
	.p2align	6, 0x0
	.amdhsa_kernel _ZN7rocprim17ROCPRIM_400000_NS6detail17trampoline_kernelINS0_14default_configENS1_29binary_search_config_selectorIdbEEZNS1_14transform_implILb0ES3_S5_N6thrust23THRUST_200600_302600_NS17counting_iteratorIdNS8_11use_defaultESA_SA_EEPbZNS1_13binary_searchIS3_S5_PdSB_SC_NS1_16binary_search_opENS8_6detail16wrapped_functionINS0_4lessIvEEbEEEE10hipError_tPvRmT1_T2_T3_mmT4_T5_P12ihipStream_tbEUlRKdE_EESL_SP_SQ_mSR_SU_bEUlT_E_NS1_11comp_targetILNS1_3genE2ELNS1_11target_archE906ELNS1_3gpuE6ELNS1_3repE0EEENS1_30default_config_static_selectorELNS0_4arch9wavefront6targetE1EEEvSO_
		.amdhsa_group_segment_fixed_size 0
		.amdhsa_private_segment_fixed_size 0
		.amdhsa_kernarg_size 56
		.amdhsa_user_sgpr_count 6
		.amdhsa_user_sgpr_private_segment_buffer 1
		.amdhsa_user_sgpr_dispatch_ptr 0
		.amdhsa_user_sgpr_queue_ptr 0
		.amdhsa_user_sgpr_kernarg_segment_ptr 1
		.amdhsa_user_sgpr_dispatch_id 0
		.amdhsa_user_sgpr_flat_scratch_init 0
		.amdhsa_user_sgpr_kernarg_preload_length 0
		.amdhsa_user_sgpr_kernarg_preload_offset 0
		.amdhsa_user_sgpr_private_segment_size 0
		.amdhsa_uses_dynamic_stack 0
		.amdhsa_system_sgpr_private_segment_wavefront_offset 0
		.amdhsa_system_sgpr_workgroup_id_x 1
		.amdhsa_system_sgpr_workgroup_id_y 0
		.amdhsa_system_sgpr_workgroup_id_z 0
		.amdhsa_system_sgpr_workgroup_info 0
		.amdhsa_system_vgpr_workitem_id 0
		.amdhsa_next_free_vgpr 1
		.amdhsa_next_free_sgpr 0
		.amdhsa_accum_offset 4
		.amdhsa_reserve_vcc 0
		.amdhsa_reserve_flat_scratch 0
		.amdhsa_float_round_mode_32 0
		.amdhsa_float_round_mode_16_64 0
		.amdhsa_float_denorm_mode_32 3
		.amdhsa_float_denorm_mode_16_64 3
		.amdhsa_dx10_clamp 1
		.amdhsa_ieee_mode 1
		.amdhsa_fp16_overflow 0
		.amdhsa_tg_split 0
		.amdhsa_exception_fp_ieee_invalid_op 0
		.amdhsa_exception_fp_denorm_src 0
		.amdhsa_exception_fp_ieee_div_zero 0
		.amdhsa_exception_fp_ieee_overflow 0
		.amdhsa_exception_fp_ieee_underflow 0
		.amdhsa_exception_fp_ieee_inexact 0
		.amdhsa_exception_int_div_zero 0
	.end_amdhsa_kernel
	.section	.text._ZN7rocprim17ROCPRIM_400000_NS6detail17trampoline_kernelINS0_14default_configENS1_29binary_search_config_selectorIdbEEZNS1_14transform_implILb0ES3_S5_N6thrust23THRUST_200600_302600_NS17counting_iteratorIdNS8_11use_defaultESA_SA_EEPbZNS1_13binary_searchIS3_S5_PdSB_SC_NS1_16binary_search_opENS8_6detail16wrapped_functionINS0_4lessIvEEbEEEE10hipError_tPvRmT1_T2_T3_mmT4_T5_P12ihipStream_tbEUlRKdE_EESL_SP_SQ_mSR_SU_bEUlT_E_NS1_11comp_targetILNS1_3genE2ELNS1_11target_archE906ELNS1_3gpuE6ELNS1_3repE0EEENS1_30default_config_static_selectorELNS0_4arch9wavefront6targetE1EEEvSO_,"axG",@progbits,_ZN7rocprim17ROCPRIM_400000_NS6detail17trampoline_kernelINS0_14default_configENS1_29binary_search_config_selectorIdbEEZNS1_14transform_implILb0ES3_S5_N6thrust23THRUST_200600_302600_NS17counting_iteratorIdNS8_11use_defaultESA_SA_EEPbZNS1_13binary_searchIS3_S5_PdSB_SC_NS1_16binary_search_opENS8_6detail16wrapped_functionINS0_4lessIvEEbEEEE10hipError_tPvRmT1_T2_T3_mmT4_T5_P12ihipStream_tbEUlRKdE_EESL_SP_SQ_mSR_SU_bEUlT_E_NS1_11comp_targetILNS1_3genE2ELNS1_11target_archE906ELNS1_3gpuE6ELNS1_3repE0EEENS1_30default_config_static_selectorELNS0_4arch9wavefront6targetE1EEEvSO_,comdat
.Lfunc_end174:
	.size	_ZN7rocprim17ROCPRIM_400000_NS6detail17trampoline_kernelINS0_14default_configENS1_29binary_search_config_selectorIdbEEZNS1_14transform_implILb0ES3_S5_N6thrust23THRUST_200600_302600_NS17counting_iteratorIdNS8_11use_defaultESA_SA_EEPbZNS1_13binary_searchIS3_S5_PdSB_SC_NS1_16binary_search_opENS8_6detail16wrapped_functionINS0_4lessIvEEbEEEE10hipError_tPvRmT1_T2_T3_mmT4_T5_P12ihipStream_tbEUlRKdE_EESL_SP_SQ_mSR_SU_bEUlT_E_NS1_11comp_targetILNS1_3genE2ELNS1_11target_archE906ELNS1_3gpuE6ELNS1_3repE0EEENS1_30default_config_static_selectorELNS0_4arch9wavefront6targetE1EEEvSO_, .Lfunc_end174-_ZN7rocprim17ROCPRIM_400000_NS6detail17trampoline_kernelINS0_14default_configENS1_29binary_search_config_selectorIdbEEZNS1_14transform_implILb0ES3_S5_N6thrust23THRUST_200600_302600_NS17counting_iteratorIdNS8_11use_defaultESA_SA_EEPbZNS1_13binary_searchIS3_S5_PdSB_SC_NS1_16binary_search_opENS8_6detail16wrapped_functionINS0_4lessIvEEbEEEE10hipError_tPvRmT1_T2_T3_mmT4_T5_P12ihipStream_tbEUlRKdE_EESL_SP_SQ_mSR_SU_bEUlT_E_NS1_11comp_targetILNS1_3genE2ELNS1_11target_archE906ELNS1_3gpuE6ELNS1_3repE0EEENS1_30default_config_static_selectorELNS0_4arch9wavefront6targetE1EEEvSO_
                                        ; -- End function
	.section	.AMDGPU.csdata,"",@progbits
; Kernel info:
; codeLenInByte = 0
; NumSgprs: 4
; NumVgprs: 0
; NumAgprs: 0
; TotalNumVgprs: 0
; ScratchSize: 0
; MemoryBound: 0
; FloatMode: 240
; IeeeMode: 1
; LDSByteSize: 0 bytes/workgroup (compile time only)
; SGPRBlocks: 0
; VGPRBlocks: 0
; NumSGPRsForWavesPerEU: 4
; NumVGPRsForWavesPerEU: 1
; AccumOffset: 4
; Occupancy: 8
; WaveLimiterHint : 0
; COMPUTE_PGM_RSRC2:SCRATCH_EN: 0
; COMPUTE_PGM_RSRC2:USER_SGPR: 6
; COMPUTE_PGM_RSRC2:TRAP_HANDLER: 0
; COMPUTE_PGM_RSRC2:TGID_X_EN: 1
; COMPUTE_PGM_RSRC2:TGID_Y_EN: 0
; COMPUTE_PGM_RSRC2:TGID_Z_EN: 0
; COMPUTE_PGM_RSRC2:TIDIG_COMP_CNT: 0
; COMPUTE_PGM_RSRC3_GFX90A:ACCUM_OFFSET: 0
; COMPUTE_PGM_RSRC3_GFX90A:TG_SPLIT: 0
	.section	.text._ZN7rocprim17ROCPRIM_400000_NS6detail17trampoline_kernelINS0_14default_configENS1_29binary_search_config_selectorIdbEEZNS1_14transform_implILb0ES3_S5_N6thrust23THRUST_200600_302600_NS17counting_iteratorIdNS8_11use_defaultESA_SA_EEPbZNS1_13binary_searchIS3_S5_PdSB_SC_NS1_16binary_search_opENS8_6detail16wrapped_functionINS0_4lessIvEEbEEEE10hipError_tPvRmT1_T2_T3_mmT4_T5_P12ihipStream_tbEUlRKdE_EESL_SP_SQ_mSR_SU_bEUlT_E_NS1_11comp_targetILNS1_3genE10ELNS1_11target_archE1201ELNS1_3gpuE5ELNS1_3repE0EEENS1_30default_config_static_selectorELNS0_4arch9wavefront6targetE1EEEvSO_,"axG",@progbits,_ZN7rocprim17ROCPRIM_400000_NS6detail17trampoline_kernelINS0_14default_configENS1_29binary_search_config_selectorIdbEEZNS1_14transform_implILb0ES3_S5_N6thrust23THRUST_200600_302600_NS17counting_iteratorIdNS8_11use_defaultESA_SA_EEPbZNS1_13binary_searchIS3_S5_PdSB_SC_NS1_16binary_search_opENS8_6detail16wrapped_functionINS0_4lessIvEEbEEEE10hipError_tPvRmT1_T2_T3_mmT4_T5_P12ihipStream_tbEUlRKdE_EESL_SP_SQ_mSR_SU_bEUlT_E_NS1_11comp_targetILNS1_3genE10ELNS1_11target_archE1201ELNS1_3gpuE5ELNS1_3repE0EEENS1_30default_config_static_selectorELNS0_4arch9wavefront6targetE1EEEvSO_,comdat
	.protected	_ZN7rocprim17ROCPRIM_400000_NS6detail17trampoline_kernelINS0_14default_configENS1_29binary_search_config_selectorIdbEEZNS1_14transform_implILb0ES3_S5_N6thrust23THRUST_200600_302600_NS17counting_iteratorIdNS8_11use_defaultESA_SA_EEPbZNS1_13binary_searchIS3_S5_PdSB_SC_NS1_16binary_search_opENS8_6detail16wrapped_functionINS0_4lessIvEEbEEEE10hipError_tPvRmT1_T2_T3_mmT4_T5_P12ihipStream_tbEUlRKdE_EESL_SP_SQ_mSR_SU_bEUlT_E_NS1_11comp_targetILNS1_3genE10ELNS1_11target_archE1201ELNS1_3gpuE5ELNS1_3repE0EEENS1_30default_config_static_selectorELNS0_4arch9wavefront6targetE1EEEvSO_ ; -- Begin function _ZN7rocprim17ROCPRIM_400000_NS6detail17trampoline_kernelINS0_14default_configENS1_29binary_search_config_selectorIdbEEZNS1_14transform_implILb0ES3_S5_N6thrust23THRUST_200600_302600_NS17counting_iteratorIdNS8_11use_defaultESA_SA_EEPbZNS1_13binary_searchIS3_S5_PdSB_SC_NS1_16binary_search_opENS8_6detail16wrapped_functionINS0_4lessIvEEbEEEE10hipError_tPvRmT1_T2_T3_mmT4_T5_P12ihipStream_tbEUlRKdE_EESL_SP_SQ_mSR_SU_bEUlT_E_NS1_11comp_targetILNS1_3genE10ELNS1_11target_archE1201ELNS1_3gpuE5ELNS1_3repE0EEENS1_30default_config_static_selectorELNS0_4arch9wavefront6targetE1EEEvSO_
	.globl	_ZN7rocprim17ROCPRIM_400000_NS6detail17trampoline_kernelINS0_14default_configENS1_29binary_search_config_selectorIdbEEZNS1_14transform_implILb0ES3_S5_N6thrust23THRUST_200600_302600_NS17counting_iteratorIdNS8_11use_defaultESA_SA_EEPbZNS1_13binary_searchIS3_S5_PdSB_SC_NS1_16binary_search_opENS8_6detail16wrapped_functionINS0_4lessIvEEbEEEE10hipError_tPvRmT1_T2_T3_mmT4_T5_P12ihipStream_tbEUlRKdE_EESL_SP_SQ_mSR_SU_bEUlT_E_NS1_11comp_targetILNS1_3genE10ELNS1_11target_archE1201ELNS1_3gpuE5ELNS1_3repE0EEENS1_30default_config_static_selectorELNS0_4arch9wavefront6targetE1EEEvSO_
	.p2align	8
	.type	_ZN7rocprim17ROCPRIM_400000_NS6detail17trampoline_kernelINS0_14default_configENS1_29binary_search_config_selectorIdbEEZNS1_14transform_implILb0ES3_S5_N6thrust23THRUST_200600_302600_NS17counting_iteratorIdNS8_11use_defaultESA_SA_EEPbZNS1_13binary_searchIS3_S5_PdSB_SC_NS1_16binary_search_opENS8_6detail16wrapped_functionINS0_4lessIvEEbEEEE10hipError_tPvRmT1_T2_T3_mmT4_T5_P12ihipStream_tbEUlRKdE_EESL_SP_SQ_mSR_SU_bEUlT_E_NS1_11comp_targetILNS1_3genE10ELNS1_11target_archE1201ELNS1_3gpuE5ELNS1_3repE0EEENS1_30default_config_static_selectorELNS0_4arch9wavefront6targetE1EEEvSO_,@function
_ZN7rocprim17ROCPRIM_400000_NS6detail17trampoline_kernelINS0_14default_configENS1_29binary_search_config_selectorIdbEEZNS1_14transform_implILb0ES3_S5_N6thrust23THRUST_200600_302600_NS17counting_iteratorIdNS8_11use_defaultESA_SA_EEPbZNS1_13binary_searchIS3_S5_PdSB_SC_NS1_16binary_search_opENS8_6detail16wrapped_functionINS0_4lessIvEEbEEEE10hipError_tPvRmT1_T2_T3_mmT4_T5_P12ihipStream_tbEUlRKdE_EESL_SP_SQ_mSR_SU_bEUlT_E_NS1_11comp_targetILNS1_3genE10ELNS1_11target_archE1201ELNS1_3gpuE5ELNS1_3repE0EEENS1_30default_config_static_selectorELNS0_4arch9wavefront6targetE1EEEvSO_: ; @_ZN7rocprim17ROCPRIM_400000_NS6detail17trampoline_kernelINS0_14default_configENS1_29binary_search_config_selectorIdbEEZNS1_14transform_implILb0ES3_S5_N6thrust23THRUST_200600_302600_NS17counting_iteratorIdNS8_11use_defaultESA_SA_EEPbZNS1_13binary_searchIS3_S5_PdSB_SC_NS1_16binary_search_opENS8_6detail16wrapped_functionINS0_4lessIvEEbEEEE10hipError_tPvRmT1_T2_T3_mmT4_T5_P12ihipStream_tbEUlRKdE_EESL_SP_SQ_mSR_SU_bEUlT_E_NS1_11comp_targetILNS1_3genE10ELNS1_11target_archE1201ELNS1_3gpuE5ELNS1_3repE0EEENS1_30default_config_static_selectorELNS0_4arch9wavefront6targetE1EEEvSO_
; %bb.0:
	.section	.rodata,"a",@progbits
	.p2align	6, 0x0
	.amdhsa_kernel _ZN7rocprim17ROCPRIM_400000_NS6detail17trampoline_kernelINS0_14default_configENS1_29binary_search_config_selectorIdbEEZNS1_14transform_implILb0ES3_S5_N6thrust23THRUST_200600_302600_NS17counting_iteratorIdNS8_11use_defaultESA_SA_EEPbZNS1_13binary_searchIS3_S5_PdSB_SC_NS1_16binary_search_opENS8_6detail16wrapped_functionINS0_4lessIvEEbEEEE10hipError_tPvRmT1_T2_T3_mmT4_T5_P12ihipStream_tbEUlRKdE_EESL_SP_SQ_mSR_SU_bEUlT_E_NS1_11comp_targetILNS1_3genE10ELNS1_11target_archE1201ELNS1_3gpuE5ELNS1_3repE0EEENS1_30default_config_static_selectorELNS0_4arch9wavefront6targetE1EEEvSO_
		.amdhsa_group_segment_fixed_size 0
		.amdhsa_private_segment_fixed_size 0
		.amdhsa_kernarg_size 56
		.amdhsa_user_sgpr_count 6
		.amdhsa_user_sgpr_private_segment_buffer 1
		.amdhsa_user_sgpr_dispatch_ptr 0
		.amdhsa_user_sgpr_queue_ptr 0
		.amdhsa_user_sgpr_kernarg_segment_ptr 1
		.amdhsa_user_sgpr_dispatch_id 0
		.amdhsa_user_sgpr_flat_scratch_init 0
		.amdhsa_user_sgpr_kernarg_preload_length 0
		.amdhsa_user_sgpr_kernarg_preload_offset 0
		.amdhsa_user_sgpr_private_segment_size 0
		.amdhsa_uses_dynamic_stack 0
		.amdhsa_system_sgpr_private_segment_wavefront_offset 0
		.amdhsa_system_sgpr_workgroup_id_x 1
		.amdhsa_system_sgpr_workgroup_id_y 0
		.amdhsa_system_sgpr_workgroup_id_z 0
		.amdhsa_system_sgpr_workgroup_info 0
		.amdhsa_system_vgpr_workitem_id 0
		.amdhsa_next_free_vgpr 1
		.amdhsa_next_free_sgpr 0
		.amdhsa_accum_offset 4
		.amdhsa_reserve_vcc 0
		.amdhsa_reserve_flat_scratch 0
		.amdhsa_float_round_mode_32 0
		.amdhsa_float_round_mode_16_64 0
		.amdhsa_float_denorm_mode_32 3
		.amdhsa_float_denorm_mode_16_64 3
		.amdhsa_dx10_clamp 1
		.amdhsa_ieee_mode 1
		.amdhsa_fp16_overflow 0
		.amdhsa_tg_split 0
		.amdhsa_exception_fp_ieee_invalid_op 0
		.amdhsa_exception_fp_denorm_src 0
		.amdhsa_exception_fp_ieee_div_zero 0
		.amdhsa_exception_fp_ieee_overflow 0
		.amdhsa_exception_fp_ieee_underflow 0
		.amdhsa_exception_fp_ieee_inexact 0
		.amdhsa_exception_int_div_zero 0
	.end_amdhsa_kernel
	.section	.text._ZN7rocprim17ROCPRIM_400000_NS6detail17trampoline_kernelINS0_14default_configENS1_29binary_search_config_selectorIdbEEZNS1_14transform_implILb0ES3_S5_N6thrust23THRUST_200600_302600_NS17counting_iteratorIdNS8_11use_defaultESA_SA_EEPbZNS1_13binary_searchIS3_S5_PdSB_SC_NS1_16binary_search_opENS8_6detail16wrapped_functionINS0_4lessIvEEbEEEE10hipError_tPvRmT1_T2_T3_mmT4_T5_P12ihipStream_tbEUlRKdE_EESL_SP_SQ_mSR_SU_bEUlT_E_NS1_11comp_targetILNS1_3genE10ELNS1_11target_archE1201ELNS1_3gpuE5ELNS1_3repE0EEENS1_30default_config_static_selectorELNS0_4arch9wavefront6targetE1EEEvSO_,"axG",@progbits,_ZN7rocprim17ROCPRIM_400000_NS6detail17trampoline_kernelINS0_14default_configENS1_29binary_search_config_selectorIdbEEZNS1_14transform_implILb0ES3_S5_N6thrust23THRUST_200600_302600_NS17counting_iteratorIdNS8_11use_defaultESA_SA_EEPbZNS1_13binary_searchIS3_S5_PdSB_SC_NS1_16binary_search_opENS8_6detail16wrapped_functionINS0_4lessIvEEbEEEE10hipError_tPvRmT1_T2_T3_mmT4_T5_P12ihipStream_tbEUlRKdE_EESL_SP_SQ_mSR_SU_bEUlT_E_NS1_11comp_targetILNS1_3genE10ELNS1_11target_archE1201ELNS1_3gpuE5ELNS1_3repE0EEENS1_30default_config_static_selectorELNS0_4arch9wavefront6targetE1EEEvSO_,comdat
.Lfunc_end175:
	.size	_ZN7rocprim17ROCPRIM_400000_NS6detail17trampoline_kernelINS0_14default_configENS1_29binary_search_config_selectorIdbEEZNS1_14transform_implILb0ES3_S5_N6thrust23THRUST_200600_302600_NS17counting_iteratorIdNS8_11use_defaultESA_SA_EEPbZNS1_13binary_searchIS3_S5_PdSB_SC_NS1_16binary_search_opENS8_6detail16wrapped_functionINS0_4lessIvEEbEEEE10hipError_tPvRmT1_T2_T3_mmT4_T5_P12ihipStream_tbEUlRKdE_EESL_SP_SQ_mSR_SU_bEUlT_E_NS1_11comp_targetILNS1_3genE10ELNS1_11target_archE1201ELNS1_3gpuE5ELNS1_3repE0EEENS1_30default_config_static_selectorELNS0_4arch9wavefront6targetE1EEEvSO_, .Lfunc_end175-_ZN7rocprim17ROCPRIM_400000_NS6detail17trampoline_kernelINS0_14default_configENS1_29binary_search_config_selectorIdbEEZNS1_14transform_implILb0ES3_S5_N6thrust23THRUST_200600_302600_NS17counting_iteratorIdNS8_11use_defaultESA_SA_EEPbZNS1_13binary_searchIS3_S5_PdSB_SC_NS1_16binary_search_opENS8_6detail16wrapped_functionINS0_4lessIvEEbEEEE10hipError_tPvRmT1_T2_T3_mmT4_T5_P12ihipStream_tbEUlRKdE_EESL_SP_SQ_mSR_SU_bEUlT_E_NS1_11comp_targetILNS1_3genE10ELNS1_11target_archE1201ELNS1_3gpuE5ELNS1_3repE0EEENS1_30default_config_static_selectorELNS0_4arch9wavefront6targetE1EEEvSO_
                                        ; -- End function
	.section	.AMDGPU.csdata,"",@progbits
; Kernel info:
; codeLenInByte = 0
; NumSgprs: 4
; NumVgprs: 0
; NumAgprs: 0
; TotalNumVgprs: 0
; ScratchSize: 0
; MemoryBound: 0
; FloatMode: 240
; IeeeMode: 1
; LDSByteSize: 0 bytes/workgroup (compile time only)
; SGPRBlocks: 0
; VGPRBlocks: 0
; NumSGPRsForWavesPerEU: 4
; NumVGPRsForWavesPerEU: 1
; AccumOffset: 4
; Occupancy: 8
; WaveLimiterHint : 0
; COMPUTE_PGM_RSRC2:SCRATCH_EN: 0
; COMPUTE_PGM_RSRC2:USER_SGPR: 6
; COMPUTE_PGM_RSRC2:TRAP_HANDLER: 0
; COMPUTE_PGM_RSRC2:TGID_X_EN: 1
; COMPUTE_PGM_RSRC2:TGID_Y_EN: 0
; COMPUTE_PGM_RSRC2:TGID_Z_EN: 0
; COMPUTE_PGM_RSRC2:TIDIG_COMP_CNT: 0
; COMPUTE_PGM_RSRC3_GFX90A:ACCUM_OFFSET: 0
; COMPUTE_PGM_RSRC3_GFX90A:TG_SPLIT: 0
	.section	.text._ZN7rocprim17ROCPRIM_400000_NS6detail17trampoline_kernelINS0_14default_configENS1_29binary_search_config_selectorIdbEEZNS1_14transform_implILb0ES3_S5_N6thrust23THRUST_200600_302600_NS17counting_iteratorIdNS8_11use_defaultESA_SA_EEPbZNS1_13binary_searchIS3_S5_PdSB_SC_NS1_16binary_search_opENS8_6detail16wrapped_functionINS0_4lessIvEEbEEEE10hipError_tPvRmT1_T2_T3_mmT4_T5_P12ihipStream_tbEUlRKdE_EESL_SP_SQ_mSR_SU_bEUlT_E_NS1_11comp_targetILNS1_3genE10ELNS1_11target_archE1200ELNS1_3gpuE4ELNS1_3repE0EEENS1_30default_config_static_selectorELNS0_4arch9wavefront6targetE1EEEvSO_,"axG",@progbits,_ZN7rocprim17ROCPRIM_400000_NS6detail17trampoline_kernelINS0_14default_configENS1_29binary_search_config_selectorIdbEEZNS1_14transform_implILb0ES3_S5_N6thrust23THRUST_200600_302600_NS17counting_iteratorIdNS8_11use_defaultESA_SA_EEPbZNS1_13binary_searchIS3_S5_PdSB_SC_NS1_16binary_search_opENS8_6detail16wrapped_functionINS0_4lessIvEEbEEEE10hipError_tPvRmT1_T2_T3_mmT4_T5_P12ihipStream_tbEUlRKdE_EESL_SP_SQ_mSR_SU_bEUlT_E_NS1_11comp_targetILNS1_3genE10ELNS1_11target_archE1200ELNS1_3gpuE4ELNS1_3repE0EEENS1_30default_config_static_selectorELNS0_4arch9wavefront6targetE1EEEvSO_,comdat
	.protected	_ZN7rocprim17ROCPRIM_400000_NS6detail17trampoline_kernelINS0_14default_configENS1_29binary_search_config_selectorIdbEEZNS1_14transform_implILb0ES3_S5_N6thrust23THRUST_200600_302600_NS17counting_iteratorIdNS8_11use_defaultESA_SA_EEPbZNS1_13binary_searchIS3_S5_PdSB_SC_NS1_16binary_search_opENS8_6detail16wrapped_functionINS0_4lessIvEEbEEEE10hipError_tPvRmT1_T2_T3_mmT4_T5_P12ihipStream_tbEUlRKdE_EESL_SP_SQ_mSR_SU_bEUlT_E_NS1_11comp_targetILNS1_3genE10ELNS1_11target_archE1200ELNS1_3gpuE4ELNS1_3repE0EEENS1_30default_config_static_selectorELNS0_4arch9wavefront6targetE1EEEvSO_ ; -- Begin function _ZN7rocprim17ROCPRIM_400000_NS6detail17trampoline_kernelINS0_14default_configENS1_29binary_search_config_selectorIdbEEZNS1_14transform_implILb0ES3_S5_N6thrust23THRUST_200600_302600_NS17counting_iteratorIdNS8_11use_defaultESA_SA_EEPbZNS1_13binary_searchIS3_S5_PdSB_SC_NS1_16binary_search_opENS8_6detail16wrapped_functionINS0_4lessIvEEbEEEE10hipError_tPvRmT1_T2_T3_mmT4_T5_P12ihipStream_tbEUlRKdE_EESL_SP_SQ_mSR_SU_bEUlT_E_NS1_11comp_targetILNS1_3genE10ELNS1_11target_archE1200ELNS1_3gpuE4ELNS1_3repE0EEENS1_30default_config_static_selectorELNS0_4arch9wavefront6targetE1EEEvSO_
	.globl	_ZN7rocprim17ROCPRIM_400000_NS6detail17trampoline_kernelINS0_14default_configENS1_29binary_search_config_selectorIdbEEZNS1_14transform_implILb0ES3_S5_N6thrust23THRUST_200600_302600_NS17counting_iteratorIdNS8_11use_defaultESA_SA_EEPbZNS1_13binary_searchIS3_S5_PdSB_SC_NS1_16binary_search_opENS8_6detail16wrapped_functionINS0_4lessIvEEbEEEE10hipError_tPvRmT1_T2_T3_mmT4_T5_P12ihipStream_tbEUlRKdE_EESL_SP_SQ_mSR_SU_bEUlT_E_NS1_11comp_targetILNS1_3genE10ELNS1_11target_archE1200ELNS1_3gpuE4ELNS1_3repE0EEENS1_30default_config_static_selectorELNS0_4arch9wavefront6targetE1EEEvSO_
	.p2align	8
	.type	_ZN7rocprim17ROCPRIM_400000_NS6detail17trampoline_kernelINS0_14default_configENS1_29binary_search_config_selectorIdbEEZNS1_14transform_implILb0ES3_S5_N6thrust23THRUST_200600_302600_NS17counting_iteratorIdNS8_11use_defaultESA_SA_EEPbZNS1_13binary_searchIS3_S5_PdSB_SC_NS1_16binary_search_opENS8_6detail16wrapped_functionINS0_4lessIvEEbEEEE10hipError_tPvRmT1_T2_T3_mmT4_T5_P12ihipStream_tbEUlRKdE_EESL_SP_SQ_mSR_SU_bEUlT_E_NS1_11comp_targetILNS1_3genE10ELNS1_11target_archE1200ELNS1_3gpuE4ELNS1_3repE0EEENS1_30default_config_static_selectorELNS0_4arch9wavefront6targetE1EEEvSO_,@function
_ZN7rocprim17ROCPRIM_400000_NS6detail17trampoline_kernelINS0_14default_configENS1_29binary_search_config_selectorIdbEEZNS1_14transform_implILb0ES3_S5_N6thrust23THRUST_200600_302600_NS17counting_iteratorIdNS8_11use_defaultESA_SA_EEPbZNS1_13binary_searchIS3_S5_PdSB_SC_NS1_16binary_search_opENS8_6detail16wrapped_functionINS0_4lessIvEEbEEEE10hipError_tPvRmT1_T2_T3_mmT4_T5_P12ihipStream_tbEUlRKdE_EESL_SP_SQ_mSR_SU_bEUlT_E_NS1_11comp_targetILNS1_3genE10ELNS1_11target_archE1200ELNS1_3gpuE4ELNS1_3repE0EEENS1_30default_config_static_selectorELNS0_4arch9wavefront6targetE1EEEvSO_: ; @_ZN7rocprim17ROCPRIM_400000_NS6detail17trampoline_kernelINS0_14default_configENS1_29binary_search_config_selectorIdbEEZNS1_14transform_implILb0ES3_S5_N6thrust23THRUST_200600_302600_NS17counting_iteratorIdNS8_11use_defaultESA_SA_EEPbZNS1_13binary_searchIS3_S5_PdSB_SC_NS1_16binary_search_opENS8_6detail16wrapped_functionINS0_4lessIvEEbEEEE10hipError_tPvRmT1_T2_T3_mmT4_T5_P12ihipStream_tbEUlRKdE_EESL_SP_SQ_mSR_SU_bEUlT_E_NS1_11comp_targetILNS1_3genE10ELNS1_11target_archE1200ELNS1_3gpuE4ELNS1_3repE0EEENS1_30default_config_static_selectorELNS0_4arch9wavefront6targetE1EEEvSO_
; %bb.0:
	.section	.rodata,"a",@progbits
	.p2align	6, 0x0
	.amdhsa_kernel _ZN7rocprim17ROCPRIM_400000_NS6detail17trampoline_kernelINS0_14default_configENS1_29binary_search_config_selectorIdbEEZNS1_14transform_implILb0ES3_S5_N6thrust23THRUST_200600_302600_NS17counting_iteratorIdNS8_11use_defaultESA_SA_EEPbZNS1_13binary_searchIS3_S5_PdSB_SC_NS1_16binary_search_opENS8_6detail16wrapped_functionINS0_4lessIvEEbEEEE10hipError_tPvRmT1_T2_T3_mmT4_T5_P12ihipStream_tbEUlRKdE_EESL_SP_SQ_mSR_SU_bEUlT_E_NS1_11comp_targetILNS1_3genE10ELNS1_11target_archE1200ELNS1_3gpuE4ELNS1_3repE0EEENS1_30default_config_static_selectorELNS0_4arch9wavefront6targetE1EEEvSO_
		.amdhsa_group_segment_fixed_size 0
		.amdhsa_private_segment_fixed_size 0
		.amdhsa_kernarg_size 56
		.amdhsa_user_sgpr_count 6
		.amdhsa_user_sgpr_private_segment_buffer 1
		.amdhsa_user_sgpr_dispatch_ptr 0
		.amdhsa_user_sgpr_queue_ptr 0
		.amdhsa_user_sgpr_kernarg_segment_ptr 1
		.amdhsa_user_sgpr_dispatch_id 0
		.amdhsa_user_sgpr_flat_scratch_init 0
		.amdhsa_user_sgpr_kernarg_preload_length 0
		.amdhsa_user_sgpr_kernarg_preload_offset 0
		.amdhsa_user_sgpr_private_segment_size 0
		.amdhsa_uses_dynamic_stack 0
		.amdhsa_system_sgpr_private_segment_wavefront_offset 0
		.amdhsa_system_sgpr_workgroup_id_x 1
		.amdhsa_system_sgpr_workgroup_id_y 0
		.amdhsa_system_sgpr_workgroup_id_z 0
		.amdhsa_system_sgpr_workgroup_info 0
		.amdhsa_system_vgpr_workitem_id 0
		.amdhsa_next_free_vgpr 1
		.amdhsa_next_free_sgpr 0
		.amdhsa_accum_offset 4
		.amdhsa_reserve_vcc 0
		.amdhsa_reserve_flat_scratch 0
		.amdhsa_float_round_mode_32 0
		.amdhsa_float_round_mode_16_64 0
		.amdhsa_float_denorm_mode_32 3
		.amdhsa_float_denorm_mode_16_64 3
		.amdhsa_dx10_clamp 1
		.amdhsa_ieee_mode 1
		.amdhsa_fp16_overflow 0
		.amdhsa_tg_split 0
		.amdhsa_exception_fp_ieee_invalid_op 0
		.amdhsa_exception_fp_denorm_src 0
		.amdhsa_exception_fp_ieee_div_zero 0
		.amdhsa_exception_fp_ieee_overflow 0
		.amdhsa_exception_fp_ieee_underflow 0
		.amdhsa_exception_fp_ieee_inexact 0
		.amdhsa_exception_int_div_zero 0
	.end_amdhsa_kernel
	.section	.text._ZN7rocprim17ROCPRIM_400000_NS6detail17trampoline_kernelINS0_14default_configENS1_29binary_search_config_selectorIdbEEZNS1_14transform_implILb0ES3_S5_N6thrust23THRUST_200600_302600_NS17counting_iteratorIdNS8_11use_defaultESA_SA_EEPbZNS1_13binary_searchIS3_S5_PdSB_SC_NS1_16binary_search_opENS8_6detail16wrapped_functionINS0_4lessIvEEbEEEE10hipError_tPvRmT1_T2_T3_mmT4_T5_P12ihipStream_tbEUlRKdE_EESL_SP_SQ_mSR_SU_bEUlT_E_NS1_11comp_targetILNS1_3genE10ELNS1_11target_archE1200ELNS1_3gpuE4ELNS1_3repE0EEENS1_30default_config_static_selectorELNS0_4arch9wavefront6targetE1EEEvSO_,"axG",@progbits,_ZN7rocprim17ROCPRIM_400000_NS6detail17trampoline_kernelINS0_14default_configENS1_29binary_search_config_selectorIdbEEZNS1_14transform_implILb0ES3_S5_N6thrust23THRUST_200600_302600_NS17counting_iteratorIdNS8_11use_defaultESA_SA_EEPbZNS1_13binary_searchIS3_S5_PdSB_SC_NS1_16binary_search_opENS8_6detail16wrapped_functionINS0_4lessIvEEbEEEE10hipError_tPvRmT1_T2_T3_mmT4_T5_P12ihipStream_tbEUlRKdE_EESL_SP_SQ_mSR_SU_bEUlT_E_NS1_11comp_targetILNS1_3genE10ELNS1_11target_archE1200ELNS1_3gpuE4ELNS1_3repE0EEENS1_30default_config_static_selectorELNS0_4arch9wavefront6targetE1EEEvSO_,comdat
.Lfunc_end176:
	.size	_ZN7rocprim17ROCPRIM_400000_NS6detail17trampoline_kernelINS0_14default_configENS1_29binary_search_config_selectorIdbEEZNS1_14transform_implILb0ES3_S5_N6thrust23THRUST_200600_302600_NS17counting_iteratorIdNS8_11use_defaultESA_SA_EEPbZNS1_13binary_searchIS3_S5_PdSB_SC_NS1_16binary_search_opENS8_6detail16wrapped_functionINS0_4lessIvEEbEEEE10hipError_tPvRmT1_T2_T3_mmT4_T5_P12ihipStream_tbEUlRKdE_EESL_SP_SQ_mSR_SU_bEUlT_E_NS1_11comp_targetILNS1_3genE10ELNS1_11target_archE1200ELNS1_3gpuE4ELNS1_3repE0EEENS1_30default_config_static_selectorELNS0_4arch9wavefront6targetE1EEEvSO_, .Lfunc_end176-_ZN7rocprim17ROCPRIM_400000_NS6detail17trampoline_kernelINS0_14default_configENS1_29binary_search_config_selectorIdbEEZNS1_14transform_implILb0ES3_S5_N6thrust23THRUST_200600_302600_NS17counting_iteratorIdNS8_11use_defaultESA_SA_EEPbZNS1_13binary_searchIS3_S5_PdSB_SC_NS1_16binary_search_opENS8_6detail16wrapped_functionINS0_4lessIvEEbEEEE10hipError_tPvRmT1_T2_T3_mmT4_T5_P12ihipStream_tbEUlRKdE_EESL_SP_SQ_mSR_SU_bEUlT_E_NS1_11comp_targetILNS1_3genE10ELNS1_11target_archE1200ELNS1_3gpuE4ELNS1_3repE0EEENS1_30default_config_static_selectorELNS0_4arch9wavefront6targetE1EEEvSO_
                                        ; -- End function
	.section	.AMDGPU.csdata,"",@progbits
; Kernel info:
; codeLenInByte = 0
; NumSgprs: 4
; NumVgprs: 0
; NumAgprs: 0
; TotalNumVgprs: 0
; ScratchSize: 0
; MemoryBound: 0
; FloatMode: 240
; IeeeMode: 1
; LDSByteSize: 0 bytes/workgroup (compile time only)
; SGPRBlocks: 0
; VGPRBlocks: 0
; NumSGPRsForWavesPerEU: 4
; NumVGPRsForWavesPerEU: 1
; AccumOffset: 4
; Occupancy: 8
; WaveLimiterHint : 0
; COMPUTE_PGM_RSRC2:SCRATCH_EN: 0
; COMPUTE_PGM_RSRC2:USER_SGPR: 6
; COMPUTE_PGM_RSRC2:TRAP_HANDLER: 0
; COMPUTE_PGM_RSRC2:TGID_X_EN: 1
; COMPUTE_PGM_RSRC2:TGID_Y_EN: 0
; COMPUTE_PGM_RSRC2:TGID_Z_EN: 0
; COMPUTE_PGM_RSRC2:TIDIG_COMP_CNT: 0
; COMPUTE_PGM_RSRC3_GFX90A:ACCUM_OFFSET: 0
; COMPUTE_PGM_RSRC3_GFX90A:TG_SPLIT: 0
	.section	.text._ZN7rocprim17ROCPRIM_400000_NS6detail17trampoline_kernelINS0_14default_configENS1_29binary_search_config_selectorIdbEEZNS1_14transform_implILb0ES3_S5_N6thrust23THRUST_200600_302600_NS17counting_iteratorIdNS8_11use_defaultESA_SA_EEPbZNS1_13binary_searchIS3_S5_PdSB_SC_NS1_16binary_search_opENS8_6detail16wrapped_functionINS0_4lessIvEEbEEEE10hipError_tPvRmT1_T2_T3_mmT4_T5_P12ihipStream_tbEUlRKdE_EESL_SP_SQ_mSR_SU_bEUlT_E_NS1_11comp_targetILNS1_3genE9ELNS1_11target_archE1100ELNS1_3gpuE3ELNS1_3repE0EEENS1_30default_config_static_selectorELNS0_4arch9wavefront6targetE1EEEvSO_,"axG",@progbits,_ZN7rocprim17ROCPRIM_400000_NS6detail17trampoline_kernelINS0_14default_configENS1_29binary_search_config_selectorIdbEEZNS1_14transform_implILb0ES3_S5_N6thrust23THRUST_200600_302600_NS17counting_iteratorIdNS8_11use_defaultESA_SA_EEPbZNS1_13binary_searchIS3_S5_PdSB_SC_NS1_16binary_search_opENS8_6detail16wrapped_functionINS0_4lessIvEEbEEEE10hipError_tPvRmT1_T2_T3_mmT4_T5_P12ihipStream_tbEUlRKdE_EESL_SP_SQ_mSR_SU_bEUlT_E_NS1_11comp_targetILNS1_3genE9ELNS1_11target_archE1100ELNS1_3gpuE3ELNS1_3repE0EEENS1_30default_config_static_selectorELNS0_4arch9wavefront6targetE1EEEvSO_,comdat
	.protected	_ZN7rocprim17ROCPRIM_400000_NS6detail17trampoline_kernelINS0_14default_configENS1_29binary_search_config_selectorIdbEEZNS1_14transform_implILb0ES3_S5_N6thrust23THRUST_200600_302600_NS17counting_iteratorIdNS8_11use_defaultESA_SA_EEPbZNS1_13binary_searchIS3_S5_PdSB_SC_NS1_16binary_search_opENS8_6detail16wrapped_functionINS0_4lessIvEEbEEEE10hipError_tPvRmT1_T2_T3_mmT4_T5_P12ihipStream_tbEUlRKdE_EESL_SP_SQ_mSR_SU_bEUlT_E_NS1_11comp_targetILNS1_3genE9ELNS1_11target_archE1100ELNS1_3gpuE3ELNS1_3repE0EEENS1_30default_config_static_selectorELNS0_4arch9wavefront6targetE1EEEvSO_ ; -- Begin function _ZN7rocprim17ROCPRIM_400000_NS6detail17trampoline_kernelINS0_14default_configENS1_29binary_search_config_selectorIdbEEZNS1_14transform_implILb0ES3_S5_N6thrust23THRUST_200600_302600_NS17counting_iteratorIdNS8_11use_defaultESA_SA_EEPbZNS1_13binary_searchIS3_S5_PdSB_SC_NS1_16binary_search_opENS8_6detail16wrapped_functionINS0_4lessIvEEbEEEE10hipError_tPvRmT1_T2_T3_mmT4_T5_P12ihipStream_tbEUlRKdE_EESL_SP_SQ_mSR_SU_bEUlT_E_NS1_11comp_targetILNS1_3genE9ELNS1_11target_archE1100ELNS1_3gpuE3ELNS1_3repE0EEENS1_30default_config_static_selectorELNS0_4arch9wavefront6targetE1EEEvSO_
	.globl	_ZN7rocprim17ROCPRIM_400000_NS6detail17trampoline_kernelINS0_14default_configENS1_29binary_search_config_selectorIdbEEZNS1_14transform_implILb0ES3_S5_N6thrust23THRUST_200600_302600_NS17counting_iteratorIdNS8_11use_defaultESA_SA_EEPbZNS1_13binary_searchIS3_S5_PdSB_SC_NS1_16binary_search_opENS8_6detail16wrapped_functionINS0_4lessIvEEbEEEE10hipError_tPvRmT1_T2_T3_mmT4_T5_P12ihipStream_tbEUlRKdE_EESL_SP_SQ_mSR_SU_bEUlT_E_NS1_11comp_targetILNS1_3genE9ELNS1_11target_archE1100ELNS1_3gpuE3ELNS1_3repE0EEENS1_30default_config_static_selectorELNS0_4arch9wavefront6targetE1EEEvSO_
	.p2align	8
	.type	_ZN7rocprim17ROCPRIM_400000_NS6detail17trampoline_kernelINS0_14default_configENS1_29binary_search_config_selectorIdbEEZNS1_14transform_implILb0ES3_S5_N6thrust23THRUST_200600_302600_NS17counting_iteratorIdNS8_11use_defaultESA_SA_EEPbZNS1_13binary_searchIS3_S5_PdSB_SC_NS1_16binary_search_opENS8_6detail16wrapped_functionINS0_4lessIvEEbEEEE10hipError_tPvRmT1_T2_T3_mmT4_T5_P12ihipStream_tbEUlRKdE_EESL_SP_SQ_mSR_SU_bEUlT_E_NS1_11comp_targetILNS1_3genE9ELNS1_11target_archE1100ELNS1_3gpuE3ELNS1_3repE0EEENS1_30default_config_static_selectorELNS0_4arch9wavefront6targetE1EEEvSO_,@function
_ZN7rocprim17ROCPRIM_400000_NS6detail17trampoline_kernelINS0_14default_configENS1_29binary_search_config_selectorIdbEEZNS1_14transform_implILb0ES3_S5_N6thrust23THRUST_200600_302600_NS17counting_iteratorIdNS8_11use_defaultESA_SA_EEPbZNS1_13binary_searchIS3_S5_PdSB_SC_NS1_16binary_search_opENS8_6detail16wrapped_functionINS0_4lessIvEEbEEEE10hipError_tPvRmT1_T2_T3_mmT4_T5_P12ihipStream_tbEUlRKdE_EESL_SP_SQ_mSR_SU_bEUlT_E_NS1_11comp_targetILNS1_3genE9ELNS1_11target_archE1100ELNS1_3gpuE3ELNS1_3repE0EEENS1_30default_config_static_selectorELNS0_4arch9wavefront6targetE1EEEvSO_: ; @_ZN7rocprim17ROCPRIM_400000_NS6detail17trampoline_kernelINS0_14default_configENS1_29binary_search_config_selectorIdbEEZNS1_14transform_implILb0ES3_S5_N6thrust23THRUST_200600_302600_NS17counting_iteratorIdNS8_11use_defaultESA_SA_EEPbZNS1_13binary_searchIS3_S5_PdSB_SC_NS1_16binary_search_opENS8_6detail16wrapped_functionINS0_4lessIvEEbEEEE10hipError_tPvRmT1_T2_T3_mmT4_T5_P12ihipStream_tbEUlRKdE_EESL_SP_SQ_mSR_SU_bEUlT_E_NS1_11comp_targetILNS1_3genE9ELNS1_11target_archE1100ELNS1_3gpuE3ELNS1_3repE0EEENS1_30default_config_static_selectorELNS0_4arch9wavefront6targetE1EEEvSO_
; %bb.0:
	.section	.rodata,"a",@progbits
	.p2align	6, 0x0
	.amdhsa_kernel _ZN7rocprim17ROCPRIM_400000_NS6detail17trampoline_kernelINS0_14default_configENS1_29binary_search_config_selectorIdbEEZNS1_14transform_implILb0ES3_S5_N6thrust23THRUST_200600_302600_NS17counting_iteratorIdNS8_11use_defaultESA_SA_EEPbZNS1_13binary_searchIS3_S5_PdSB_SC_NS1_16binary_search_opENS8_6detail16wrapped_functionINS0_4lessIvEEbEEEE10hipError_tPvRmT1_T2_T3_mmT4_T5_P12ihipStream_tbEUlRKdE_EESL_SP_SQ_mSR_SU_bEUlT_E_NS1_11comp_targetILNS1_3genE9ELNS1_11target_archE1100ELNS1_3gpuE3ELNS1_3repE0EEENS1_30default_config_static_selectorELNS0_4arch9wavefront6targetE1EEEvSO_
		.amdhsa_group_segment_fixed_size 0
		.amdhsa_private_segment_fixed_size 0
		.amdhsa_kernarg_size 56
		.amdhsa_user_sgpr_count 6
		.amdhsa_user_sgpr_private_segment_buffer 1
		.amdhsa_user_sgpr_dispatch_ptr 0
		.amdhsa_user_sgpr_queue_ptr 0
		.amdhsa_user_sgpr_kernarg_segment_ptr 1
		.amdhsa_user_sgpr_dispatch_id 0
		.amdhsa_user_sgpr_flat_scratch_init 0
		.amdhsa_user_sgpr_kernarg_preload_length 0
		.amdhsa_user_sgpr_kernarg_preload_offset 0
		.amdhsa_user_sgpr_private_segment_size 0
		.amdhsa_uses_dynamic_stack 0
		.amdhsa_system_sgpr_private_segment_wavefront_offset 0
		.amdhsa_system_sgpr_workgroup_id_x 1
		.amdhsa_system_sgpr_workgroup_id_y 0
		.amdhsa_system_sgpr_workgroup_id_z 0
		.amdhsa_system_sgpr_workgroup_info 0
		.amdhsa_system_vgpr_workitem_id 0
		.amdhsa_next_free_vgpr 1
		.amdhsa_next_free_sgpr 0
		.amdhsa_accum_offset 4
		.amdhsa_reserve_vcc 0
		.amdhsa_reserve_flat_scratch 0
		.amdhsa_float_round_mode_32 0
		.amdhsa_float_round_mode_16_64 0
		.amdhsa_float_denorm_mode_32 3
		.amdhsa_float_denorm_mode_16_64 3
		.amdhsa_dx10_clamp 1
		.amdhsa_ieee_mode 1
		.amdhsa_fp16_overflow 0
		.amdhsa_tg_split 0
		.amdhsa_exception_fp_ieee_invalid_op 0
		.amdhsa_exception_fp_denorm_src 0
		.amdhsa_exception_fp_ieee_div_zero 0
		.amdhsa_exception_fp_ieee_overflow 0
		.amdhsa_exception_fp_ieee_underflow 0
		.amdhsa_exception_fp_ieee_inexact 0
		.amdhsa_exception_int_div_zero 0
	.end_amdhsa_kernel
	.section	.text._ZN7rocprim17ROCPRIM_400000_NS6detail17trampoline_kernelINS0_14default_configENS1_29binary_search_config_selectorIdbEEZNS1_14transform_implILb0ES3_S5_N6thrust23THRUST_200600_302600_NS17counting_iteratorIdNS8_11use_defaultESA_SA_EEPbZNS1_13binary_searchIS3_S5_PdSB_SC_NS1_16binary_search_opENS8_6detail16wrapped_functionINS0_4lessIvEEbEEEE10hipError_tPvRmT1_T2_T3_mmT4_T5_P12ihipStream_tbEUlRKdE_EESL_SP_SQ_mSR_SU_bEUlT_E_NS1_11comp_targetILNS1_3genE9ELNS1_11target_archE1100ELNS1_3gpuE3ELNS1_3repE0EEENS1_30default_config_static_selectorELNS0_4arch9wavefront6targetE1EEEvSO_,"axG",@progbits,_ZN7rocprim17ROCPRIM_400000_NS6detail17trampoline_kernelINS0_14default_configENS1_29binary_search_config_selectorIdbEEZNS1_14transform_implILb0ES3_S5_N6thrust23THRUST_200600_302600_NS17counting_iteratorIdNS8_11use_defaultESA_SA_EEPbZNS1_13binary_searchIS3_S5_PdSB_SC_NS1_16binary_search_opENS8_6detail16wrapped_functionINS0_4lessIvEEbEEEE10hipError_tPvRmT1_T2_T3_mmT4_T5_P12ihipStream_tbEUlRKdE_EESL_SP_SQ_mSR_SU_bEUlT_E_NS1_11comp_targetILNS1_3genE9ELNS1_11target_archE1100ELNS1_3gpuE3ELNS1_3repE0EEENS1_30default_config_static_selectorELNS0_4arch9wavefront6targetE1EEEvSO_,comdat
.Lfunc_end177:
	.size	_ZN7rocprim17ROCPRIM_400000_NS6detail17trampoline_kernelINS0_14default_configENS1_29binary_search_config_selectorIdbEEZNS1_14transform_implILb0ES3_S5_N6thrust23THRUST_200600_302600_NS17counting_iteratorIdNS8_11use_defaultESA_SA_EEPbZNS1_13binary_searchIS3_S5_PdSB_SC_NS1_16binary_search_opENS8_6detail16wrapped_functionINS0_4lessIvEEbEEEE10hipError_tPvRmT1_T2_T3_mmT4_T5_P12ihipStream_tbEUlRKdE_EESL_SP_SQ_mSR_SU_bEUlT_E_NS1_11comp_targetILNS1_3genE9ELNS1_11target_archE1100ELNS1_3gpuE3ELNS1_3repE0EEENS1_30default_config_static_selectorELNS0_4arch9wavefront6targetE1EEEvSO_, .Lfunc_end177-_ZN7rocprim17ROCPRIM_400000_NS6detail17trampoline_kernelINS0_14default_configENS1_29binary_search_config_selectorIdbEEZNS1_14transform_implILb0ES3_S5_N6thrust23THRUST_200600_302600_NS17counting_iteratorIdNS8_11use_defaultESA_SA_EEPbZNS1_13binary_searchIS3_S5_PdSB_SC_NS1_16binary_search_opENS8_6detail16wrapped_functionINS0_4lessIvEEbEEEE10hipError_tPvRmT1_T2_T3_mmT4_T5_P12ihipStream_tbEUlRKdE_EESL_SP_SQ_mSR_SU_bEUlT_E_NS1_11comp_targetILNS1_3genE9ELNS1_11target_archE1100ELNS1_3gpuE3ELNS1_3repE0EEENS1_30default_config_static_selectorELNS0_4arch9wavefront6targetE1EEEvSO_
                                        ; -- End function
	.section	.AMDGPU.csdata,"",@progbits
; Kernel info:
; codeLenInByte = 0
; NumSgprs: 4
; NumVgprs: 0
; NumAgprs: 0
; TotalNumVgprs: 0
; ScratchSize: 0
; MemoryBound: 0
; FloatMode: 240
; IeeeMode: 1
; LDSByteSize: 0 bytes/workgroup (compile time only)
; SGPRBlocks: 0
; VGPRBlocks: 0
; NumSGPRsForWavesPerEU: 4
; NumVGPRsForWavesPerEU: 1
; AccumOffset: 4
; Occupancy: 8
; WaveLimiterHint : 0
; COMPUTE_PGM_RSRC2:SCRATCH_EN: 0
; COMPUTE_PGM_RSRC2:USER_SGPR: 6
; COMPUTE_PGM_RSRC2:TRAP_HANDLER: 0
; COMPUTE_PGM_RSRC2:TGID_X_EN: 1
; COMPUTE_PGM_RSRC2:TGID_Y_EN: 0
; COMPUTE_PGM_RSRC2:TGID_Z_EN: 0
; COMPUTE_PGM_RSRC2:TIDIG_COMP_CNT: 0
; COMPUTE_PGM_RSRC3_GFX90A:ACCUM_OFFSET: 0
; COMPUTE_PGM_RSRC3_GFX90A:TG_SPLIT: 0
	.section	.text._ZN7rocprim17ROCPRIM_400000_NS6detail17trampoline_kernelINS0_14default_configENS1_29binary_search_config_selectorIdbEEZNS1_14transform_implILb0ES3_S5_N6thrust23THRUST_200600_302600_NS17counting_iteratorIdNS8_11use_defaultESA_SA_EEPbZNS1_13binary_searchIS3_S5_PdSB_SC_NS1_16binary_search_opENS8_6detail16wrapped_functionINS0_4lessIvEEbEEEE10hipError_tPvRmT1_T2_T3_mmT4_T5_P12ihipStream_tbEUlRKdE_EESL_SP_SQ_mSR_SU_bEUlT_E_NS1_11comp_targetILNS1_3genE8ELNS1_11target_archE1030ELNS1_3gpuE2ELNS1_3repE0EEENS1_30default_config_static_selectorELNS0_4arch9wavefront6targetE1EEEvSO_,"axG",@progbits,_ZN7rocprim17ROCPRIM_400000_NS6detail17trampoline_kernelINS0_14default_configENS1_29binary_search_config_selectorIdbEEZNS1_14transform_implILb0ES3_S5_N6thrust23THRUST_200600_302600_NS17counting_iteratorIdNS8_11use_defaultESA_SA_EEPbZNS1_13binary_searchIS3_S5_PdSB_SC_NS1_16binary_search_opENS8_6detail16wrapped_functionINS0_4lessIvEEbEEEE10hipError_tPvRmT1_T2_T3_mmT4_T5_P12ihipStream_tbEUlRKdE_EESL_SP_SQ_mSR_SU_bEUlT_E_NS1_11comp_targetILNS1_3genE8ELNS1_11target_archE1030ELNS1_3gpuE2ELNS1_3repE0EEENS1_30default_config_static_selectorELNS0_4arch9wavefront6targetE1EEEvSO_,comdat
	.protected	_ZN7rocprim17ROCPRIM_400000_NS6detail17trampoline_kernelINS0_14default_configENS1_29binary_search_config_selectorIdbEEZNS1_14transform_implILb0ES3_S5_N6thrust23THRUST_200600_302600_NS17counting_iteratorIdNS8_11use_defaultESA_SA_EEPbZNS1_13binary_searchIS3_S5_PdSB_SC_NS1_16binary_search_opENS8_6detail16wrapped_functionINS0_4lessIvEEbEEEE10hipError_tPvRmT1_T2_T3_mmT4_T5_P12ihipStream_tbEUlRKdE_EESL_SP_SQ_mSR_SU_bEUlT_E_NS1_11comp_targetILNS1_3genE8ELNS1_11target_archE1030ELNS1_3gpuE2ELNS1_3repE0EEENS1_30default_config_static_selectorELNS0_4arch9wavefront6targetE1EEEvSO_ ; -- Begin function _ZN7rocprim17ROCPRIM_400000_NS6detail17trampoline_kernelINS0_14default_configENS1_29binary_search_config_selectorIdbEEZNS1_14transform_implILb0ES3_S5_N6thrust23THRUST_200600_302600_NS17counting_iteratorIdNS8_11use_defaultESA_SA_EEPbZNS1_13binary_searchIS3_S5_PdSB_SC_NS1_16binary_search_opENS8_6detail16wrapped_functionINS0_4lessIvEEbEEEE10hipError_tPvRmT1_T2_T3_mmT4_T5_P12ihipStream_tbEUlRKdE_EESL_SP_SQ_mSR_SU_bEUlT_E_NS1_11comp_targetILNS1_3genE8ELNS1_11target_archE1030ELNS1_3gpuE2ELNS1_3repE0EEENS1_30default_config_static_selectorELNS0_4arch9wavefront6targetE1EEEvSO_
	.globl	_ZN7rocprim17ROCPRIM_400000_NS6detail17trampoline_kernelINS0_14default_configENS1_29binary_search_config_selectorIdbEEZNS1_14transform_implILb0ES3_S5_N6thrust23THRUST_200600_302600_NS17counting_iteratorIdNS8_11use_defaultESA_SA_EEPbZNS1_13binary_searchIS3_S5_PdSB_SC_NS1_16binary_search_opENS8_6detail16wrapped_functionINS0_4lessIvEEbEEEE10hipError_tPvRmT1_T2_T3_mmT4_T5_P12ihipStream_tbEUlRKdE_EESL_SP_SQ_mSR_SU_bEUlT_E_NS1_11comp_targetILNS1_3genE8ELNS1_11target_archE1030ELNS1_3gpuE2ELNS1_3repE0EEENS1_30default_config_static_selectorELNS0_4arch9wavefront6targetE1EEEvSO_
	.p2align	8
	.type	_ZN7rocprim17ROCPRIM_400000_NS6detail17trampoline_kernelINS0_14default_configENS1_29binary_search_config_selectorIdbEEZNS1_14transform_implILb0ES3_S5_N6thrust23THRUST_200600_302600_NS17counting_iteratorIdNS8_11use_defaultESA_SA_EEPbZNS1_13binary_searchIS3_S5_PdSB_SC_NS1_16binary_search_opENS8_6detail16wrapped_functionINS0_4lessIvEEbEEEE10hipError_tPvRmT1_T2_T3_mmT4_T5_P12ihipStream_tbEUlRKdE_EESL_SP_SQ_mSR_SU_bEUlT_E_NS1_11comp_targetILNS1_3genE8ELNS1_11target_archE1030ELNS1_3gpuE2ELNS1_3repE0EEENS1_30default_config_static_selectorELNS0_4arch9wavefront6targetE1EEEvSO_,@function
_ZN7rocprim17ROCPRIM_400000_NS6detail17trampoline_kernelINS0_14default_configENS1_29binary_search_config_selectorIdbEEZNS1_14transform_implILb0ES3_S5_N6thrust23THRUST_200600_302600_NS17counting_iteratorIdNS8_11use_defaultESA_SA_EEPbZNS1_13binary_searchIS3_S5_PdSB_SC_NS1_16binary_search_opENS8_6detail16wrapped_functionINS0_4lessIvEEbEEEE10hipError_tPvRmT1_T2_T3_mmT4_T5_P12ihipStream_tbEUlRKdE_EESL_SP_SQ_mSR_SU_bEUlT_E_NS1_11comp_targetILNS1_3genE8ELNS1_11target_archE1030ELNS1_3gpuE2ELNS1_3repE0EEENS1_30default_config_static_selectorELNS0_4arch9wavefront6targetE1EEEvSO_: ; @_ZN7rocprim17ROCPRIM_400000_NS6detail17trampoline_kernelINS0_14default_configENS1_29binary_search_config_selectorIdbEEZNS1_14transform_implILb0ES3_S5_N6thrust23THRUST_200600_302600_NS17counting_iteratorIdNS8_11use_defaultESA_SA_EEPbZNS1_13binary_searchIS3_S5_PdSB_SC_NS1_16binary_search_opENS8_6detail16wrapped_functionINS0_4lessIvEEbEEEE10hipError_tPvRmT1_T2_T3_mmT4_T5_P12ihipStream_tbEUlRKdE_EESL_SP_SQ_mSR_SU_bEUlT_E_NS1_11comp_targetILNS1_3genE8ELNS1_11target_archE1030ELNS1_3gpuE2ELNS1_3repE0EEENS1_30default_config_static_selectorELNS0_4arch9wavefront6targetE1EEEvSO_
; %bb.0:
	.section	.rodata,"a",@progbits
	.p2align	6, 0x0
	.amdhsa_kernel _ZN7rocprim17ROCPRIM_400000_NS6detail17trampoline_kernelINS0_14default_configENS1_29binary_search_config_selectorIdbEEZNS1_14transform_implILb0ES3_S5_N6thrust23THRUST_200600_302600_NS17counting_iteratorIdNS8_11use_defaultESA_SA_EEPbZNS1_13binary_searchIS3_S5_PdSB_SC_NS1_16binary_search_opENS8_6detail16wrapped_functionINS0_4lessIvEEbEEEE10hipError_tPvRmT1_T2_T3_mmT4_T5_P12ihipStream_tbEUlRKdE_EESL_SP_SQ_mSR_SU_bEUlT_E_NS1_11comp_targetILNS1_3genE8ELNS1_11target_archE1030ELNS1_3gpuE2ELNS1_3repE0EEENS1_30default_config_static_selectorELNS0_4arch9wavefront6targetE1EEEvSO_
		.amdhsa_group_segment_fixed_size 0
		.amdhsa_private_segment_fixed_size 0
		.amdhsa_kernarg_size 56
		.amdhsa_user_sgpr_count 6
		.amdhsa_user_sgpr_private_segment_buffer 1
		.amdhsa_user_sgpr_dispatch_ptr 0
		.amdhsa_user_sgpr_queue_ptr 0
		.amdhsa_user_sgpr_kernarg_segment_ptr 1
		.amdhsa_user_sgpr_dispatch_id 0
		.amdhsa_user_sgpr_flat_scratch_init 0
		.amdhsa_user_sgpr_kernarg_preload_length 0
		.amdhsa_user_sgpr_kernarg_preload_offset 0
		.amdhsa_user_sgpr_private_segment_size 0
		.amdhsa_uses_dynamic_stack 0
		.amdhsa_system_sgpr_private_segment_wavefront_offset 0
		.amdhsa_system_sgpr_workgroup_id_x 1
		.amdhsa_system_sgpr_workgroup_id_y 0
		.amdhsa_system_sgpr_workgroup_id_z 0
		.amdhsa_system_sgpr_workgroup_info 0
		.amdhsa_system_vgpr_workitem_id 0
		.amdhsa_next_free_vgpr 1
		.amdhsa_next_free_sgpr 0
		.amdhsa_accum_offset 4
		.amdhsa_reserve_vcc 0
		.amdhsa_reserve_flat_scratch 0
		.amdhsa_float_round_mode_32 0
		.amdhsa_float_round_mode_16_64 0
		.amdhsa_float_denorm_mode_32 3
		.amdhsa_float_denorm_mode_16_64 3
		.amdhsa_dx10_clamp 1
		.amdhsa_ieee_mode 1
		.amdhsa_fp16_overflow 0
		.amdhsa_tg_split 0
		.amdhsa_exception_fp_ieee_invalid_op 0
		.amdhsa_exception_fp_denorm_src 0
		.amdhsa_exception_fp_ieee_div_zero 0
		.amdhsa_exception_fp_ieee_overflow 0
		.amdhsa_exception_fp_ieee_underflow 0
		.amdhsa_exception_fp_ieee_inexact 0
		.amdhsa_exception_int_div_zero 0
	.end_amdhsa_kernel
	.section	.text._ZN7rocprim17ROCPRIM_400000_NS6detail17trampoline_kernelINS0_14default_configENS1_29binary_search_config_selectorIdbEEZNS1_14transform_implILb0ES3_S5_N6thrust23THRUST_200600_302600_NS17counting_iteratorIdNS8_11use_defaultESA_SA_EEPbZNS1_13binary_searchIS3_S5_PdSB_SC_NS1_16binary_search_opENS8_6detail16wrapped_functionINS0_4lessIvEEbEEEE10hipError_tPvRmT1_T2_T3_mmT4_T5_P12ihipStream_tbEUlRKdE_EESL_SP_SQ_mSR_SU_bEUlT_E_NS1_11comp_targetILNS1_3genE8ELNS1_11target_archE1030ELNS1_3gpuE2ELNS1_3repE0EEENS1_30default_config_static_selectorELNS0_4arch9wavefront6targetE1EEEvSO_,"axG",@progbits,_ZN7rocprim17ROCPRIM_400000_NS6detail17trampoline_kernelINS0_14default_configENS1_29binary_search_config_selectorIdbEEZNS1_14transform_implILb0ES3_S5_N6thrust23THRUST_200600_302600_NS17counting_iteratorIdNS8_11use_defaultESA_SA_EEPbZNS1_13binary_searchIS3_S5_PdSB_SC_NS1_16binary_search_opENS8_6detail16wrapped_functionINS0_4lessIvEEbEEEE10hipError_tPvRmT1_T2_T3_mmT4_T5_P12ihipStream_tbEUlRKdE_EESL_SP_SQ_mSR_SU_bEUlT_E_NS1_11comp_targetILNS1_3genE8ELNS1_11target_archE1030ELNS1_3gpuE2ELNS1_3repE0EEENS1_30default_config_static_selectorELNS0_4arch9wavefront6targetE1EEEvSO_,comdat
.Lfunc_end178:
	.size	_ZN7rocprim17ROCPRIM_400000_NS6detail17trampoline_kernelINS0_14default_configENS1_29binary_search_config_selectorIdbEEZNS1_14transform_implILb0ES3_S5_N6thrust23THRUST_200600_302600_NS17counting_iteratorIdNS8_11use_defaultESA_SA_EEPbZNS1_13binary_searchIS3_S5_PdSB_SC_NS1_16binary_search_opENS8_6detail16wrapped_functionINS0_4lessIvEEbEEEE10hipError_tPvRmT1_T2_T3_mmT4_T5_P12ihipStream_tbEUlRKdE_EESL_SP_SQ_mSR_SU_bEUlT_E_NS1_11comp_targetILNS1_3genE8ELNS1_11target_archE1030ELNS1_3gpuE2ELNS1_3repE0EEENS1_30default_config_static_selectorELNS0_4arch9wavefront6targetE1EEEvSO_, .Lfunc_end178-_ZN7rocprim17ROCPRIM_400000_NS6detail17trampoline_kernelINS0_14default_configENS1_29binary_search_config_selectorIdbEEZNS1_14transform_implILb0ES3_S5_N6thrust23THRUST_200600_302600_NS17counting_iteratorIdNS8_11use_defaultESA_SA_EEPbZNS1_13binary_searchIS3_S5_PdSB_SC_NS1_16binary_search_opENS8_6detail16wrapped_functionINS0_4lessIvEEbEEEE10hipError_tPvRmT1_T2_T3_mmT4_T5_P12ihipStream_tbEUlRKdE_EESL_SP_SQ_mSR_SU_bEUlT_E_NS1_11comp_targetILNS1_3genE8ELNS1_11target_archE1030ELNS1_3gpuE2ELNS1_3repE0EEENS1_30default_config_static_selectorELNS0_4arch9wavefront6targetE1EEEvSO_
                                        ; -- End function
	.section	.AMDGPU.csdata,"",@progbits
; Kernel info:
; codeLenInByte = 0
; NumSgprs: 4
; NumVgprs: 0
; NumAgprs: 0
; TotalNumVgprs: 0
; ScratchSize: 0
; MemoryBound: 0
; FloatMode: 240
; IeeeMode: 1
; LDSByteSize: 0 bytes/workgroup (compile time only)
; SGPRBlocks: 0
; VGPRBlocks: 0
; NumSGPRsForWavesPerEU: 4
; NumVGPRsForWavesPerEU: 1
; AccumOffset: 4
; Occupancy: 8
; WaveLimiterHint : 0
; COMPUTE_PGM_RSRC2:SCRATCH_EN: 0
; COMPUTE_PGM_RSRC2:USER_SGPR: 6
; COMPUTE_PGM_RSRC2:TRAP_HANDLER: 0
; COMPUTE_PGM_RSRC2:TGID_X_EN: 1
; COMPUTE_PGM_RSRC2:TGID_Y_EN: 0
; COMPUTE_PGM_RSRC2:TGID_Z_EN: 0
; COMPUTE_PGM_RSRC2:TIDIG_COMP_CNT: 0
; COMPUTE_PGM_RSRC3_GFX90A:ACCUM_OFFSET: 0
; COMPUTE_PGM_RSRC3_GFX90A:TG_SPLIT: 0
	.section	.text._Z20binary_search_kernelIfEvmPT_Pb,"axG",@progbits,_Z20binary_search_kernelIfEvmPT_Pb,comdat
	.protected	_Z20binary_search_kernelIfEvmPT_Pb ; -- Begin function _Z20binary_search_kernelIfEvmPT_Pb
	.globl	_Z20binary_search_kernelIfEvmPT_Pb
	.p2align	8
	.type	_Z20binary_search_kernelIfEvmPT_Pb,@function
_Z20binary_search_kernelIfEvmPT_Pb:     ; @_Z20binary_search_kernelIfEvmPT_Pb
; %bb.0:
	s_load_dwordx4 s[8:11], s[4:5], 0x0
	s_load_dwordx2 s[2:3], s[4:5], 0x10
	v_mov_b32_e32 v0, 0
	s_mov_b32 s14, 0x2f800000
	s_mov_b32 s15, 0xcf800000
	s_waitcnt lgkmcnt(0)
	s_lshl_b64 s[0:1], s[8:9], 2
	s_ashr_i64 s[4:5], s[0:1], 2
	v_cmp_gt_i64_e64 s[0:1], s[4:5], 0
	v_cndmask_b32_e64 v1, 0, 1, s[0:1]
	v_cmp_ne_u32_e64 s[0:1], 1, v1
	v_mov_b32_e32 v1, 0
	s_branch .LBB179_2
.LBB179_1:                              ;   in Loop: Header=BB179_2 Depth=1
	v_cndmask_b32_e64 v2, 0, 1, s[12:13]
	v_add_f32_e32 v1, 1.0, v1
	global_store_byte v0, v2, s[2:3]
	v_sub_f32_e32 v2, 0x41200000, v1
	v_trunc_f32_e32 v2, v2
	v_mul_f32_e64 v3, |v2|, s14
	v_floor_f32_e32 v3, v3
	v_fma_f32 v4, v3, s15, |v2|
	v_cvt_u32_f32_e32 v4, v4
	v_cvt_u32_f32_e32 v3, v3
	v_ashrrev_i32_e32 v5, 31, v2
	s_add_u32 s2, s2, 1
	v_xor_b32_e32 v2, v4, v5
	v_xor_b32_e32 v3, v3, v5
	v_sub_co_u32_e32 v2, vcc, v2, v5
	v_subb_co_u32_e32 v3, vcc, v3, v5, vcc
	v_cmp_ne_u64_e32 vcc, 0, v[2:3]
	s_addc_u32 s3, s3, 0
	s_cbranch_vccz .LBB179_7
.LBB179_2:                              ; =>This Loop Header: Depth=1
                                        ;     Child Loop BB179_4 Depth 2
	s_and_b64 vcc, exec, s[0:1]
	s_mov_b64 s[6:7], 0
	s_cbranch_vccnz .LBB179_5
; %bb.3:                                ;   in Loop: Header=BB179_2 Depth=1
	s_mov_b64 s[12:13], s[4:5]
.LBB179_4:                              ;   Parent Loop BB179_2 Depth=1
                                        ; =>  This Inner Loop Header: Depth=2
	s_sub_u32 s16, s12, s6
	s_subb_u32 s17, s13, s7
	s_lshr_b32 s18, s17, 31
	s_add_u32 s16, s16, s18
	s_addc_u32 s17, s17, 0
	s_ashr_i64 s[16:17], s[16:17], 1
	s_add_u32 s16, s16, s6
	s_addc_u32 s17, s17, s7
	s_lshl_b64 s[18:19], s[16:17], 2
	s_add_u32 s18, s10, s18
	s_addc_u32 s19, s11, s19
	s_load_dword s18, s[18:19], 0x0
	s_add_u32 s20, s16, 1
	s_addc_u32 s21, s17, 0
	s_waitcnt lgkmcnt(0)
	v_cmp_lt_f32_e32 vcc, s18, v1
	s_and_b64 s[18:19], vcc, exec
	s_cselect_b32 s13, s13, s17
	s_cselect_b32 s12, s12, s16
	;; [unrolled: 1-line block ×4, first 2 shown]
	v_pk_mov_b32 v[2:3], s[12:13], s[12:13] op_sel:[0,1]
	v_cmp_lt_i64_e32 vcc, s[6:7], v[2:3]
	s_cbranch_vccnz .LBB179_4
.LBB179_5:                              ;   in Loop: Header=BB179_2 Depth=1
	s_cmp_eq_u64 s[6:7], s[8:9]
	s_mov_b64 s[12:13], 0
	s_cbranch_scc1 .LBB179_1
; %bb.6:                                ;   in Loop: Header=BB179_2 Depth=1
	s_lshl_b64 s[6:7], s[6:7], 2
	s_add_u32 s6, s10, s6
	s_addc_u32 s7, s11, s7
	s_load_dword s6, s[6:7], 0x0
	s_waitcnt lgkmcnt(0)
	v_cmp_ngt_f32_e64 s[12:13], s6, v1
	s_branch .LBB179_1
.LBB179_7:
	s_endpgm
	.section	.rodata,"a",@progbits
	.p2align	6, 0x0
	.amdhsa_kernel _Z20binary_search_kernelIfEvmPT_Pb
		.amdhsa_group_segment_fixed_size 0
		.amdhsa_private_segment_fixed_size 0
		.amdhsa_kernarg_size 24
		.amdhsa_user_sgpr_count 6
		.amdhsa_user_sgpr_private_segment_buffer 1
		.amdhsa_user_sgpr_dispatch_ptr 0
		.amdhsa_user_sgpr_queue_ptr 0
		.amdhsa_user_sgpr_kernarg_segment_ptr 1
		.amdhsa_user_sgpr_dispatch_id 0
		.amdhsa_user_sgpr_flat_scratch_init 0
		.amdhsa_user_sgpr_kernarg_preload_length 0
		.amdhsa_user_sgpr_kernarg_preload_offset 0
		.amdhsa_user_sgpr_private_segment_size 0
		.amdhsa_uses_dynamic_stack 0
		.amdhsa_system_sgpr_private_segment_wavefront_offset 0
		.amdhsa_system_sgpr_workgroup_id_x 1
		.amdhsa_system_sgpr_workgroup_id_y 0
		.amdhsa_system_sgpr_workgroup_id_z 0
		.amdhsa_system_sgpr_workgroup_info 0
		.amdhsa_system_vgpr_workitem_id 0
		.amdhsa_next_free_vgpr 6
		.amdhsa_next_free_sgpr 22
		.amdhsa_accum_offset 8
		.amdhsa_reserve_vcc 1
		.amdhsa_reserve_flat_scratch 0
		.amdhsa_float_round_mode_32 0
		.amdhsa_float_round_mode_16_64 0
		.amdhsa_float_denorm_mode_32 3
		.amdhsa_float_denorm_mode_16_64 3
		.amdhsa_dx10_clamp 1
		.amdhsa_ieee_mode 1
		.amdhsa_fp16_overflow 0
		.amdhsa_tg_split 0
		.amdhsa_exception_fp_ieee_invalid_op 0
		.amdhsa_exception_fp_denorm_src 0
		.amdhsa_exception_fp_ieee_div_zero 0
		.amdhsa_exception_fp_ieee_overflow 0
		.amdhsa_exception_fp_ieee_underflow 0
		.amdhsa_exception_fp_ieee_inexact 0
		.amdhsa_exception_int_div_zero 0
	.end_amdhsa_kernel
	.section	.text._Z20binary_search_kernelIfEvmPT_Pb,"axG",@progbits,_Z20binary_search_kernelIfEvmPT_Pb,comdat
.Lfunc_end179:
	.size	_Z20binary_search_kernelIfEvmPT_Pb, .Lfunc_end179-_Z20binary_search_kernelIfEvmPT_Pb
                                        ; -- End function
	.section	.AMDGPU.csdata,"",@progbits
; Kernel info:
; codeLenInByte = 348
; NumSgprs: 26
; NumVgprs: 6
; NumAgprs: 0
; TotalNumVgprs: 6
; ScratchSize: 0
; MemoryBound: 0
; FloatMode: 240
; IeeeMode: 1
; LDSByteSize: 0 bytes/workgroup (compile time only)
; SGPRBlocks: 3
; VGPRBlocks: 0
; NumSGPRsForWavesPerEU: 26
; NumVGPRsForWavesPerEU: 6
; AccumOffset: 8
; Occupancy: 8
; WaveLimiterHint : 0
; COMPUTE_PGM_RSRC2:SCRATCH_EN: 0
; COMPUTE_PGM_RSRC2:USER_SGPR: 6
; COMPUTE_PGM_RSRC2:TRAP_HANDLER: 0
; COMPUTE_PGM_RSRC2:TGID_X_EN: 1
; COMPUTE_PGM_RSRC2:TGID_Y_EN: 0
; COMPUTE_PGM_RSRC2:TGID_Z_EN: 0
; COMPUTE_PGM_RSRC2:TIDIG_COMP_CNT: 0
; COMPUTE_PGM_RSRC3_GFX90A:ACCUM_OFFSET: 1
; COMPUTE_PGM_RSRC3_GFX90A:TG_SPLIT: 0
	.section	.text._ZN7rocprim17ROCPRIM_400000_NS6detail17trampoline_kernelINS0_14default_configENS1_29binary_search_config_selectorIfbEEZNS1_14transform_implILb0ES3_S5_N6thrust23THRUST_200600_302600_NS17counting_iteratorIfNS8_11use_defaultESA_SA_EEPbZNS1_13binary_searchIS3_S5_PfSB_SC_NS1_16binary_search_opENS8_6detail16wrapped_functionINS0_4lessIvEEbEEEE10hipError_tPvRmT1_T2_T3_mmT4_T5_P12ihipStream_tbEUlRKfE_EESL_SP_SQ_mSR_SU_bEUlT_E_NS1_11comp_targetILNS1_3genE0ELNS1_11target_archE4294967295ELNS1_3gpuE0ELNS1_3repE0EEENS1_30default_config_static_selectorELNS0_4arch9wavefront6targetE1EEEvSO_,"axG",@progbits,_ZN7rocprim17ROCPRIM_400000_NS6detail17trampoline_kernelINS0_14default_configENS1_29binary_search_config_selectorIfbEEZNS1_14transform_implILb0ES3_S5_N6thrust23THRUST_200600_302600_NS17counting_iteratorIfNS8_11use_defaultESA_SA_EEPbZNS1_13binary_searchIS3_S5_PfSB_SC_NS1_16binary_search_opENS8_6detail16wrapped_functionINS0_4lessIvEEbEEEE10hipError_tPvRmT1_T2_T3_mmT4_T5_P12ihipStream_tbEUlRKfE_EESL_SP_SQ_mSR_SU_bEUlT_E_NS1_11comp_targetILNS1_3genE0ELNS1_11target_archE4294967295ELNS1_3gpuE0ELNS1_3repE0EEENS1_30default_config_static_selectorELNS0_4arch9wavefront6targetE1EEEvSO_,comdat
	.protected	_ZN7rocprim17ROCPRIM_400000_NS6detail17trampoline_kernelINS0_14default_configENS1_29binary_search_config_selectorIfbEEZNS1_14transform_implILb0ES3_S5_N6thrust23THRUST_200600_302600_NS17counting_iteratorIfNS8_11use_defaultESA_SA_EEPbZNS1_13binary_searchIS3_S5_PfSB_SC_NS1_16binary_search_opENS8_6detail16wrapped_functionINS0_4lessIvEEbEEEE10hipError_tPvRmT1_T2_T3_mmT4_T5_P12ihipStream_tbEUlRKfE_EESL_SP_SQ_mSR_SU_bEUlT_E_NS1_11comp_targetILNS1_3genE0ELNS1_11target_archE4294967295ELNS1_3gpuE0ELNS1_3repE0EEENS1_30default_config_static_selectorELNS0_4arch9wavefront6targetE1EEEvSO_ ; -- Begin function _ZN7rocprim17ROCPRIM_400000_NS6detail17trampoline_kernelINS0_14default_configENS1_29binary_search_config_selectorIfbEEZNS1_14transform_implILb0ES3_S5_N6thrust23THRUST_200600_302600_NS17counting_iteratorIfNS8_11use_defaultESA_SA_EEPbZNS1_13binary_searchIS3_S5_PfSB_SC_NS1_16binary_search_opENS8_6detail16wrapped_functionINS0_4lessIvEEbEEEE10hipError_tPvRmT1_T2_T3_mmT4_T5_P12ihipStream_tbEUlRKfE_EESL_SP_SQ_mSR_SU_bEUlT_E_NS1_11comp_targetILNS1_3genE0ELNS1_11target_archE4294967295ELNS1_3gpuE0ELNS1_3repE0EEENS1_30default_config_static_selectorELNS0_4arch9wavefront6targetE1EEEvSO_
	.globl	_ZN7rocprim17ROCPRIM_400000_NS6detail17trampoline_kernelINS0_14default_configENS1_29binary_search_config_selectorIfbEEZNS1_14transform_implILb0ES3_S5_N6thrust23THRUST_200600_302600_NS17counting_iteratorIfNS8_11use_defaultESA_SA_EEPbZNS1_13binary_searchIS3_S5_PfSB_SC_NS1_16binary_search_opENS8_6detail16wrapped_functionINS0_4lessIvEEbEEEE10hipError_tPvRmT1_T2_T3_mmT4_T5_P12ihipStream_tbEUlRKfE_EESL_SP_SQ_mSR_SU_bEUlT_E_NS1_11comp_targetILNS1_3genE0ELNS1_11target_archE4294967295ELNS1_3gpuE0ELNS1_3repE0EEENS1_30default_config_static_selectorELNS0_4arch9wavefront6targetE1EEEvSO_
	.p2align	8
	.type	_ZN7rocprim17ROCPRIM_400000_NS6detail17trampoline_kernelINS0_14default_configENS1_29binary_search_config_selectorIfbEEZNS1_14transform_implILb0ES3_S5_N6thrust23THRUST_200600_302600_NS17counting_iteratorIfNS8_11use_defaultESA_SA_EEPbZNS1_13binary_searchIS3_S5_PfSB_SC_NS1_16binary_search_opENS8_6detail16wrapped_functionINS0_4lessIvEEbEEEE10hipError_tPvRmT1_T2_T3_mmT4_T5_P12ihipStream_tbEUlRKfE_EESL_SP_SQ_mSR_SU_bEUlT_E_NS1_11comp_targetILNS1_3genE0ELNS1_11target_archE4294967295ELNS1_3gpuE0ELNS1_3repE0EEENS1_30default_config_static_selectorELNS0_4arch9wavefront6targetE1EEEvSO_,@function
_ZN7rocprim17ROCPRIM_400000_NS6detail17trampoline_kernelINS0_14default_configENS1_29binary_search_config_selectorIfbEEZNS1_14transform_implILb0ES3_S5_N6thrust23THRUST_200600_302600_NS17counting_iteratorIfNS8_11use_defaultESA_SA_EEPbZNS1_13binary_searchIS3_S5_PfSB_SC_NS1_16binary_search_opENS8_6detail16wrapped_functionINS0_4lessIvEEbEEEE10hipError_tPvRmT1_T2_T3_mmT4_T5_P12ihipStream_tbEUlRKfE_EESL_SP_SQ_mSR_SU_bEUlT_E_NS1_11comp_targetILNS1_3genE0ELNS1_11target_archE4294967295ELNS1_3gpuE0ELNS1_3repE0EEENS1_30default_config_static_selectorELNS0_4arch9wavefront6targetE1EEEvSO_: ; @_ZN7rocprim17ROCPRIM_400000_NS6detail17trampoline_kernelINS0_14default_configENS1_29binary_search_config_selectorIfbEEZNS1_14transform_implILb0ES3_S5_N6thrust23THRUST_200600_302600_NS17counting_iteratorIfNS8_11use_defaultESA_SA_EEPbZNS1_13binary_searchIS3_S5_PfSB_SC_NS1_16binary_search_opENS8_6detail16wrapped_functionINS0_4lessIvEEbEEEE10hipError_tPvRmT1_T2_T3_mmT4_T5_P12ihipStream_tbEUlRKfE_EESL_SP_SQ_mSR_SU_bEUlT_E_NS1_11comp_targetILNS1_3genE0ELNS1_11target_archE4294967295ELNS1_3gpuE0ELNS1_3repE0EEENS1_30default_config_static_selectorELNS0_4arch9wavefront6targetE1EEEvSO_
; %bb.0:
	.section	.rodata,"a",@progbits
	.p2align	6, 0x0
	.amdhsa_kernel _ZN7rocprim17ROCPRIM_400000_NS6detail17trampoline_kernelINS0_14default_configENS1_29binary_search_config_selectorIfbEEZNS1_14transform_implILb0ES3_S5_N6thrust23THRUST_200600_302600_NS17counting_iteratorIfNS8_11use_defaultESA_SA_EEPbZNS1_13binary_searchIS3_S5_PfSB_SC_NS1_16binary_search_opENS8_6detail16wrapped_functionINS0_4lessIvEEbEEEE10hipError_tPvRmT1_T2_T3_mmT4_T5_P12ihipStream_tbEUlRKfE_EESL_SP_SQ_mSR_SU_bEUlT_E_NS1_11comp_targetILNS1_3genE0ELNS1_11target_archE4294967295ELNS1_3gpuE0ELNS1_3repE0EEENS1_30default_config_static_selectorELNS0_4arch9wavefront6targetE1EEEvSO_
		.amdhsa_group_segment_fixed_size 0
		.amdhsa_private_segment_fixed_size 0
		.amdhsa_kernarg_size 56
		.amdhsa_user_sgpr_count 6
		.amdhsa_user_sgpr_private_segment_buffer 1
		.amdhsa_user_sgpr_dispatch_ptr 0
		.amdhsa_user_sgpr_queue_ptr 0
		.amdhsa_user_sgpr_kernarg_segment_ptr 1
		.amdhsa_user_sgpr_dispatch_id 0
		.amdhsa_user_sgpr_flat_scratch_init 0
		.amdhsa_user_sgpr_kernarg_preload_length 0
		.amdhsa_user_sgpr_kernarg_preload_offset 0
		.amdhsa_user_sgpr_private_segment_size 0
		.amdhsa_uses_dynamic_stack 0
		.amdhsa_system_sgpr_private_segment_wavefront_offset 0
		.amdhsa_system_sgpr_workgroup_id_x 1
		.amdhsa_system_sgpr_workgroup_id_y 0
		.amdhsa_system_sgpr_workgroup_id_z 0
		.amdhsa_system_sgpr_workgroup_info 0
		.amdhsa_system_vgpr_workitem_id 0
		.amdhsa_next_free_vgpr 1
		.amdhsa_next_free_sgpr 0
		.amdhsa_accum_offset 4
		.amdhsa_reserve_vcc 0
		.amdhsa_reserve_flat_scratch 0
		.amdhsa_float_round_mode_32 0
		.amdhsa_float_round_mode_16_64 0
		.amdhsa_float_denorm_mode_32 3
		.amdhsa_float_denorm_mode_16_64 3
		.amdhsa_dx10_clamp 1
		.amdhsa_ieee_mode 1
		.amdhsa_fp16_overflow 0
		.amdhsa_tg_split 0
		.amdhsa_exception_fp_ieee_invalid_op 0
		.amdhsa_exception_fp_denorm_src 0
		.amdhsa_exception_fp_ieee_div_zero 0
		.amdhsa_exception_fp_ieee_overflow 0
		.amdhsa_exception_fp_ieee_underflow 0
		.amdhsa_exception_fp_ieee_inexact 0
		.amdhsa_exception_int_div_zero 0
	.end_amdhsa_kernel
	.section	.text._ZN7rocprim17ROCPRIM_400000_NS6detail17trampoline_kernelINS0_14default_configENS1_29binary_search_config_selectorIfbEEZNS1_14transform_implILb0ES3_S5_N6thrust23THRUST_200600_302600_NS17counting_iteratorIfNS8_11use_defaultESA_SA_EEPbZNS1_13binary_searchIS3_S5_PfSB_SC_NS1_16binary_search_opENS8_6detail16wrapped_functionINS0_4lessIvEEbEEEE10hipError_tPvRmT1_T2_T3_mmT4_T5_P12ihipStream_tbEUlRKfE_EESL_SP_SQ_mSR_SU_bEUlT_E_NS1_11comp_targetILNS1_3genE0ELNS1_11target_archE4294967295ELNS1_3gpuE0ELNS1_3repE0EEENS1_30default_config_static_selectorELNS0_4arch9wavefront6targetE1EEEvSO_,"axG",@progbits,_ZN7rocprim17ROCPRIM_400000_NS6detail17trampoline_kernelINS0_14default_configENS1_29binary_search_config_selectorIfbEEZNS1_14transform_implILb0ES3_S5_N6thrust23THRUST_200600_302600_NS17counting_iteratorIfNS8_11use_defaultESA_SA_EEPbZNS1_13binary_searchIS3_S5_PfSB_SC_NS1_16binary_search_opENS8_6detail16wrapped_functionINS0_4lessIvEEbEEEE10hipError_tPvRmT1_T2_T3_mmT4_T5_P12ihipStream_tbEUlRKfE_EESL_SP_SQ_mSR_SU_bEUlT_E_NS1_11comp_targetILNS1_3genE0ELNS1_11target_archE4294967295ELNS1_3gpuE0ELNS1_3repE0EEENS1_30default_config_static_selectorELNS0_4arch9wavefront6targetE1EEEvSO_,comdat
.Lfunc_end180:
	.size	_ZN7rocprim17ROCPRIM_400000_NS6detail17trampoline_kernelINS0_14default_configENS1_29binary_search_config_selectorIfbEEZNS1_14transform_implILb0ES3_S5_N6thrust23THRUST_200600_302600_NS17counting_iteratorIfNS8_11use_defaultESA_SA_EEPbZNS1_13binary_searchIS3_S5_PfSB_SC_NS1_16binary_search_opENS8_6detail16wrapped_functionINS0_4lessIvEEbEEEE10hipError_tPvRmT1_T2_T3_mmT4_T5_P12ihipStream_tbEUlRKfE_EESL_SP_SQ_mSR_SU_bEUlT_E_NS1_11comp_targetILNS1_3genE0ELNS1_11target_archE4294967295ELNS1_3gpuE0ELNS1_3repE0EEENS1_30default_config_static_selectorELNS0_4arch9wavefront6targetE1EEEvSO_, .Lfunc_end180-_ZN7rocprim17ROCPRIM_400000_NS6detail17trampoline_kernelINS0_14default_configENS1_29binary_search_config_selectorIfbEEZNS1_14transform_implILb0ES3_S5_N6thrust23THRUST_200600_302600_NS17counting_iteratorIfNS8_11use_defaultESA_SA_EEPbZNS1_13binary_searchIS3_S5_PfSB_SC_NS1_16binary_search_opENS8_6detail16wrapped_functionINS0_4lessIvEEbEEEE10hipError_tPvRmT1_T2_T3_mmT4_T5_P12ihipStream_tbEUlRKfE_EESL_SP_SQ_mSR_SU_bEUlT_E_NS1_11comp_targetILNS1_3genE0ELNS1_11target_archE4294967295ELNS1_3gpuE0ELNS1_3repE0EEENS1_30default_config_static_selectorELNS0_4arch9wavefront6targetE1EEEvSO_
                                        ; -- End function
	.section	.AMDGPU.csdata,"",@progbits
; Kernel info:
; codeLenInByte = 0
; NumSgprs: 4
; NumVgprs: 0
; NumAgprs: 0
; TotalNumVgprs: 0
; ScratchSize: 0
; MemoryBound: 0
; FloatMode: 240
; IeeeMode: 1
; LDSByteSize: 0 bytes/workgroup (compile time only)
; SGPRBlocks: 0
; VGPRBlocks: 0
; NumSGPRsForWavesPerEU: 4
; NumVGPRsForWavesPerEU: 1
; AccumOffset: 4
; Occupancy: 8
; WaveLimiterHint : 0
; COMPUTE_PGM_RSRC2:SCRATCH_EN: 0
; COMPUTE_PGM_RSRC2:USER_SGPR: 6
; COMPUTE_PGM_RSRC2:TRAP_HANDLER: 0
; COMPUTE_PGM_RSRC2:TGID_X_EN: 1
; COMPUTE_PGM_RSRC2:TGID_Y_EN: 0
; COMPUTE_PGM_RSRC2:TGID_Z_EN: 0
; COMPUTE_PGM_RSRC2:TIDIG_COMP_CNT: 0
; COMPUTE_PGM_RSRC3_GFX90A:ACCUM_OFFSET: 0
; COMPUTE_PGM_RSRC3_GFX90A:TG_SPLIT: 0
	.section	.text._ZN7rocprim17ROCPRIM_400000_NS6detail17trampoline_kernelINS0_14default_configENS1_29binary_search_config_selectorIfbEEZNS1_14transform_implILb0ES3_S5_N6thrust23THRUST_200600_302600_NS17counting_iteratorIfNS8_11use_defaultESA_SA_EEPbZNS1_13binary_searchIS3_S5_PfSB_SC_NS1_16binary_search_opENS8_6detail16wrapped_functionINS0_4lessIvEEbEEEE10hipError_tPvRmT1_T2_T3_mmT4_T5_P12ihipStream_tbEUlRKfE_EESL_SP_SQ_mSR_SU_bEUlT_E_NS1_11comp_targetILNS1_3genE5ELNS1_11target_archE942ELNS1_3gpuE9ELNS1_3repE0EEENS1_30default_config_static_selectorELNS0_4arch9wavefront6targetE1EEEvSO_,"axG",@progbits,_ZN7rocprim17ROCPRIM_400000_NS6detail17trampoline_kernelINS0_14default_configENS1_29binary_search_config_selectorIfbEEZNS1_14transform_implILb0ES3_S5_N6thrust23THRUST_200600_302600_NS17counting_iteratorIfNS8_11use_defaultESA_SA_EEPbZNS1_13binary_searchIS3_S5_PfSB_SC_NS1_16binary_search_opENS8_6detail16wrapped_functionINS0_4lessIvEEbEEEE10hipError_tPvRmT1_T2_T3_mmT4_T5_P12ihipStream_tbEUlRKfE_EESL_SP_SQ_mSR_SU_bEUlT_E_NS1_11comp_targetILNS1_3genE5ELNS1_11target_archE942ELNS1_3gpuE9ELNS1_3repE0EEENS1_30default_config_static_selectorELNS0_4arch9wavefront6targetE1EEEvSO_,comdat
	.protected	_ZN7rocprim17ROCPRIM_400000_NS6detail17trampoline_kernelINS0_14default_configENS1_29binary_search_config_selectorIfbEEZNS1_14transform_implILb0ES3_S5_N6thrust23THRUST_200600_302600_NS17counting_iteratorIfNS8_11use_defaultESA_SA_EEPbZNS1_13binary_searchIS3_S5_PfSB_SC_NS1_16binary_search_opENS8_6detail16wrapped_functionINS0_4lessIvEEbEEEE10hipError_tPvRmT1_T2_T3_mmT4_T5_P12ihipStream_tbEUlRKfE_EESL_SP_SQ_mSR_SU_bEUlT_E_NS1_11comp_targetILNS1_3genE5ELNS1_11target_archE942ELNS1_3gpuE9ELNS1_3repE0EEENS1_30default_config_static_selectorELNS0_4arch9wavefront6targetE1EEEvSO_ ; -- Begin function _ZN7rocprim17ROCPRIM_400000_NS6detail17trampoline_kernelINS0_14default_configENS1_29binary_search_config_selectorIfbEEZNS1_14transform_implILb0ES3_S5_N6thrust23THRUST_200600_302600_NS17counting_iteratorIfNS8_11use_defaultESA_SA_EEPbZNS1_13binary_searchIS3_S5_PfSB_SC_NS1_16binary_search_opENS8_6detail16wrapped_functionINS0_4lessIvEEbEEEE10hipError_tPvRmT1_T2_T3_mmT4_T5_P12ihipStream_tbEUlRKfE_EESL_SP_SQ_mSR_SU_bEUlT_E_NS1_11comp_targetILNS1_3genE5ELNS1_11target_archE942ELNS1_3gpuE9ELNS1_3repE0EEENS1_30default_config_static_selectorELNS0_4arch9wavefront6targetE1EEEvSO_
	.globl	_ZN7rocprim17ROCPRIM_400000_NS6detail17trampoline_kernelINS0_14default_configENS1_29binary_search_config_selectorIfbEEZNS1_14transform_implILb0ES3_S5_N6thrust23THRUST_200600_302600_NS17counting_iteratorIfNS8_11use_defaultESA_SA_EEPbZNS1_13binary_searchIS3_S5_PfSB_SC_NS1_16binary_search_opENS8_6detail16wrapped_functionINS0_4lessIvEEbEEEE10hipError_tPvRmT1_T2_T3_mmT4_T5_P12ihipStream_tbEUlRKfE_EESL_SP_SQ_mSR_SU_bEUlT_E_NS1_11comp_targetILNS1_3genE5ELNS1_11target_archE942ELNS1_3gpuE9ELNS1_3repE0EEENS1_30default_config_static_selectorELNS0_4arch9wavefront6targetE1EEEvSO_
	.p2align	8
	.type	_ZN7rocprim17ROCPRIM_400000_NS6detail17trampoline_kernelINS0_14default_configENS1_29binary_search_config_selectorIfbEEZNS1_14transform_implILb0ES3_S5_N6thrust23THRUST_200600_302600_NS17counting_iteratorIfNS8_11use_defaultESA_SA_EEPbZNS1_13binary_searchIS3_S5_PfSB_SC_NS1_16binary_search_opENS8_6detail16wrapped_functionINS0_4lessIvEEbEEEE10hipError_tPvRmT1_T2_T3_mmT4_T5_P12ihipStream_tbEUlRKfE_EESL_SP_SQ_mSR_SU_bEUlT_E_NS1_11comp_targetILNS1_3genE5ELNS1_11target_archE942ELNS1_3gpuE9ELNS1_3repE0EEENS1_30default_config_static_selectorELNS0_4arch9wavefront6targetE1EEEvSO_,@function
_ZN7rocprim17ROCPRIM_400000_NS6detail17trampoline_kernelINS0_14default_configENS1_29binary_search_config_selectorIfbEEZNS1_14transform_implILb0ES3_S5_N6thrust23THRUST_200600_302600_NS17counting_iteratorIfNS8_11use_defaultESA_SA_EEPbZNS1_13binary_searchIS3_S5_PfSB_SC_NS1_16binary_search_opENS8_6detail16wrapped_functionINS0_4lessIvEEbEEEE10hipError_tPvRmT1_T2_T3_mmT4_T5_P12ihipStream_tbEUlRKfE_EESL_SP_SQ_mSR_SU_bEUlT_E_NS1_11comp_targetILNS1_3genE5ELNS1_11target_archE942ELNS1_3gpuE9ELNS1_3repE0EEENS1_30default_config_static_selectorELNS0_4arch9wavefront6targetE1EEEvSO_: ; @_ZN7rocprim17ROCPRIM_400000_NS6detail17trampoline_kernelINS0_14default_configENS1_29binary_search_config_selectorIfbEEZNS1_14transform_implILb0ES3_S5_N6thrust23THRUST_200600_302600_NS17counting_iteratorIfNS8_11use_defaultESA_SA_EEPbZNS1_13binary_searchIS3_S5_PfSB_SC_NS1_16binary_search_opENS8_6detail16wrapped_functionINS0_4lessIvEEbEEEE10hipError_tPvRmT1_T2_T3_mmT4_T5_P12ihipStream_tbEUlRKfE_EESL_SP_SQ_mSR_SU_bEUlT_E_NS1_11comp_targetILNS1_3genE5ELNS1_11target_archE942ELNS1_3gpuE9ELNS1_3repE0EEENS1_30default_config_static_selectorELNS0_4arch9wavefront6targetE1EEEvSO_
; %bb.0:
	.section	.rodata,"a",@progbits
	.p2align	6, 0x0
	.amdhsa_kernel _ZN7rocprim17ROCPRIM_400000_NS6detail17trampoline_kernelINS0_14default_configENS1_29binary_search_config_selectorIfbEEZNS1_14transform_implILb0ES3_S5_N6thrust23THRUST_200600_302600_NS17counting_iteratorIfNS8_11use_defaultESA_SA_EEPbZNS1_13binary_searchIS3_S5_PfSB_SC_NS1_16binary_search_opENS8_6detail16wrapped_functionINS0_4lessIvEEbEEEE10hipError_tPvRmT1_T2_T3_mmT4_T5_P12ihipStream_tbEUlRKfE_EESL_SP_SQ_mSR_SU_bEUlT_E_NS1_11comp_targetILNS1_3genE5ELNS1_11target_archE942ELNS1_3gpuE9ELNS1_3repE0EEENS1_30default_config_static_selectorELNS0_4arch9wavefront6targetE1EEEvSO_
		.amdhsa_group_segment_fixed_size 0
		.amdhsa_private_segment_fixed_size 0
		.amdhsa_kernarg_size 56
		.amdhsa_user_sgpr_count 6
		.amdhsa_user_sgpr_private_segment_buffer 1
		.amdhsa_user_sgpr_dispatch_ptr 0
		.amdhsa_user_sgpr_queue_ptr 0
		.amdhsa_user_sgpr_kernarg_segment_ptr 1
		.amdhsa_user_sgpr_dispatch_id 0
		.amdhsa_user_sgpr_flat_scratch_init 0
		.amdhsa_user_sgpr_kernarg_preload_length 0
		.amdhsa_user_sgpr_kernarg_preload_offset 0
		.amdhsa_user_sgpr_private_segment_size 0
		.amdhsa_uses_dynamic_stack 0
		.amdhsa_system_sgpr_private_segment_wavefront_offset 0
		.amdhsa_system_sgpr_workgroup_id_x 1
		.amdhsa_system_sgpr_workgroup_id_y 0
		.amdhsa_system_sgpr_workgroup_id_z 0
		.amdhsa_system_sgpr_workgroup_info 0
		.amdhsa_system_vgpr_workitem_id 0
		.amdhsa_next_free_vgpr 1
		.amdhsa_next_free_sgpr 0
		.amdhsa_accum_offset 4
		.amdhsa_reserve_vcc 0
		.amdhsa_reserve_flat_scratch 0
		.amdhsa_float_round_mode_32 0
		.amdhsa_float_round_mode_16_64 0
		.amdhsa_float_denorm_mode_32 3
		.amdhsa_float_denorm_mode_16_64 3
		.amdhsa_dx10_clamp 1
		.amdhsa_ieee_mode 1
		.amdhsa_fp16_overflow 0
		.amdhsa_tg_split 0
		.amdhsa_exception_fp_ieee_invalid_op 0
		.amdhsa_exception_fp_denorm_src 0
		.amdhsa_exception_fp_ieee_div_zero 0
		.amdhsa_exception_fp_ieee_overflow 0
		.amdhsa_exception_fp_ieee_underflow 0
		.amdhsa_exception_fp_ieee_inexact 0
		.amdhsa_exception_int_div_zero 0
	.end_amdhsa_kernel
	.section	.text._ZN7rocprim17ROCPRIM_400000_NS6detail17trampoline_kernelINS0_14default_configENS1_29binary_search_config_selectorIfbEEZNS1_14transform_implILb0ES3_S5_N6thrust23THRUST_200600_302600_NS17counting_iteratorIfNS8_11use_defaultESA_SA_EEPbZNS1_13binary_searchIS3_S5_PfSB_SC_NS1_16binary_search_opENS8_6detail16wrapped_functionINS0_4lessIvEEbEEEE10hipError_tPvRmT1_T2_T3_mmT4_T5_P12ihipStream_tbEUlRKfE_EESL_SP_SQ_mSR_SU_bEUlT_E_NS1_11comp_targetILNS1_3genE5ELNS1_11target_archE942ELNS1_3gpuE9ELNS1_3repE0EEENS1_30default_config_static_selectorELNS0_4arch9wavefront6targetE1EEEvSO_,"axG",@progbits,_ZN7rocprim17ROCPRIM_400000_NS6detail17trampoline_kernelINS0_14default_configENS1_29binary_search_config_selectorIfbEEZNS1_14transform_implILb0ES3_S5_N6thrust23THRUST_200600_302600_NS17counting_iteratorIfNS8_11use_defaultESA_SA_EEPbZNS1_13binary_searchIS3_S5_PfSB_SC_NS1_16binary_search_opENS8_6detail16wrapped_functionINS0_4lessIvEEbEEEE10hipError_tPvRmT1_T2_T3_mmT4_T5_P12ihipStream_tbEUlRKfE_EESL_SP_SQ_mSR_SU_bEUlT_E_NS1_11comp_targetILNS1_3genE5ELNS1_11target_archE942ELNS1_3gpuE9ELNS1_3repE0EEENS1_30default_config_static_selectorELNS0_4arch9wavefront6targetE1EEEvSO_,comdat
.Lfunc_end181:
	.size	_ZN7rocprim17ROCPRIM_400000_NS6detail17trampoline_kernelINS0_14default_configENS1_29binary_search_config_selectorIfbEEZNS1_14transform_implILb0ES3_S5_N6thrust23THRUST_200600_302600_NS17counting_iteratorIfNS8_11use_defaultESA_SA_EEPbZNS1_13binary_searchIS3_S5_PfSB_SC_NS1_16binary_search_opENS8_6detail16wrapped_functionINS0_4lessIvEEbEEEE10hipError_tPvRmT1_T2_T3_mmT4_T5_P12ihipStream_tbEUlRKfE_EESL_SP_SQ_mSR_SU_bEUlT_E_NS1_11comp_targetILNS1_3genE5ELNS1_11target_archE942ELNS1_3gpuE9ELNS1_3repE0EEENS1_30default_config_static_selectorELNS0_4arch9wavefront6targetE1EEEvSO_, .Lfunc_end181-_ZN7rocprim17ROCPRIM_400000_NS6detail17trampoline_kernelINS0_14default_configENS1_29binary_search_config_selectorIfbEEZNS1_14transform_implILb0ES3_S5_N6thrust23THRUST_200600_302600_NS17counting_iteratorIfNS8_11use_defaultESA_SA_EEPbZNS1_13binary_searchIS3_S5_PfSB_SC_NS1_16binary_search_opENS8_6detail16wrapped_functionINS0_4lessIvEEbEEEE10hipError_tPvRmT1_T2_T3_mmT4_T5_P12ihipStream_tbEUlRKfE_EESL_SP_SQ_mSR_SU_bEUlT_E_NS1_11comp_targetILNS1_3genE5ELNS1_11target_archE942ELNS1_3gpuE9ELNS1_3repE0EEENS1_30default_config_static_selectorELNS0_4arch9wavefront6targetE1EEEvSO_
                                        ; -- End function
	.section	.AMDGPU.csdata,"",@progbits
; Kernel info:
; codeLenInByte = 0
; NumSgprs: 4
; NumVgprs: 0
; NumAgprs: 0
; TotalNumVgprs: 0
; ScratchSize: 0
; MemoryBound: 0
; FloatMode: 240
; IeeeMode: 1
; LDSByteSize: 0 bytes/workgroup (compile time only)
; SGPRBlocks: 0
; VGPRBlocks: 0
; NumSGPRsForWavesPerEU: 4
; NumVGPRsForWavesPerEU: 1
; AccumOffset: 4
; Occupancy: 8
; WaveLimiterHint : 0
; COMPUTE_PGM_RSRC2:SCRATCH_EN: 0
; COMPUTE_PGM_RSRC2:USER_SGPR: 6
; COMPUTE_PGM_RSRC2:TRAP_HANDLER: 0
; COMPUTE_PGM_RSRC2:TGID_X_EN: 1
; COMPUTE_PGM_RSRC2:TGID_Y_EN: 0
; COMPUTE_PGM_RSRC2:TGID_Z_EN: 0
; COMPUTE_PGM_RSRC2:TIDIG_COMP_CNT: 0
; COMPUTE_PGM_RSRC3_GFX90A:ACCUM_OFFSET: 0
; COMPUTE_PGM_RSRC3_GFX90A:TG_SPLIT: 0
	.section	.text._ZN7rocprim17ROCPRIM_400000_NS6detail17trampoline_kernelINS0_14default_configENS1_29binary_search_config_selectorIfbEEZNS1_14transform_implILb0ES3_S5_N6thrust23THRUST_200600_302600_NS17counting_iteratorIfNS8_11use_defaultESA_SA_EEPbZNS1_13binary_searchIS3_S5_PfSB_SC_NS1_16binary_search_opENS8_6detail16wrapped_functionINS0_4lessIvEEbEEEE10hipError_tPvRmT1_T2_T3_mmT4_T5_P12ihipStream_tbEUlRKfE_EESL_SP_SQ_mSR_SU_bEUlT_E_NS1_11comp_targetILNS1_3genE4ELNS1_11target_archE910ELNS1_3gpuE8ELNS1_3repE0EEENS1_30default_config_static_selectorELNS0_4arch9wavefront6targetE1EEEvSO_,"axG",@progbits,_ZN7rocprim17ROCPRIM_400000_NS6detail17trampoline_kernelINS0_14default_configENS1_29binary_search_config_selectorIfbEEZNS1_14transform_implILb0ES3_S5_N6thrust23THRUST_200600_302600_NS17counting_iteratorIfNS8_11use_defaultESA_SA_EEPbZNS1_13binary_searchIS3_S5_PfSB_SC_NS1_16binary_search_opENS8_6detail16wrapped_functionINS0_4lessIvEEbEEEE10hipError_tPvRmT1_T2_T3_mmT4_T5_P12ihipStream_tbEUlRKfE_EESL_SP_SQ_mSR_SU_bEUlT_E_NS1_11comp_targetILNS1_3genE4ELNS1_11target_archE910ELNS1_3gpuE8ELNS1_3repE0EEENS1_30default_config_static_selectorELNS0_4arch9wavefront6targetE1EEEvSO_,comdat
	.protected	_ZN7rocprim17ROCPRIM_400000_NS6detail17trampoline_kernelINS0_14default_configENS1_29binary_search_config_selectorIfbEEZNS1_14transform_implILb0ES3_S5_N6thrust23THRUST_200600_302600_NS17counting_iteratorIfNS8_11use_defaultESA_SA_EEPbZNS1_13binary_searchIS3_S5_PfSB_SC_NS1_16binary_search_opENS8_6detail16wrapped_functionINS0_4lessIvEEbEEEE10hipError_tPvRmT1_T2_T3_mmT4_T5_P12ihipStream_tbEUlRKfE_EESL_SP_SQ_mSR_SU_bEUlT_E_NS1_11comp_targetILNS1_3genE4ELNS1_11target_archE910ELNS1_3gpuE8ELNS1_3repE0EEENS1_30default_config_static_selectorELNS0_4arch9wavefront6targetE1EEEvSO_ ; -- Begin function _ZN7rocprim17ROCPRIM_400000_NS6detail17trampoline_kernelINS0_14default_configENS1_29binary_search_config_selectorIfbEEZNS1_14transform_implILb0ES3_S5_N6thrust23THRUST_200600_302600_NS17counting_iteratorIfNS8_11use_defaultESA_SA_EEPbZNS1_13binary_searchIS3_S5_PfSB_SC_NS1_16binary_search_opENS8_6detail16wrapped_functionINS0_4lessIvEEbEEEE10hipError_tPvRmT1_T2_T3_mmT4_T5_P12ihipStream_tbEUlRKfE_EESL_SP_SQ_mSR_SU_bEUlT_E_NS1_11comp_targetILNS1_3genE4ELNS1_11target_archE910ELNS1_3gpuE8ELNS1_3repE0EEENS1_30default_config_static_selectorELNS0_4arch9wavefront6targetE1EEEvSO_
	.globl	_ZN7rocprim17ROCPRIM_400000_NS6detail17trampoline_kernelINS0_14default_configENS1_29binary_search_config_selectorIfbEEZNS1_14transform_implILb0ES3_S5_N6thrust23THRUST_200600_302600_NS17counting_iteratorIfNS8_11use_defaultESA_SA_EEPbZNS1_13binary_searchIS3_S5_PfSB_SC_NS1_16binary_search_opENS8_6detail16wrapped_functionINS0_4lessIvEEbEEEE10hipError_tPvRmT1_T2_T3_mmT4_T5_P12ihipStream_tbEUlRKfE_EESL_SP_SQ_mSR_SU_bEUlT_E_NS1_11comp_targetILNS1_3genE4ELNS1_11target_archE910ELNS1_3gpuE8ELNS1_3repE0EEENS1_30default_config_static_selectorELNS0_4arch9wavefront6targetE1EEEvSO_
	.p2align	8
	.type	_ZN7rocprim17ROCPRIM_400000_NS6detail17trampoline_kernelINS0_14default_configENS1_29binary_search_config_selectorIfbEEZNS1_14transform_implILb0ES3_S5_N6thrust23THRUST_200600_302600_NS17counting_iteratorIfNS8_11use_defaultESA_SA_EEPbZNS1_13binary_searchIS3_S5_PfSB_SC_NS1_16binary_search_opENS8_6detail16wrapped_functionINS0_4lessIvEEbEEEE10hipError_tPvRmT1_T2_T3_mmT4_T5_P12ihipStream_tbEUlRKfE_EESL_SP_SQ_mSR_SU_bEUlT_E_NS1_11comp_targetILNS1_3genE4ELNS1_11target_archE910ELNS1_3gpuE8ELNS1_3repE0EEENS1_30default_config_static_selectorELNS0_4arch9wavefront6targetE1EEEvSO_,@function
_ZN7rocprim17ROCPRIM_400000_NS6detail17trampoline_kernelINS0_14default_configENS1_29binary_search_config_selectorIfbEEZNS1_14transform_implILb0ES3_S5_N6thrust23THRUST_200600_302600_NS17counting_iteratorIfNS8_11use_defaultESA_SA_EEPbZNS1_13binary_searchIS3_S5_PfSB_SC_NS1_16binary_search_opENS8_6detail16wrapped_functionINS0_4lessIvEEbEEEE10hipError_tPvRmT1_T2_T3_mmT4_T5_P12ihipStream_tbEUlRKfE_EESL_SP_SQ_mSR_SU_bEUlT_E_NS1_11comp_targetILNS1_3genE4ELNS1_11target_archE910ELNS1_3gpuE8ELNS1_3repE0EEENS1_30default_config_static_selectorELNS0_4arch9wavefront6targetE1EEEvSO_: ; @_ZN7rocprim17ROCPRIM_400000_NS6detail17trampoline_kernelINS0_14default_configENS1_29binary_search_config_selectorIfbEEZNS1_14transform_implILb0ES3_S5_N6thrust23THRUST_200600_302600_NS17counting_iteratorIfNS8_11use_defaultESA_SA_EEPbZNS1_13binary_searchIS3_S5_PfSB_SC_NS1_16binary_search_opENS8_6detail16wrapped_functionINS0_4lessIvEEbEEEE10hipError_tPvRmT1_T2_T3_mmT4_T5_P12ihipStream_tbEUlRKfE_EESL_SP_SQ_mSR_SU_bEUlT_E_NS1_11comp_targetILNS1_3genE4ELNS1_11target_archE910ELNS1_3gpuE8ELNS1_3repE0EEENS1_30default_config_static_selectorELNS0_4arch9wavefront6targetE1EEEvSO_
; %bb.0:
	s_load_dwordx2 s[8:9], s[4:5], 0x8
	s_load_dword s7, s[4:5], 0x0
	s_load_dword s12, s[4:5], 0x38
	s_lshl_b32 s16, s6, 8
	s_waitcnt lgkmcnt(0)
	s_xor_b32 s1, s8, s9
	s_flbit_i32 s0, s9
	s_ashr_i32 s1, s1, 31
	s_add_i32 s0, s0, -1
	s_add_i32 s1, s1, 32
	s_min_u32 s13, s0, s1
	s_lshl_b64 s[0:1], s[8:9], s13
	s_min_u32 s0, s0, 1
	s_or_b32 s0, s1, s0
	v_cvt_f32_i32_e32 v1, s0
	s_load_dwordx4 s[0:3], s[4:5], 0x18
	s_load_dwordx2 s[10:11], s[4:5], 0x28
	s_sub_i32 s13, 32, s13
	s_add_i32 s12, s12, -1
	v_ldexp_f32 v1, v1, s13
	s_cmp_lg_u32 s6, s12
	v_add_f32_e32 v1, s7, v1
	s_cbranch_scc0 .LBB182_8
; %bb.1:
	v_cvt_f32_u32_e32 v2, s16
	v_cvt_f32_ubyte0_e32 v3, v0
	s_mov_b64 s[6:7], 0
	s_waitcnt lgkmcnt(0)
	s_cmp_eq_u64 s[10:11], 0
	v_add_f32_e32 v2, v1, v2
	v_add_f32_e32 v6, v2, v3
	v_pk_mov_b32 v[2:3], 0, 0
	s_cbranch_scc1 .LBB182_5
; %bb.2:
	v_pk_mov_b32 v[2:3], 0, 0
	v_pk_mov_b32 v[4:5], s[10:11], s[10:11] op_sel:[0,1]
	v_mov_b32_e32 v7, s3
.LBB182_3:                              ; =>This Inner Loop Header: Depth=1
	v_sub_co_u32_e32 v8, vcc, v4, v2
	v_subb_co_u32_e32 v9, vcc, v5, v3, vcc
	v_lshrrev_b64 v[10:11], 1, v[8:9]
	v_add_co_u32_e32 v10, vcc, v10, v2
	v_lshrrev_b64 v[8:9], 6, v[8:9]
	v_addc_co_u32_e32 v11, vcc, v11, v3, vcc
	v_add_co_u32_e32 v8, vcc, v10, v8
	v_addc_co_u32_e32 v9, vcc, v11, v9, vcc
	v_lshlrev_b64 v[10:11], 2, v[8:9]
	v_add_co_u32_e32 v10, vcc, s2, v10
	v_addc_co_u32_e32 v11, vcc, v7, v11, vcc
	global_load_dword v10, v[10:11], off
	v_add_co_u32_e32 v11, vcc, 1, v8
	v_addc_co_u32_e32 v12, vcc, 0, v9, vcc
	s_waitcnt vmcnt(0)
	v_cmp_lt_f32_e32 vcc, v10, v6
	v_cndmask_b32_e32 v5, v9, v5, vcc
	v_cndmask_b32_e32 v4, v8, v4, vcc
	;; [unrolled: 1-line block ×4, first 2 shown]
	v_cmp_ge_u64_e32 vcc, v[2:3], v[4:5]
	s_or_b64 s[6:7], vcc, s[6:7]
	s_andn2_b64 exec, exec, s[6:7]
	s_cbranch_execnz .LBB182_3
; %bb.4:
	s_or_b64 exec, exec, s[6:7]
.LBB182_5:
	v_cmp_ne_u64_e32 vcc, s[10:11], v[2:3]
	s_mov_b64 s[12:13], 0
	s_mov_b64 s[14:15], 0
	s_and_saveexec_b64 s[6:7], vcc
	s_cbranch_execz .LBB182_7
; %bb.6:
	v_lshlrev_b64 v[2:3], 2, v[2:3]
	v_mov_b32_e32 v4, s3
	v_add_co_u32_e32 v2, vcc, s2, v2
	v_addc_co_u32_e32 v3, vcc, v4, v3, vcc
	global_load_dword v2, v[2:3], off
	s_waitcnt vmcnt(0)
	v_cmp_ngt_f32_e32 vcc, v2, v6
	s_and_b64 s[14:15], vcc, exec
.LBB182_7:
	s_or_b64 exec, exec, s[6:7]
	v_cndmask_b32_e64 v2, 0, 1, s[14:15]
	s_mov_b64 s[6:7], -1
	s_and_b64 vcc, exec, s[12:13]
	s_cbranch_vccnz .LBB182_9
	s_branch .LBB182_18
.LBB182_8:
	s_mov_b64 s[6:7], 0
                                        ; implicit-def: $vgpr2
	s_cbranch_execz .LBB182_18
.LBB182_9:
	s_load_dword s4, s[4:5], 0x10
                                        ; implicit-def: $vgpr2
	s_waitcnt lgkmcnt(0)
	s_sub_i32 s4, s4, s16
	v_cmp_gt_u32_e64 s[6:7], s4, v0
	s_and_saveexec_b64 s[4:5], s[6:7]
	s_cbranch_execz .LBB182_17
; %bb.10:
	v_cvt_f32_u32_e32 v2, s16
	v_cvt_f32_ubyte0_e32 v3, v0
	s_mov_b64 s[12:13], 0
	s_cmp_eq_u64 s[10:11], 0
	v_add_f32_e32 v1, v1, v2
	v_add_f32_e32 v1, v1, v3
	v_pk_mov_b32 v[2:3], 0, 0
	s_cbranch_scc1 .LBB182_14
; %bb.11:
	v_pk_mov_b32 v[2:3], 0, 0
	v_pk_mov_b32 v[4:5], s[10:11], s[10:11] op_sel:[0,1]
	v_mov_b32_e32 v6, s3
.LBB182_12:                             ; =>This Inner Loop Header: Depth=1
	v_sub_co_u32_e32 v8, vcc, v4, v2
	v_subb_co_u32_e32 v9, vcc, v5, v3, vcc
	v_lshrrev_b64 v[10:11], 1, v[8:9]
	v_add_co_u32_e32 v7, vcc, v10, v2
	v_lshrrev_b64 v[8:9], 6, v[8:9]
	v_addc_co_u32_e32 v10, vcc, v11, v3, vcc
	v_add_co_u32_e32 v8, vcc, v7, v8
	v_addc_co_u32_e32 v9, vcc, v10, v9, vcc
	v_lshlrev_b64 v[10:11], 2, v[8:9]
	v_add_co_u32_e32 v10, vcc, s2, v10
	v_addc_co_u32_e32 v11, vcc, v6, v11, vcc
	global_load_dword v7, v[10:11], off
	v_add_co_u32_e32 v10, vcc, 1, v8
	v_addc_co_u32_e32 v11, vcc, 0, v9, vcc
	s_waitcnt vmcnt(0)
	v_cmp_lt_f32_e32 vcc, v7, v1
	v_cndmask_b32_e32 v5, v9, v5, vcc
	v_cndmask_b32_e32 v4, v8, v4, vcc
	;; [unrolled: 1-line block ×4, first 2 shown]
	v_cmp_ge_u64_e32 vcc, v[2:3], v[4:5]
	s_or_b64 s[12:13], vcc, s[12:13]
	s_andn2_b64 exec, exec, s[12:13]
	s_cbranch_execnz .LBB182_12
; %bb.13:
	s_or_b64 exec, exec, s[12:13]
.LBB182_14:
	v_cmp_ne_u64_e32 vcc, s[10:11], v[2:3]
	s_mov_b64 s[12:13], 0
	s_and_saveexec_b64 s[10:11], vcc
	s_cbranch_execz .LBB182_16
; %bb.15:
	v_lshlrev_b64 v[2:3], 2, v[2:3]
	v_mov_b32_e32 v4, s3
	v_add_co_u32_e32 v2, vcc, s2, v2
	v_addc_co_u32_e32 v3, vcc, v4, v3, vcc
	global_load_dword v2, v[2:3], off
	s_waitcnt vmcnt(0)
	v_cmp_ngt_f32_e32 vcc, v2, v1
	s_and_b64 s[12:13], vcc, exec
.LBB182_16:
	s_or_b64 exec, exec, s[10:11]
	v_cndmask_b32_e64 v2, 0, 1, s[12:13]
.LBB182_17:
	s_or_b64 exec, exec, s[4:5]
.LBB182_18:
	s_waitcnt lgkmcnt(0)
	s_and_saveexec_b64 s[2:3], s[6:7]
	s_cbranch_execz .LBB182_20
; %bb.19:
	s_add_u32 s0, s0, s8
	s_addc_u32 s1, s1, s9
	s_add_u32 s0, s0, s16
	s_addc_u32 s1, s1, 0
	global_store_byte v0, v2, s[0:1]
.LBB182_20:
	s_endpgm
	.section	.rodata,"a",@progbits
	.p2align	6, 0x0
	.amdhsa_kernel _ZN7rocprim17ROCPRIM_400000_NS6detail17trampoline_kernelINS0_14default_configENS1_29binary_search_config_selectorIfbEEZNS1_14transform_implILb0ES3_S5_N6thrust23THRUST_200600_302600_NS17counting_iteratorIfNS8_11use_defaultESA_SA_EEPbZNS1_13binary_searchIS3_S5_PfSB_SC_NS1_16binary_search_opENS8_6detail16wrapped_functionINS0_4lessIvEEbEEEE10hipError_tPvRmT1_T2_T3_mmT4_T5_P12ihipStream_tbEUlRKfE_EESL_SP_SQ_mSR_SU_bEUlT_E_NS1_11comp_targetILNS1_3genE4ELNS1_11target_archE910ELNS1_3gpuE8ELNS1_3repE0EEENS1_30default_config_static_selectorELNS0_4arch9wavefront6targetE1EEEvSO_
		.amdhsa_group_segment_fixed_size 0
		.amdhsa_private_segment_fixed_size 0
		.amdhsa_kernarg_size 312
		.amdhsa_user_sgpr_count 6
		.amdhsa_user_sgpr_private_segment_buffer 1
		.amdhsa_user_sgpr_dispatch_ptr 0
		.amdhsa_user_sgpr_queue_ptr 0
		.amdhsa_user_sgpr_kernarg_segment_ptr 1
		.amdhsa_user_sgpr_dispatch_id 0
		.amdhsa_user_sgpr_flat_scratch_init 0
		.amdhsa_user_sgpr_kernarg_preload_length 0
		.amdhsa_user_sgpr_kernarg_preload_offset 0
		.amdhsa_user_sgpr_private_segment_size 0
		.amdhsa_uses_dynamic_stack 0
		.amdhsa_system_sgpr_private_segment_wavefront_offset 0
		.amdhsa_system_sgpr_workgroup_id_x 1
		.amdhsa_system_sgpr_workgroup_id_y 0
		.amdhsa_system_sgpr_workgroup_id_z 0
		.amdhsa_system_sgpr_workgroup_info 0
		.amdhsa_system_vgpr_workitem_id 0
		.amdhsa_next_free_vgpr 13
		.amdhsa_next_free_sgpr 17
		.amdhsa_accum_offset 16
		.amdhsa_reserve_vcc 1
		.amdhsa_reserve_flat_scratch 0
		.amdhsa_float_round_mode_32 0
		.amdhsa_float_round_mode_16_64 0
		.amdhsa_float_denorm_mode_32 3
		.amdhsa_float_denorm_mode_16_64 3
		.amdhsa_dx10_clamp 1
		.amdhsa_ieee_mode 1
		.amdhsa_fp16_overflow 0
		.amdhsa_tg_split 0
		.amdhsa_exception_fp_ieee_invalid_op 0
		.amdhsa_exception_fp_denorm_src 0
		.amdhsa_exception_fp_ieee_div_zero 0
		.amdhsa_exception_fp_ieee_overflow 0
		.amdhsa_exception_fp_ieee_underflow 0
		.amdhsa_exception_fp_ieee_inexact 0
		.amdhsa_exception_int_div_zero 0
	.end_amdhsa_kernel
	.section	.text._ZN7rocprim17ROCPRIM_400000_NS6detail17trampoline_kernelINS0_14default_configENS1_29binary_search_config_selectorIfbEEZNS1_14transform_implILb0ES3_S5_N6thrust23THRUST_200600_302600_NS17counting_iteratorIfNS8_11use_defaultESA_SA_EEPbZNS1_13binary_searchIS3_S5_PfSB_SC_NS1_16binary_search_opENS8_6detail16wrapped_functionINS0_4lessIvEEbEEEE10hipError_tPvRmT1_T2_T3_mmT4_T5_P12ihipStream_tbEUlRKfE_EESL_SP_SQ_mSR_SU_bEUlT_E_NS1_11comp_targetILNS1_3genE4ELNS1_11target_archE910ELNS1_3gpuE8ELNS1_3repE0EEENS1_30default_config_static_selectorELNS0_4arch9wavefront6targetE1EEEvSO_,"axG",@progbits,_ZN7rocprim17ROCPRIM_400000_NS6detail17trampoline_kernelINS0_14default_configENS1_29binary_search_config_selectorIfbEEZNS1_14transform_implILb0ES3_S5_N6thrust23THRUST_200600_302600_NS17counting_iteratorIfNS8_11use_defaultESA_SA_EEPbZNS1_13binary_searchIS3_S5_PfSB_SC_NS1_16binary_search_opENS8_6detail16wrapped_functionINS0_4lessIvEEbEEEE10hipError_tPvRmT1_T2_T3_mmT4_T5_P12ihipStream_tbEUlRKfE_EESL_SP_SQ_mSR_SU_bEUlT_E_NS1_11comp_targetILNS1_3genE4ELNS1_11target_archE910ELNS1_3gpuE8ELNS1_3repE0EEENS1_30default_config_static_selectorELNS0_4arch9wavefront6targetE1EEEvSO_,comdat
.Lfunc_end182:
	.size	_ZN7rocprim17ROCPRIM_400000_NS6detail17trampoline_kernelINS0_14default_configENS1_29binary_search_config_selectorIfbEEZNS1_14transform_implILb0ES3_S5_N6thrust23THRUST_200600_302600_NS17counting_iteratorIfNS8_11use_defaultESA_SA_EEPbZNS1_13binary_searchIS3_S5_PfSB_SC_NS1_16binary_search_opENS8_6detail16wrapped_functionINS0_4lessIvEEbEEEE10hipError_tPvRmT1_T2_T3_mmT4_T5_P12ihipStream_tbEUlRKfE_EESL_SP_SQ_mSR_SU_bEUlT_E_NS1_11comp_targetILNS1_3genE4ELNS1_11target_archE910ELNS1_3gpuE8ELNS1_3repE0EEENS1_30default_config_static_selectorELNS0_4arch9wavefront6targetE1EEEvSO_, .Lfunc_end182-_ZN7rocprim17ROCPRIM_400000_NS6detail17trampoline_kernelINS0_14default_configENS1_29binary_search_config_selectorIfbEEZNS1_14transform_implILb0ES3_S5_N6thrust23THRUST_200600_302600_NS17counting_iteratorIfNS8_11use_defaultESA_SA_EEPbZNS1_13binary_searchIS3_S5_PfSB_SC_NS1_16binary_search_opENS8_6detail16wrapped_functionINS0_4lessIvEEbEEEE10hipError_tPvRmT1_T2_T3_mmT4_T5_P12ihipStream_tbEUlRKfE_EESL_SP_SQ_mSR_SU_bEUlT_E_NS1_11comp_targetILNS1_3genE4ELNS1_11target_archE910ELNS1_3gpuE8ELNS1_3repE0EEENS1_30default_config_static_selectorELNS0_4arch9wavefront6targetE1EEEvSO_
                                        ; -- End function
	.section	.AMDGPU.csdata,"",@progbits
; Kernel info:
; codeLenInByte = 704
; NumSgprs: 21
; NumVgprs: 13
; NumAgprs: 0
; TotalNumVgprs: 13
; ScratchSize: 0
; MemoryBound: 0
; FloatMode: 240
; IeeeMode: 1
; LDSByteSize: 0 bytes/workgroup (compile time only)
; SGPRBlocks: 2
; VGPRBlocks: 1
; NumSGPRsForWavesPerEU: 21
; NumVGPRsForWavesPerEU: 13
; AccumOffset: 16
; Occupancy: 8
; WaveLimiterHint : 0
; COMPUTE_PGM_RSRC2:SCRATCH_EN: 0
; COMPUTE_PGM_RSRC2:USER_SGPR: 6
; COMPUTE_PGM_RSRC2:TRAP_HANDLER: 0
; COMPUTE_PGM_RSRC2:TGID_X_EN: 1
; COMPUTE_PGM_RSRC2:TGID_Y_EN: 0
; COMPUTE_PGM_RSRC2:TGID_Z_EN: 0
; COMPUTE_PGM_RSRC2:TIDIG_COMP_CNT: 0
; COMPUTE_PGM_RSRC3_GFX90A:ACCUM_OFFSET: 3
; COMPUTE_PGM_RSRC3_GFX90A:TG_SPLIT: 0
	.section	.text._ZN7rocprim17ROCPRIM_400000_NS6detail17trampoline_kernelINS0_14default_configENS1_29binary_search_config_selectorIfbEEZNS1_14transform_implILb0ES3_S5_N6thrust23THRUST_200600_302600_NS17counting_iteratorIfNS8_11use_defaultESA_SA_EEPbZNS1_13binary_searchIS3_S5_PfSB_SC_NS1_16binary_search_opENS8_6detail16wrapped_functionINS0_4lessIvEEbEEEE10hipError_tPvRmT1_T2_T3_mmT4_T5_P12ihipStream_tbEUlRKfE_EESL_SP_SQ_mSR_SU_bEUlT_E_NS1_11comp_targetILNS1_3genE3ELNS1_11target_archE908ELNS1_3gpuE7ELNS1_3repE0EEENS1_30default_config_static_selectorELNS0_4arch9wavefront6targetE1EEEvSO_,"axG",@progbits,_ZN7rocprim17ROCPRIM_400000_NS6detail17trampoline_kernelINS0_14default_configENS1_29binary_search_config_selectorIfbEEZNS1_14transform_implILb0ES3_S5_N6thrust23THRUST_200600_302600_NS17counting_iteratorIfNS8_11use_defaultESA_SA_EEPbZNS1_13binary_searchIS3_S5_PfSB_SC_NS1_16binary_search_opENS8_6detail16wrapped_functionINS0_4lessIvEEbEEEE10hipError_tPvRmT1_T2_T3_mmT4_T5_P12ihipStream_tbEUlRKfE_EESL_SP_SQ_mSR_SU_bEUlT_E_NS1_11comp_targetILNS1_3genE3ELNS1_11target_archE908ELNS1_3gpuE7ELNS1_3repE0EEENS1_30default_config_static_selectorELNS0_4arch9wavefront6targetE1EEEvSO_,comdat
	.protected	_ZN7rocprim17ROCPRIM_400000_NS6detail17trampoline_kernelINS0_14default_configENS1_29binary_search_config_selectorIfbEEZNS1_14transform_implILb0ES3_S5_N6thrust23THRUST_200600_302600_NS17counting_iteratorIfNS8_11use_defaultESA_SA_EEPbZNS1_13binary_searchIS3_S5_PfSB_SC_NS1_16binary_search_opENS8_6detail16wrapped_functionINS0_4lessIvEEbEEEE10hipError_tPvRmT1_T2_T3_mmT4_T5_P12ihipStream_tbEUlRKfE_EESL_SP_SQ_mSR_SU_bEUlT_E_NS1_11comp_targetILNS1_3genE3ELNS1_11target_archE908ELNS1_3gpuE7ELNS1_3repE0EEENS1_30default_config_static_selectorELNS0_4arch9wavefront6targetE1EEEvSO_ ; -- Begin function _ZN7rocprim17ROCPRIM_400000_NS6detail17trampoline_kernelINS0_14default_configENS1_29binary_search_config_selectorIfbEEZNS1_14transform_implILb0ES3_S5_N6thrust23THRUST_200600_302600_NS17counting_iteratorIfNS8_11use_defaultESA_SA_EEPbZNS1_13binary_searchIS3_S5_PfSB_SC_NS1_16binary_search_opENS8_6detail16wrapped_functionINS0_4lessIvEEbEEEE10hipError_tPvRmT1_T2_T3_mmT4_T5_P12ihipStream_tbEUlRKfE_EESL_SP_SQ_mSR_SU_bEUlT_E_NS1_11comp_targetILNS1_3genE3ELNS1_11target_archE908ELNS1_3gpuE7ELNS1_3repE0EEENS1_30default_config_static_selectorELNS0_4arch9wavefront6targetE1EEEvSO_
	.globl	_ZN7rocprim17ROCPRIM_400000_NS6detail17trampoline_kernelINS0_14default_configENS1_29binary_search_config_selectorIfbEEZNS1_14transform_implILb0ES3_S5_N6thrust23THRUST_200600_302600_NS17counting_iteratorIfNS8_11use_defaultESA_SA_EEPbZNS1_13binary_searchIS3_S5_PfSB_SC_NS1_16binary_search_opENS8_6detail16wrapped_functionINS0_4lessIvEEbEEEE10hipError_tPvRmT1_T2_T3_mmT4_T5_P12ihipStream_tbEUlRKfE_EESL_SP_SQ_mSR_SU_bEUlT_E_NS1_11comp_targetILNS1_3genE3ELNS1_11target_archE908ELNS1_3gpuE7ELNS1_3repE0EEENS1_30default_config_static_selectorELNS0_4arch9wavefront6targetE1EEEvSO_
	.p2align	8
	.type	_ZN7rocprim17ROCPRIM_400000_NS6detail17trampoline_kernelINS0_14default_configENS1_29binary_search_config_selectorIfbEEZNS1_14transform_implILb0ES3_S5_N6thrust23THRUST_200600_302600_NS17counting_iteratorIfNS8_11use_defaultESA_SA_EEPbZNS1_13binary_searchIS3_S5_PfSB_SC_NS1_16binary_search_opENS8_6detail16wrapped_functionINS0_4lessIvEEbEEEE10hipError_tPvRmT1_T2_T3_mmT4_T5_P12ihipStream_tbEUlRKfE_EESL_SP_SQ_mSR_SU_bEUlT_E_NS1_11comp_targetILNS1_3genE3ELNS1_11target_archE908ELNS1_3gpuE7ELNS1_3repE0EEENS1_30default_config_static_selectorELNS0_4arch9wavefront6targetE1EEEvSO_,@function
_ZN7rocprim17ROCPRIM_400000_NS6detail17trampoline_kernelINS0_14default_configENS1_29binary_search_config_selectorIfbEEZNS1_14transform_implILb0ES3_S5_N6thrust23THRUST_200600_302600_NS17counting_iteratorIfNS8_11use_defaultESA_SA_EEPbZNS1_13binary_searchIS3_S5_PfSB_SC_NS1_16binary_search_opENS8_6detail16wrapped_functionINS0_4lessIvEEbEEEE10hipError_tPvRmT1_T2_T3_mmT4_T5_P12ihipStream_tbEUlRKfE_EESL_SP_SQ_mSR_SU_bEUlT_E_NS1_11comp_targetILNS1_3genE3ELNS1_11target_archE908ELNS1_3gpuE7ELNS1_3repE0EEENS1_30default_config_static_selectorELNS0_4arch9wavefront6targetE1EEEvSO_: ; @_ZN7rocprim17ROCPRIM_400000_NS6detail17trampoline_kernelINS0_14default_configENS1_29binary_search_config_selectorIfbEEZNS1_14transform_implILb0ES3_S5_N6thrust23THRUST_200600_302600_NS17counting_iteratorIfNS8_11use_defaultESA_SA_EEPbZNS1_13binary_searchIS3_S5_PfSB_SC_NS1_16binary_search_opENS8_6detail16wrapped_functionINS0_4lessIvEEbEEEE10hipError_tPvRmT1_T2_T3_mmT4_T5_P12ihipStream_tbEUlRKfE_EESL_SP_SQ_mSR_SU_bEUlT_E_NS1_11comp_targetILNS1_3genE3ELNS1_11target_archE908ELNS1_3gpuE7ELNS1_3repE0EEENS1_30default_config_static_selectorELNS0_4arch9wavefront6targetE1EEEvSO_
; %bb.0:
	.section	.rodata,"a",@progbits
	.p2align	6, 0x0
	.amdhsa_kernel _ZN7rocprim17ROCPRIM_400000_NS6detail17trampoline_kernelINS0_14default_configENS1_29binary_search_config_selectorIfbEEZNS1_14transform_implILb0ES3_S5_N6thrust23THRUST_200600_302600_NS17counting_iteratorIfNS8_11use_defaultESA_SA_EEPbZNS1_13binary_searchIS3_S5_PfSB_SC_NS1_16binary_search_opENS8_6detail16wrapped_functionINS0_4lessIvEEbEEEE10hipError_tPvRmT1_T2_T3_mmT4_T5_P12ihipStream_tbEUlRKfE_EESL_SP_SQ_mSR_SU_bEUlT_E_NS1_11comp_targetILNS1_3genE3ELNS1_11target_archE908ELNS1_3gpuE7ELNS1_3repE0EEENS1_30default_config_static_selectorELNS0_4arch9wavefront6targetE1EEEvSO_
		.amdhsa_group_segment_fixed_size 0
		.amdhsa_private_segment_fixed_size 0
		.amdhsa_kernarg_size 56
		.amdhsa_user_sgpr_count 6
		.amdhsa_user_sgpr_private_segment_buffer 1
		.amdhsa_user_sgpr_dispatch_ptr 0
		.amdhsa_user_sgpr_queue_ptr 0
		.amdhsa_user_sgpr_kernarg_segment_ptr 1
		.amdhsa_user_sgpr_dispatch_id 0
		.amdhsa_user_sgpr_flat_scratch_init 0
		.amdhsa_user_sgpr_kernarg_preload_length 0
		.amdhsa_user_sgpr_kernarg_preload_offset 0
		.amdhsa_user_sgpr_private_segment_size 0
		.amdhsa_uses_dynamic_stack 0
		.amdhsa_system_sgpr_private_segment_wavefront_offset 0
		.amdhsa_system_sgpr_workgroup_id_x 1
		.amdhsa_system_sgpr_workgroup_id_y 0
		.amdhsa_system_sgpr_workgroup_id_z 0
		.amdhsa_system_sgpr_workgroup_info 0
		.amdhsa_system_vgpr_workitem_id 0
		.amdhsa_next_free_vgpr 1
		.amdhsa_next_free_sgpr 0
		.amdhsa_accum_offset 4
		.amdhsa_reserve_vcc 0
		.amdhsa_reserve_flat_scratch 0
		.amdhsa_float_round_mode_32 0
		.amdhsa_float_round_mode_16_64 0
		.amdhsa_float_denorm_mode_32 3
		.amdhsa_float_denorm_mode_16_64 3
		.amdhsa_dx10_clamp 1
		.amdhsa_ieee_mode 1
		.amdhsa_fp16_overflow 0
		.amdhsa_tg_split 0
		.amdhsa_exception_fp_ieee_invalid_op 0
		.amdhsa_exception_fp_denorm_src 0
		.amdhsa_exception_fp_ieee_div_zero 0
		.amdhsa_exception_fp_ieee_overflow 0
		.amdhsa_exception_fp_ieee_underflow 0
		.amdhsa_exception_fp_ieee_inexact 0
		.amdhsa_exception_int_div_zero 0
	.end_amdhsa_kernel
	.section	.text._ZN7rocprim17ROCPRIM_400000_NS6detail17trampoline_kernelINS0_14default_configENS1_29binary_search_config_selectorIfbEEZNS1_14transform_implILb0ES3_S5_N6thrust23THRUST_200600_302600_NS17counting_iteratorIfNS8_11use_defaultESA_SA_EEPbZNS1_13binary_searchIS3_S5_PfSB_SC_NS1_16binary_search_opENS8_6detail16wrapped_functionINS0_4lessIvEEbEEEE10hipError_tPvRmT1_T2_T3_mmT4_T5_P12ihipStream_tbEUlRKfE_EESL_SP_SQ_mSR_SU_bEUlT_E_NS1_11comp_targetILNS1_3genE3ELNS1_11target_archE908ELNS1_3gpuE7ELNS1_3repE0EEENS1_30default_config_static_selectorELNS0_4arch9wavefront6targetE1EEEvSO_,"axG",@progbits,_ZN7rocprim17ROCPRIM_400000_NS6detail17trampoline_kernelINS0_14default_configENS1_29binary_search_config_selectorIfbEEZNS1_14transform_implILb0ES3_S5_N6thrust23THRUST_200600_302600_NS17counting_iteratorIfNS8_11use_defaultESA_SA_EEPbZNS1_13binary_searchIS3_S5_PfSB_SC_NS1_16binary_search_opENS8_6detail16wrapped_functionINS0_4lessIvEEbEEEE10hipError_tPvRmT1_T2_T3_mmT4_T5_P12ihipStream_tbEUlRKfE_EESL_SP_SQ_mSR_SU_bEUlT_E_NS1_11comp_targetILNS1_3genE3ELNS1_11target_archE908ELNS1_3gpuE7ELNS1_3repE0EEENS1_30default_config_static_selectorELNS0_4arch9wavefront6targetE1EEEvSO_,comdat
.Lfunc_end183:
	.size	_ZN7rocprim17ROCPRIM_400000_NS6detail17trampoline_kernelINS0_14default_configENS1_29binary_search_config_selectorIfbEEZNS1_14transform_implILb0ES3_S5_N6thrust23THRUST_200600_302600_NS17counting_iteratorIfNS8_11use_defaultESA_SA_EEPbZNS1_13binary_searchIS3_S5_PfSB_SC_NS1_16binary_search_opENS8_6detail16wrapped_functionINS0_4lessIvEEbEEEE10hipError_tPvRmT1_T2_T3_mmT4_T5_P12ihipStream_tbEUlRKfE_EESL_SP_SQ_mSR_SU_bEUlT_E_NS1_11comp_targetILNS1_3genE3ELNS1_11target_archE908ELNS1_3gpuE7ELNS1_3repE0EEENS1_30default_config_static_selectorELNS0_4arch9wavefront6targetE1EEEvSO_, .Lfunc_end183-_ZN7rocprim17ROCPRIM_400000_NS6detail17trampoline_kernelINS0_14default_configENS1_29binary_search_config_selectorIfbEEZNS1_14transform_implILb0ES3_S5_N6thrust23THRUST_200600_302600_NS17counting_iteratorIfNS8_11use_defaultESA_SA_EEPbZNS1_13binary_searchIS3_S5_PfSB_SC_NS1_16binary_search_opENS8_6detail16wrapped_functionINS0_4lessIvEEbEEEE10hipError_tPvRmT1_T2_T3_mmT4_T5_P12ihipStream_tbEUlRKfE_EESL_SP_SQ_mSR_SU_bEUlT_E_NS1_11comp_targetILNS1_3genE3ELNS1_11target_archE908ELNS1_3gpuE7ELNS1_3repE0EEENS1_30default_config_static_selectorELNS0_4arch9wavefront6targetE1EEEvSO_
                                        ; -- End function
	.section	.AMDGPU.csdata,"",@progbits
; Kernel info:
; codeLenInByte = 0
; NumSgprs: 4
; NumVgprs: 0
; NumAgprs: 0
; TotalNumVgprs: 0
; ScratchSize: 0
; MemoryBound: 0
; FloatMode: 240
; IeeeMode: 1
; LDSByteSize: 0 bytes/workgroup (compile time only)
; SGPRBlocks: 0
; VGPRBlocks: 0
; NumSGPRsForWavesPerEU: 4
; NumVGPRsForWavesPerEU: 1
; AccumOffset: 4
; Occupancy: 8
; WaveLimiterHint : 0
; COMPUTE_PGM_RSRC2:SCRATCH_EN: 0
; COMPUTE_PGM_RSRC2:USER_SGPR: 6
; COMPUTE_PGM_RSRC2:TRAP_HANDLER: 0
; COMPUTE_PGM_RSRC2:TGID_X_EN: 1
; COMPUTE_PGM_RSRC2:TGID_Y_EN: 0
; COMPUTE_PGM_RSRC2:TGID_Z_EN: 0
; COMPUTE_PGM_RSRC2:TIDIG_COMP_CNT: 0
; COMPUTE_PGM_RSRC3_GFX90A:ACCUM_OFFSET: 0
; COMPUTE_PGM_RSRC3_GFX90A:TG_SPLIT: 0
	.section	.text._ZN7rocprim17ROCPRIM_400000_NS6detail17trampoline_kernelINS0_14default_configENS1_29binary_search_config_selectorIfbEEZNS1_14transform_implILb0ES3_S5_N6thrust23THRUST_200600_302600_NS17counting_iteratorIfNS8_11use_defaultESA_SA_EEPbZNS1_13binary_searchIS3_S5_PfSB_SC_NS1_16binary_search_opENS8_6detail16wrapped_functionINS0_4lessIvEEbEEEE10hipError_tPvRmT1_T2_T3_mmT4_T5_P12ihipStream_tbEUlRKfE_EESL_SP_SQ_mSR_SU_bEUlT_E_NS1_11comp_targetILNS1_3genE2ELNS1_11target_archE906ELNS1_3gpuE6ELNS1_3repE0EEENS1_30default_config_static_selectorELNS0_4arch9wavefront6targetE1EEEvSO_,"axG",@progbits,_ZN7rocprim17ROCPRIM_400000_NS6detail17trampoline_kernelINS0_14default_configENS1_29binary_search_config_selectorIfbEEZNS1_14transform_implILb0ES3_S5_N6thrust23THRUST_200600_302600_NS17counting_iteratorIfNS8_11use_defaultESA_SA_EEPbZNS1_13binary_searchIS3_S5_PfSB_SC_NS1_16binary_search_opENS8_6detail16wrapped_functionINS0_4lessIvEEbEEEE10hipError_tPvRmT1_T2_T3_mmT4_T5_P12ihipStream_tbEUlRKfE_EESL_SP_SQ_mSR_SU_bEUlT_E_NS1_11comp_targetILNS1_3genE2ELNS1_11target_archE906ELNS1_3gpuE6ELNS1_3repE0EEENS1_30default_config_static_selectorELNS0_4arch9wavefront6targetE1EEEvSO_,comdat
	.protected	_ZN7rocprim17ROCPRIM_400000_NS6detail17trampoline_kernelINS0_14default_configENS1_29binary_search_config_selectorIfbEEZNS1_14transform_implILb0ES3_S5_N6thrust23THRUST_200600_302600_NS17counting_iteratorIfNS8_11use_defaultESA_SA_EEPbZNS1_13binary_searchIS3_S5_PfSB_SC_NS1_16binary_search_opENS8_6detail16wrapped_functionINS0_4lessIvEEbEEEE10hipError_tPvRmT1_T2_T3_mmT4_T5_P12ihipStream_tbEUlRKfE_EESL_SP_SQ_mSR_SU_bEUlT_E_NS1_11comp_targetILNS1_3genE2ELNS1_11target_archE906ELNS1_3gpuE6ELNS1_3repE0EEENS1_30default_config_static_selectorELNS0_4arch9wavefront6targetE1EEEvSO_ ; -- Begin function _ZN7rocprim17ROCPRIM_400000_NS6detail17trampoline_kernelINS0_14default_configENS1_29binary_search_config_selectorIfbEEZNS1_14transform_implILb0ES3_S5_N6thrust23THRUST_200600_302600_NS17counting_iteratorIfNS8_11use_defaultESA_SA_EEPbZNS1_13binary_searchIS3_S5_PfSB_SC_NS1_16binary_search_opENS8_6detail16wrapped_functionINS0_4lessIvEEbEEEE10hipError_tPvRmT1_T2_T3_mmT4_T5_P12ihipStream_tbEUlRKfE_EESL_SP_SQ_mSR_SU_bEUlT_E_NS1_11comp_targetILNS1_3genE2ELNS1_11target_archE906ELNS1_3gpuE6ELNS1_3repE0EEENS1_30default_config_static_selectorELNS0_4arch9wavefront6targetE1EEEvSO_
	.globl	_ZN7rocprim17ROCPRIM_400000_NS6detail17trampoline_kernelINS0_14default_configENS1_29binary_search_config_selectorIfbEEZNS1_14transform_implILb0ES3_S5_N6thrust23THRUST_200600_302600_NS17counting_iteratorIfNS8_11use_defaultESA_SA_EEPbZNS1_13binary_searchIS3_S5_PfSB_SC_NS1_16binary_search_opENS8_6detail16wrapped_functionINS0_4lessIvEEbEEEE10hipError_tPvRmT1_T2_T3_mmT4_T5_P12ihipStream_tbEUlRKfE_EESL_SP_SQ_mSR_SU_bEUlT_E_NS1_11comp_targetILNS1_3genE2ELNS1_11target_archE906ELNS1_3gpuE6ELNS1_3repE0EEENS1_30default_config_static_selectorELNS0_4arch9wavefront6targetE1EEEvSO_
	.p2align	8
	.type	_ZN7rocprim17ROCPRIM_400000_NS6detail17trampoline_kernelINS0_14default_configENS1_29binary_search_config_selectorIfbEEZNS1_14transform_implILb0ES3_S5_N6thrust23THRUST_200600_302600_NS17counting_iteratorIfNS8_11use_defaultESA_SA_EEPbZNS1_13binary_searchIS3_S5_PfSB_SC_NS1_16binary_search_opENS8_6detail16wrapped_functionINS0_4lessIvEEbEEEE10hipError_tPvRmT1_T2_T3_mmT4_T5_P12ihipStream_tbEUlRKfE_EESL_SP_SQ_mSR_SU_bEUlT_E_NS1_11comp_targetILNS1_3genE2ELNS1_11target_archE906ELNS1_3gpuE6ELNS1_3repE0EEENS1_30default_config_static_selectorELNS0_4arch9wavefront6targetE1EEEvSO_,@function
_ZN7rocprim17ROCPRIM_400000_NS6detail17trampoline_kernelINS0_14default_configENS1_29binary_search_config_selectorIfbEEZNS1_14transform_implILb0ES3_S5_N6thrust23THRUST_200600_302600_NS17counting_iteratorIfNS8_11use_defaultESA_SA_EEPbZNS1_13binary_searchIS3_S5_PfSB_SC_NS1_16binary_search_opENS8_6detail16wrapped_functionINS0_4lessIvEEbEEEE10hipError_tPvRmT1_T2_T3_mmT4_T5_P12ihipStream_tbEUlRKfE_EESL_SP_SQ_mSR_SU_bEUlT_E_NS1_11comp_targetILNS1_3genE2ELNS1_11target_archE906ELNS1_3gpuE6ELNS1_3repE0EEENS1_30default_config_static_selectorELNS0_4arch9wavefront6targetE1EEEvSO_: ; @_ZN7rocprim17ROCPRIM_400000_NS6detail17trampoline_kernelINS0_14default_configENS1_29binary_search_config_selectorIfbEEZNS1_14transform_implILb0ES3_S5_N6thrust23THRUST_200600_302600_NS17counting_iteratorIfNS8_11use_defaultESA_SA_EEPbZNS1_13binary_searchIS3_S5_PfSB_SC_NS1_16binary_search_opENS8_6detail16wrapped_functionINS0_4lessIvEEbEEEE10hipError_tPvRmT1_T2_T3_mmT4_T5_P12ihipStream_tbEUlRKfE_EESL_SP_SQ_mSR_SU_bEUlT_E_NS1_11comp_targetILNS1_3genE2ELNS1_11target_archE906ELNS1_3gpuE6ELNS1_3repE0EEENS1_30default_config_static_selectorELNS0_4arch9wavefront6targetE1EEEvSO_
; %bb.0:
	.section	.rodata,"a",@progbits
	.p2align	6, 0x0
	.amdhsa_kernel _ZN7rocprim17ROCPRIM_400000_NS6detail17trampoline_kernelINS0_14default_configENS1_29binary_search_config_selectorIfbEEZNS1_14transform_implILb0ES3_S5_N6thrust23THRUST_200600_302600_NS17counting_iteratorIfNS8_11use_defaultESA_SA_EEPbZNS1_13binary_searchIS3_S5_PfSB_SC_NS1_16binary_search_opENS8_6detail16wrapped_functionINS0_4lessIvEEbEEEE10hipError_tPvRmT1_T2_T3_mmT4_T5_P12ihipStream_tbEUlRKfE_EESL_SP_SQ_mSR_SU_bEUlT_E_NS1_11comp_targetILNS1_3genE2ELNS1_11target_archE906ELNS1_3gpuE6ELNS1_3repE0EEENS1_30default_config_static_selectorELNS0_4arch9wavefront6targetE1EEEvSO_
		.amdhsa_group_segment_fixed_size 0
		.amdhsa_private_segment_fixed_size 0
		.amdhsa_kernarg_size 56
		.amdhsa_user_sgpr_count 6
		.amdhsa_user_sgpr_private_segment_buffer 1
		.amdhsa_user_sgpr_dispatch_ptr 0
		.amdhsa_user_sgpr_queue_ptr 0
		.amdhsa_user_sgpr_kernarg_segment_ptr 1
		.amdhsa_user_sgpr_dispatch_id 0
		.amdhsa_user_sgpr_flat_scratch_init 0
		.amdhsa_user_sgpr_kernarg_preload_length 0
		.amdhsa_user_sgpr_kernarg_preload_offset 0
		.amdhsa_user_sgpr_private_segment_size 0
		.amdhsa_uses_dynamic_stack 0
		.amdhsa_system_sgpr_private_segment_wavefront_offset 0
		.amdhsa_system_sgpr_workgroup_id_x 1
		.amdhsa_system_sgpr_workgroup_id_y 0
		.amdhsa_system_sgpr_workgroup_id_z 0
		.amdhsa_system_sgpr_workgroup_info 0
		.amdhsa_system_vgpr_workitem_id 0
		.amdhsa_next_free_vgpr 1
		.amdhsa_next_free_sgpr 0
		.amdhsa_accum_offset 4
		.amdhsa_reserve_vcc 0
		.amdhsa_reserve_flat_scratch 0
		.amdhsa_float_round_mode_32 0
		.amdhsa_float_round_mode_16_64 0
		.amdhsa_float_denorm_mode_32 3
		.amdhsa_float_denorm_mode_16_64 3
		.amdhsa_dx10_clamp 1
		.amdhsa_ieee_mode 1
		.amdhsa_fp16_overflow 0
		.amdhsa_tg_split 0
		.amdhsa_exception_fp_ieee_invalid_op 0
		.amdhsa_exception_fp_denorm_src 0
		.amdhsa_exception_fp_ieee_div_zero 0
		.amdhsa_exception_fp_ieee_overflow 0
		.amdhsa_exception_fp_ieee_underflow 0
		.amdhsa_exception_fp_ieee_inexact 0
		.amdhsa_exception_int_div_zero 0
	.end_amdhsa_kernel
	.section	.text._ZN7rocprim17ROCPRIM_400000_NS6detail17trampoline_kernelINS0_14default_configENS1_29binary_search_config_selectorIfbEEZNS1_14transform_implILb0ES3_S5_N6thrust23THRUST_200600_302600_NS17counting_iteratorIfNS8_11use_defaultESA_SA_EEPbZNS1_13binary_searchIS3_S5_PfSB_SC_NS1_16binary_search_opENS8_6detail16wrapped_functionINS0_4lessIvEEbEEEE10hipError_tPvRmT1_T2_T3_mmT4_T5_P12ihipStream_tbEUlRKfE_EESL_SP_SQ_mSR_SU_bEUlT_E_NS1_11comp_targetILNS1_3genE2ELNS1_11target_archE906ELNS1_3gpuE6ELNS1_3repE0EEENS1_30default_config_static_selectorELNS0_4arch9wavefront6targetE1EEEvSO_,"axG",@progbits,_ZN7rocprim17ROCPRIM_400000_NS6detail17trampoline_kernelINS0_14default_configENS1_29binary_search_config_selectorIfbEEZNS1_14transform_implILb0ES3_S5_N6thrust23THRUST_200600_302600_NS17counting_iteratorIfNS8_11use_defaultESA_SA_EEPbZNS1_13binary_searchIS3_S5_PfSB_SC_NS1_16binary_search_opENS8_6detail16wrapped_functionINS0_4lessIvEEbEEEE10hipError_tPvRmT1_T2_T3_mmT4_T5_P12ihipStream_tbEUlRKfE_EESL_SP_SQ_mSR_SU_bEUlT_E_NS1_11comp_targetILNS1_3genE2ELNS1_11target_archE906ELNS1_3gpuE6ELNS1_3repE0EEENS1_30default_config_static_selectorELNS0_4arch9wavefront6targetE1EEEvSO_,comdat
.Lfunc_end184:
	.size	_ZN7rocprim17ROCPRIM_400000_NS6detail17trampoline_kernelINS0_14default_configENS1_29binary_search_config_selectorIfbEEZNS1_14transform_implILb0ES3_S5_N6thrust23THRUST_200600_302600_NS17counting_iteratorIfNS8_11use_defaultESA_SA_EEPbZNS1_13binary_searchIS3_S5_PfSB_SC_NS1_16binary_search_opENS8_6detail16wrapped_functionINS0_4lessIvEEbEEEE10hipError_tPvRmT1_T2_T3_mmT4_T5_P12ihipStream_tbEUlRKfE_EESL_SP_SQ_mSR_SU_bEUlT_E_NS1_11comp_targetILNS1_3genE2ELNS1_11target_archE906ELNS1_3gpuE6ELNS1_3repE0EEENS1_30default_config_static_selectorELNS0_4arch9wavefront6targetE1EEEvSO_, .Lfunc_end184-_ZN7rocprim17ROCPRIM_400000_NS6detail17trampoline_kernelINS0_14default_configENS1_29binary_search_config_selectorIfbEEZNS1_14transform_implILb0ES3_S5_N6thrust23THRUST_200600_302600_NS17counting_iteratorIfNS8_11use_defaultESA_SA_EEPbZNS1_13binary_searchIS3_S5_PfSB_SC_NS1_16binary_search_opENS8_6detail16wrapped_functionINS0_4lessIvEEbEEEE10hipError_tPvRmT1_T2_T3_mmT4_T5_P12ihipStream_tbEUlRKfE_EESL_SP_SQ_mSR_SU_bEUlT_E_NS1_11comp_targetILNS1_3genE2ELNS1_11target_archE906ELNS1_3gpuE6ELNS1_3repE0EEENS1_30default_config_static_selectorELNS0_4arch9wavefront6targetE1EEEvSO_
                                        ; -- End function
	.section	.AMDGPU.csdata,"",@progbits
; Kernel info:
; codeLenInByte = 0
; NumSgprs: 4
; NumVgprs: 0
; NumAgprs: 0
; TotalNumVgprs: 0
; ScratchSize: 0
; MemoryBound: 0
; FloatMode: 240
; IeeeMode: 1
; LDSByteSize: 0 bytes/workgroup (compile time only)
; SGPRBlocks: 0
; VGPRBlocks: 0
; NumSGPRsForWavesPerEU: 4
; NumVGPRsForWavesPerEU: 1
; AccumOffset: 4
; Occupancy: 8
; WaveLimiterHint : 0
; COMPUTE_PGM_RSRC2:SCRATCH_EN: 0
; COMPUTE_PGM_RSRC2:USER_SGPR: 6
; COMPUTE_PGM_RSRC2:TRAP_HANDLER: 0
; COMPUTE_PGM_RSRC2:TGID_X_EN: 1
; COMPUTE_PGM_RSRC2:TGID_Y_EN: 0
; COMPUTE_PGM_RSRC2:TGID_Z_EN: 0
; COMPUTE_PGM_RSRC2:TIDIG_COMP_CNT: 0
; COMPUTE_PGM_RSRC3_GFX90A:ACCUM_OFFSET: 0
; COMPUTE_PGM_RSRC3_GFX90A:TG_SPLIT: 0
	.section	.text._ZN7rocprim17ROCPRIM_400000_NS6detail17trampoline_kernelINS0_14default_configENS1_29binary_search_config_selectorIfbEEZNS1_14transform_implILb0ES3_S5_N6thrust23THRUST_200600_302600_NS17counting_iteratorIfNS8_11use_defaultESA_SA_EEPbZNS1_13binary_searchIS3_S5_PfSB_SC_NS1_16binary_search_opENS8_6detail16wrapped_functionINS0_4lessIvEEbEEEE10hipError_tPvRmT1_T2_T3_mmT4_T5_P12ihipStream_tbEUlRKfE_EESL_SP_SQ_mSR_SU_bEUlT_E_NS1_11comp_targetILNS1_3genE10ELNS1_11target_archE1201ELNS1_3gpuE5ELNS1_3repE0EEENS1_30default_config_static_selectorELNS0_4arch9wavefront6targetE1EEEvSO_,"axG",@progbits,_ZN7rocprim17ROCPRIM_400000_NS6detail17trampoline_kernelINS0_14default_configENS1_29binary_search_config_selectorIfbEEZNS1_14transform_implILb0ES3_S5_N6thrust23THRUST_200600_302600_NS17counting_iteratorIfNS8_11use_defaultESA_SA_EEPbZNS1_13binary_searchIS3_S5_PfSB_SC_NS1_16binary_search_opENS8_6detail16wrapped_functionINS0_4lessIvEEbEEEE10hipError_tPvRmT1_T2_T3_mmT4_T5_P12ihipStream_tbEUlRKfE_EESL_SP_SQ_mSR_SU_bEUlT_E_NS1_11comp_targetILNS1_3genE10ELNS1_11target_archE1201ELNS1_3gpuE5ELNS1_3repE0EEENS1_30default_config_static_selectorELNS0_4arch9wavefront6targetE1EEEvSO_,comdat
	.protected	_ZN7rocprim17ROCPRIM_400000_NS6detail17trampoline_kernelINS0_14default_configENS1_29binary_search_config_selectorIfbEEZNS1_14transform_implILb0ES3_S5_N6thrust23THRUST_200600_302600_NS17counting_iteratorIfNS8_11use_defaultESA_SA_EEPbZNS1_13binary_searchIS3_S5_PfSB_SC_NS1_16binary_search_opENS8_6detail16wrapped_functionINS0_4lessIvEEbEEEE10hipError_tPvRmT1_T2_T3_mmT4_T5_P12ihipStream_tbEUlRKfE_EESL_SP_SQ_mSR_SU_bEUlT_E_NS1_11comp_targetILNS1_3genE10ELNS1_11target_archE1201ELNS1_3gpuE5ELNS1_3repE0EEENS1_30default_config_static_selectorELNS0_4arch9wavefront6targetE1EEEvSO_ ; -- Begin function _ZN7rocprim17ROCPRIM_400000_NS6detail17trampoline_kernelINS0_14default_configENS1_29binary_search_config_selectorIfbEEZNS1_14transform_implILb0ES3_S5_N6thrust23THRUST_200600_302600_NS17counting_iteratorIfNS8_11use_defaultESA_SA_EEPbZNS1_13binary_searchIS3_S5_PfSB_SC_NS1_16binary_search_opENS8_6detail16wrapped_functionINS0_4lessIvEEbEEEE10hipError_tPvRmT1_T2_T3_mmT4_T5_P12ihipStream_tbEUlRKfE_EESL_SP_SQ_mSR_SU_bEUlT_E_NS1_11comp_targetILNS1_3genE10ELNS1_11target_archE1201ELNS1_3gpuE5ELNS1_3repE0EEENS1_30default_config_static_selectorELNS0_4arch9wavefront6targetE1EEEvSO_
	.globl	_ZN7rocprim17ROCPRIM_400000_NS6detail17trampoline_kernelINS0_14default_configENS1_29binary_search_config_selectorIfbEEZNS1_14transform_implILb0ES3_S5_N6thrust23THRUST_200600_302600_NS17counting_iteratorIfNS8_11use_defaultESA_SA_EEPbZNS1_13binary_searchIS3_S5_PfSB_SC_NS1_16binary_search_opENS8_6detail16wrapped_functionINS0_4lessIvEEbEEEE10hipError_tPvRmT1_T2_T3_mmT4_T5_P12ihipStream_tbEUlRKfE_EESL_SP_SQ_mSR_SU_bEUlT_E_NS1_11comp_targetILNS1_3genE10ELNS1_11target_archE1201ELNS1_3gpuE5ELNS1_3repE0EEENS1_30default_config_static_selectorELNS0_4arch9wavefront6targetE1EEEvSO_
	.p2align	8
	.type	_ZN7rocprim17ROCPRIM_400000_NS6detail17trampoline_kernelINS0_14default_configENS1_29binary_search_config_selectorIfbEEZNS1_14transform_implILb0ES3_S5_N6thrust23THRUST_200600_302600_NS17counting_iteratorIfNS8_11use_defaultESA_SA_EEPbZNS1_13binary_searchIS3_S5_PfSB_SC_NS1_16binary_search_opENS8_6detail16wrapped_functionINS0_4lessIvEEbEEEE10hipError_tPvRmT1_T2_T3_mmT4_T5_P12ihipStream_tbEUlRKfE_EESL_SP_SQ_mSR_SU_bEUlT_E_NS1_11comp_targetILNS1_3genE10ELNS1_11target_archE1201ELNS1_3gpuE5ELNS1_3repE0EEENS1_30default_config_static_selectorELNS0_4arch9wavefront6targetE1EEEvSO_,@function
_ZN7rocprim17ROCPRIM_400000_NS6detail17trampoline_kernelINS0_14default_configENS1_29binary_search_config_selectorIfbEEZNS1_14transform_implILb0ES3_S5_N6thrust23THRUST_200600_302600_NS17counting_iteratorIfNS8_11use_defaultESA_SA_EEPbZNS1_13binary_searchIS3_S5_PfSB_SC_NS1_16binary_search_opENS8_6detail16wrapped_functionINS0_4lessIvEEbEEEE10hipError_tPvRmT1_T2_T3_mmT4_T5_P12ihipStream_tbEUlRKfE_EESL_SP_SQ_mSR_SU_bEUlT_E_NS1_11comp_targetILNS1_3genE10ELNS1_11target_archE1201ELNS1_3gpuE5ELNS1_3repE0EEENS1_30default_config_static_selectorELNS0_4arch9wavefront6targetE1EEEvSO_: ; @_ZN7rocprim17ROCPRIM_400000_NS6detail17trampoline_kernelINS0_14default_configENS1_29binary_search_config_selectorIfbEEZNS1_14transform_implILb0ES3_S5_N6thrust23THRUST_200600_302600_NS17counting_iteratorIfNS8_11use_defaultESA_SA_EEPbZNS1_13binary_searchIS3_S5_PfSB_SC_NS1_16binary_search_opENS8_6detail16wrapped_functionINS0_4lessIvEEbEEEE10hipError_tPvRmT1_T2_T3_mmT4_T5_P12ihipStream_tbEUlRKfE_EESL_SP_SQ_mSR_SU_bEUlT_E_NS1_11comp_targetILNS1_3genE10ELNS1_11target_archE1201ELNS1_3gpuE5ELNS1_3repE0EEENS1_30default_config_static_selectorELNS0_4arch9wavefront6targetE1EEEvSO_
; %bb.0:
	.section	.rodata,"a",@progbits
	.p2align	6, 0x0
	.amdhsa_kernel _ZN7rocprim17ROCPRIM_400000_NS6detail17trampoline_kernelINS0_14default_configENS1_29binary_search_config_selectorIfbEEZNS1_14transform_implILb0ES3_S5_N6thrust23THRUST_200600_302600_NS17counting_iteratorIfNS8_11use_defaultESA_SA_EEPbZNS1_13binary_searchIS3_S5_PfSB_SC_NS1_16binary_search_opENS8_6detail16wrapped_functionINS0_4lessIvEEbEEEE10hipError_tPvRmT1_T2_T3_mmT4_T5_P12ihipStream_tbEUlRKfE_EESL_SP_SQ_mSR_SU_bEUlT_E_NS1_11comp_targetILNS1_3genE10ELNS1_11target_archE1201ELNS1_3gpuE5ELNS1_3repE0EEENS1_30default_config_static_selectorELNS0_4arch9wavefront6targetE1EEEvSO_
		.amdhsa_group_segment_fixed_size 0
		.amdhsa_private_segment_fixed_size 0
		.amdhsa_kernarg_size 56
		.amdhsa_user_sgpr_count 6
		.amdhsa_user_sgpr_private_segment_buffer 1
		.amdhsa_user_sgpr_dispatch_ptr 0
		.amdhsa_user_sgpr_queue_ptr 0
		.amdhsa_user_sgpr_kernarg_segment_ptr 1
		.amdhsa_user_sgpr_dispatch_id 0
		.amdhsa_user_sgpr_flat_scratch_init 0
		.amdhsa_user_sgpr_kernarg_preload_length 0
		.amdhsa_user_sgpr_kernarg_preload_offset 0
		.amdhsa_user_sgpr_private_segment_size 0
		.amdhsa_uses_dynamic_stack 0
		.amdhsa_system_sgpr_private_segment_wavefront_offset 0
		.amdhsa_system_sgpr_workgroup_id_x 1
		.amdhsa_system_sgpr_workgroup_id_y 0
		.amdhsa_system_sgpr_workgroup_id_z 0
		.amdhsa_system_sgpr_workgroup_info 0
		.amdhsa_system_vgpr_workitem_id 0
		.amdhsa_next_free_vgpr 1
		.amdhsa_next_free_sgpr 0
		.amdhsa_accum_offset 4
		.amdhsa_reserve_vcc 0
		.amdhsa_reserve_flat_scratch 0
		.amdhsa_float_round_mode_32 0
		.amdhsa_float_round_mode_16_64 0
		.amdhsa_float_denorm_mode_32 3
		.amdhsa_float_denorm_mode_16_64 3
		.amdhsa_dx10_clamp 1
		.amdhsa_ieee_mode 1
		.amdhsa_fp16_overflow 0
		.amdhsa_tg_split 0
		.amdhsa_exception_fp_ieee_invalid_op 0
		.amdhsa_exception_fp_denorm_src 0
		.amdhsa_exception_fp_ieee_div_zero 0
		.amdhsa_exception_fp_ieee_overflow 0
		.amdhsa_exception_fp_ieee_underflow 0
		.amdhsa_exception_fp_ieee_inexact 0
		.amdhsa_exception_int_div_zero 0
	.end_amdhsa_kernel
	.section	.text._ZN7rocprim17ROCPRIM_400000_NS6detail17trampoline_kernelINS0_14default_configENS1_29binary_search_config_selectorIfbEEZNS1_14transform_implILb0ES3_S5_N6thrust23THRUST_200600_302600_NS17counting_iteratorIfNS8_11use_defaultESA_SA_EEPbZNS1_13binary_searchIS3_S5_PfSB_SC_NS1_16binary_search_opENS8_6detail16wrapped_functionINS0_4lessIvEEbEEEE10hipError_tPvRmT1_T2_T3_mmT4_T5_P12ihipStream_tbEUlRKfE_EESL_SP_SQ_mSR_SU_bEUlT_E_NS1_11comp_targetILNS1_3genE10ELNS1_11target_archE1201ELNS1_3gpuE5ELNS1_3repE0EEENS1_30default_config_static_selectorELNS0_4arch9wavefront6targetE1EEEvSO_,"axG",@progbits,_ZN7rocprim17ROCPRIM_400000_NS6detail17trampoline_kernelINS0_14default_configENS1_29binary_search_config_selectorIfbEEZNS1_14transform_implILb0ES3_S5_N6thrust23THRUST_200600_302600_NS17counting_iteratorIfNS8_11use_defaultESA_SA_EEPbZNS1_13binary_searchIS3_S5_PfSB_SC_NS1_16binary_search_opENS8_6detail16wrapped_functionINS0_4lessIvEEbEEEE10hipError_tPvRmT1_T2_T3_mmT4_T5_P12ihipStream_tbEUlRKfE_EESL_SP_SQ_mSR_SU_bEUlT_E_NS1_11comp_targetILNS1_3genE10ELNS1_11target_archE1201ELNS1_3gpuE5ELNS1_3repE0EEENS1_30default_config_static_selectorELNS0_4arch9wavefront6targetE1EEEvSO_,comdat
.Lfunc_end185:
	.size	_ZN7rocprim17ROCPRIM_400000_NS6detail17trampoline_kernelINS0_14default_configENS1_29binary_search_config_selectorIfbEEZNS1_14transform_implILb0ES3_S5_N6thrust23THRUST_200600_302600_NS17counting_iteratorIfNS8_11use_defaultESA_SA_EEPbZNS1_13binary_searchIS3_S5_PfSB_SC_NS1_16binary_search_opENS8_6detail16wrapped_functionINS0_4lessIvEEbEEEE10hipError_tPvRmT1_T2_T3_mmT4_T5_P12ihipStream_tbEUlRKfE_EESL_SP_SQ_mSR_SU_bEUlT_E_NS1_11comp_targetILNS1_3genE10ELNS1_11target_archE1201ELNS1_3gpuE5ELNS1_3repE0EEENS1_30default_config_static_selectorELNS0_4arch9wavefront6targetE1EEEvSO_, .Lfunc_end185-_ZN7rocprim17ROCPRIM_400000_NS6detail17trampoline_kernelINS0_14default_configENS1_29binary_search_config_selectorIfbEEZNS1_14transform_implILb0ES3_S5_N6thrust23THRUST_200600_302600_NS17counting_iteratorIfNS8_11use_defaultESA_SA_EEPbZNS1_13binary_searchIS3_S5_PfSB_SC_NS1_16binary_search_opENS8_6detail16wrapped_functionINS0_4lessIvEEbEEEE10hipError_tPvRmT1_T2_T3_mmT4_T5_P12ihipStream_tbEUlRKfE_EESL_SP_SQ_mSR_SU_bEUlT_E_NS1_11comp_targetILNS1_3genE10ELNS1_11target_archE1201ELNS1_3gpuE5ELNS1_3repE0EEENS1_30default_config_static_selectorELNS0_4arch9wavefront6targetE1EEEvSO_
                                        ; -- End function
	.section	.AMDGPU.csdata,"",@progbits
; Kernel info:
; codeLenInByte = 0
; NumSgprs: 4
; NumVgprs: 0
; NumAgprs: 0
; TotalNumVgprs: 0
; ScratchSize: 0
; MemoryBound: 0
; FloatMode: 240
; IeeeMode: 1
; LDSByteSize: 0 bytes/workgroup (compile time only)
; SGPRBlocks: 0
; VGPRBlocks: 0
; NumSGPRsForWavesPerEU: 4
; NumVGPRsForWavesPerEU: 1
; AccumOffset: 4
; Occupancy: 8
; WaveLimiterHint : 0
; COMPUTE_PGM_RSRC2:SCRATCH_EN: 0
; COMPUTE_PGM_RSRC2:USER_SGPR: 6
; COMPUTE_PGM_RSRC2:TRAP_HANDLER: 0
; COMPUTE_PGM_RSRC2:TGID_X_EN: 1
; COMPUTE_PGM_RSRC2:TGID_Y_EN: 0
; COMPUTE_PGM_RSRC2:TGID_Z_EN: 0
; COMPUTE_PGM_RSRC2:TIDIG_COMP_CNT: 0
; COMPUTE_PGM_RSRC3_GFX90A:ACCUM_OFFSET: 0
; COMPUTE_PGM_RSRC3_GFX90A:TG_SPLIT: 0
	.section	.text._ZN7rocprim17ROCPRIM_400000_NS6detail17trampoline_kernelINS0_14default_configENS1_29binary_search_config_selectorIfbEEZNS1_14transform_implILb0ES3_S5_N6thrust23THRUST_200600_302600_NS17counting_iteratorIfNS8_11use_defaultESA_SA_EEPbZNS1_13binary_searchIS3_S5_PfSB_SC_NS1_16binary_search_opENS8_6detail16wrapped_functionINS0_4lessIvEEbEEEE10hipError_tPvRmT1_T2_T3_mmT4_T5_P12ihipStream_tbEUlRKfE_EESL_SP_SQ_mSR_SU_bEUlT_E_NS1_11comp_targetILNS1_3genE10ELNS1_11target_archE1200ELNS1_3gpuE4ELNS1_3repE0EEENS1_30default_config_static_selectorELNS0_4arch9wavefront6targetE1EEEvSO_,"axG",@progbits,_ZN7rocprim17ROCPRIM_400000_NS6detail17trampoline_kernelINS0_14default_configENS1_29binary_search_config_selectorIfbEEZNS1_14transform_implILb0ES3_S5_N6thrust23THRUST_200600_302600_NS17counting_iteratorIfNS8_11use_defaultESA_SA_EEPbZNS1_13binary_searchIS3_S5_PfSB_SC_NS1_16binary_search_opENS8_6detail16wrapped_functionINS0_4lessIvEEbEEEE10hipError_tPvRmT1_T2_T3_mmT4_T5_P12ihipStream_tbEUlRKfE_EESL_SP_SQ_mSR_SU_bEUlT_E_NS1_11comp_targetILNS1_3genE10ELNS1_11target_archE1200ELNS1_3gpuE4ELNS1_3repE0EEENS1_30default_config_static_selectorELNS0_4arch9wavefront6targetE1EEEvSO_,comdat
	.protected	_ZN7rocprim17ROCPRIM_400000_NS6detail17trampoline_kernelINS0_14default_configENS1_29binary_search_config_selectorIfbEEZNS1_14transform_implILb0ES3_S5_N6thrust23THRUST_200600_302600_NS17counting_iteratorIfNS8_11use_defaultESA_SA_EEPbZNS1_13binary_searchIS3_S5_PfSB_SC_NS1_16binary_search_opENS8_6detail16wrapped_functionINS0_4lessIvEEbEEEE10hipError_tPvRmT1_T2_T3_mmT4_T5_P12ihipStream_tbEUlRKfE_EESL_SP_SQ_mSR_SU_bEUlT_E_NS1_11comp_targetILNS1_3genE10ELNS1_11target_archE1200ELNS1_3gpuE4ELNS1_3repE0EEENS1_30default_config_static_selectorELNS0_4arch9wavefront6targetE1EEEvSO_ ; -- Begin function _ZN7rocprim17ROCPRIM_400000_NS6detail17trampoline_kernelINS0_14default_configENS1_29binary_search_config_selectorIfbEEZNS1_14transform_implILb0ES3_S5_N6thrust23THRUST_200600_302600_NS17counting_iteratorIfNS8_11use_defaultESA_SA_EEPbZNS1_13binary_searchIS3_S5_PfSB_SC_NS1_16binary_search_opENS8_6detail16wrapped_functionINS0_4lessIvEEbEEEE10hipError_tPvRmT1_T2_T3_mmT4_T5_P12ihipStream_tbEUlRKfE_EESL_SP_SQ_mSR_SU_bEUlT_E_NS1_11comp_targetILNS1_3genE10ELNS1_11target_archE1200ELNS1_3gpuE4ELNS1_3repE0EEENS1_30default_config_static_selectorELNS0_4arch9wavefront6targetE1EEEvSO_
	.globl	_ZN7rocprim17ROCPRIM_400000_NS6detail17trampoline_kernelINS0_14default_configENS1_29binary_search_config_selectorIfbEEZNS1_14transform_implILb0ES3_S5_N6thrust23THRUST_200600_302600_NS17counting_iteratorIfNS8_11use_defaultESA_SA_EEPbZNS1_13binary_searchIS3_S5_PfSB_SC_NS1_16binary_search_opENS8_6detail16wrapped_functionINS0_4lessIvEEbEEEE10hipError_tPvRmT1_T2_T3_mmT4_T5_P12ihipStream_tbEUlRKfE_EESL_SP_SQ_mSR_SU_bEUlT_E_NS1_11comp_targetILNS1_3genE10ELNS1_11target_archE1200ELNS1_3gpuE4ELNS1_3repE0EEENS1_30default_config_static_selectorELNS0_4arch9wavefront6targetE1EEEvSO_
	.p2align	8
	.type	_ZN7rocprim17ROCPRIM_400000_NS6detail17trampoline_kernelINS0_14default_configENS1_29binary_search_config_selectorIfbEEZNS1_14transform_implILb0ES3_S5_N6thrust23THRUST_200600_302600_NS17counting_iteratorIfNS8_11use_defaultESA_SA_EEPbZNS1_13binary_searchIS3_S5_PfSB_SC_NS1_16binary_search_opENS8_6detail16wrapped_functionINS0_4lessIvEEbEEEE10hipError_tPvRmT1_T2_T3_mmT4_T5_P12ihipStream_tbEUlRKfE_EESL_SP_SQ_mSR_SU_bEUlT_E_NS1_11comp_targetILNS1_3genE10ELNS1_11target_archE1200ELNS1_3gpuE4ELNS1_3repE0EEENS1_30default_config_static_selectorELNS0_4arch9wavefront6targetE1EEEvSO_,@function
_ZN7rocprim17ROCPRIM_400000_NS6detail17trampoline_kernelINS0_14default_configENS1_29binary_search_config_selectorIfbEEZNS1_14transform_implILb0ES3_S5_N6thrust23THRUST_200600_302600_NS17counting_iteratorIfNS8_11use_defaultESA_SA_EEPbZNS1_13binary_searchIS3_S5_PfSB_SC_NS1_16binary_search_opENS8_6detail16wrapped_functionINS0_4lessIvEEbEEEE10hipError_tPvRmT1_T2_T3_mmT4_T5_P12ihipStream_tbEUlRKfE_EESL_SP_SQ_mSR_SU_bEUlT_E_NS1_11comp_targetILNS1_3genE10ELNS1_11target_archE1200ELNS1_3gpuE4ELNS1_3repE0EEENS1_30default_config_static_selectorELNS0_4arch9wavefront6targetE1EEEvSO_: ; @_ZN7rocprim17ROCPRIM_400000_NS6detail17trampoline_kernelINS0_14default_configENS1_29binary_search_config_selectorIfbEEZNS1_14transform_implILb0ES3_S5_N6thrust23THRUST_200600_302600_NS17counting_iteratorIfNS8_11use_defaultESA_SA_EEPbZNS1_13binary_searchIS3_S5_PfSB_SC_NS1_16binary_search_opENS8_6detail16wrapped_functionINS0_4lessIvEEbEEEE10hipError_tPvRmT1_T2_T3_mmT4_T5_P12ihipStream_tbEUlRKfE_EESL_SP_SQ_mSR_SU_bEUlT_E_NS1_11comp_targetILNS1_3genE10ELNS1_11target_archE1200ELNS1_3gpuE4ELNS1_3repE0EEENS1_30default_config_static_selectorELNS0_4arch9wavefront6targetE1EEEvSO_
; %bb.0:
	.section	.rodata,"a",@progbits
	.p2align	6, 0x0
	.amdhsa_kernel _ZN7rocprim17ROCPRIM_400000_NS6detail17trampoline_kernelINS0_14default_configENS1_29binary_search_config_selectorIfbEEZNS1_14transform_implILb0ES3_S5_N6thrust23THRUST_200600_302600_NS17counting_iteratorIfNS8_11use_defaultESA_SA_EEPbZNS1_13binary_searchIS3_S5_PfSB_SC_NS1_16binary_search_opENS8_6detail16wrapped_functionINS0_4lessIvEEbEEEE10hipError_tPvRmT1_T2_T3_mmT4_T5_P12ihipStream_tbEUlRKfE_EESL_SP_SQ_mSR_SU_bEUlT_E_NS1_11comp_targetILNS1_3genE10ELNS1_11target_archE1200ELNS1_3gpuE4ELNS1_3repE0EEENS1_30default_config_static_selectorELNS0_4arch9wavefront6targetE1EEEvSO_
		.amdhsa_group_segment_fixed_size 0
		.amdhsa_private_segment_fixed_size 0
		.amdhsa_kernarg_size 56
		.amdhsa_user_sgpr_count 6
		.amdhsa_user_sgpr_private_segment_buffer 1
		.amdhsa_user_sgpr_dispatch_ptr 0
		.amdhsa_user_sgpr_queue_ptr 0
		.amdhsa_user_sgpr_kernarg_segment_ptr 1
		.amdhsa_user_sgpr_dispatch_id 0
		.amdhsa_user_sgpr_flat_scratch_init 0
		.amdhsa_user_sgpr_kernarg_preload_length 0
		.amdhsa_user_sgpr_kernarg_preload_offset 0
		.amdhsa_user_sgpr_private_segment_size 0
		.amdhsa_uses_dynamic_stack 0
		.amdhsa_system_sgpr_private_segment_wavefront_offset 0
		.amdhsa_system_sgpr_workgroup_id_x 1
		.amdhsa_system_sgpr_workgroup_id_y 0
		.amdhsa_system_sgpr_workgroup_id_z 0
		.amdhsa_system_sgpr_workgroup_info 0
		.amdhsa_system_vgpr_workitem_id 0
		.amdhsa_next_free_vgpr 1
		.amdhsa_next_free_sgpr 0
		.amdhsa_accum_offset 4
		.amdhsa_reserve_vcc 0
		.amdhsa_reserve_flat_scratch 0
		.amdhsa_float_round_mode_32 0
		.amdhsa_float_round_mode_16_64 0
		.amdhsa_float_denorm_mode_32 3
		.amdhsa_float_denorm_mode_16_64 3
		.amdhsa_dx10_clamp 1
		.amdhsa_ieee_mode 1
		.amdhsa_fp16_overflow 0
		.amdhsa_tg_split 0
		.amdhsa_exception_fp_ieee_invalid_op 0
		.amdhsa_exception_fp_denorm_src 0
		.amdhsa_exception_fp_ieee_div_zero 0
		.amdhsa_exception_fp_ieee_overflow 0
		.amdhsa_exception_fp_ieee_underflow 0
		.amdhsa_exception_fp_ieee_inexact 0
		.amdhsa_exception_int_div_zero 0
	.end_amdhsa_kernel
	.section	.text._ZN7rocprim17ROCPRIM_400000_NS6detail17trampoline_kernelINS0_14default_configENS1_29binary_search_config_selectorIfbEEZNS1_14transform_implILb0ES3_S5_N6thrust23THRUST_200600_302600_NS17counting_iteratorIfNS8_11use_defaultESA_SA_EEPbZNS1_13binary_searchIS3_S5_PfSB_SC_NS1_16binary_search_opENS8_6detail16wrapped_functionINS0_4lessIvEEbEEEE10hipError_tPvRmT1_T2_T3_mmT4_T5_P12ihipStream_tbEUlRKfE_EESL_SP_SQ_mSR_SU_bEUlT_E_NS1_11comp_targetILNS1_3genE10ELNS1_11target_archE1200ELNS1_3gpuE4ELNS1_3repE0EEENS1_30default_config_static_selectorELNS0_4arch9wavefront6targetE1EEEvSO_,"axG",@progbits,_ZN7rocprim17ROCPRIM_400000_NS6detail17trampoline_kernelINS0_14default_configENS1_29binary_search_config_selectorIfbEEZNS1_14transform_implILb0ES3_S5_N6thrust23THRUST_200600_302600_NS17counting_iteratorIfNS8_11use_defaultESA_SA_EEPbZNS1_13binary_searchIS3_S5_PfSB_SC_NS1_16binary_search_opENS8_6detail16wrapped_functionINS0_4lessIvEEbEEEE10hipError_tPvRmT1_T2_T3_mmT4_T5_P12ihipStream_tbEUlRKfE_EESL_SP_SQ_mSR_SU_bEUlT_E_NS1_11comp_targetILNS1_3genE10ELNS1_11target_archE1200ELNS1_3gpuE4ELNS1_3repE0EEENS1_30default_config_static_selectorELNS0_4arch9wavefront6targetE1EEEvSO_,comdat
.Lfunc_end186:
	.size	_ZN7rocprim17ROCPRIM_400000_NS6detail17trampoline_kernelINS0_14default_configENS1_29binary_search_config_selectorIfbEEZNS1_14transform_implILb0ES3_S5_N6thrust23THRUST_200600_302600_NS17counting_iteratorIfNS8_11use_defaultESA_SA_EEPbZNS1_13binary_searchIS3_S5_PfSB_SC_NS1_16binary_search_opENS8_6detail16wrapped_functionINS0_4lessIvEEbEEEE10hipError_tPvRmT1_T2_T3_mmT4_T5_P12ihipStream_tbEUlRKfE_EESL_SP_SQ_mSR_SU_bEUlT_E_NS1_11comp_targetILNS1_3genE10ELNS1_11target_archE1200ELNS1_3gpuE4ELNS1_3repE0EEENS1_30default_config_static_selectorELNS0_4arch9wavefront6targetE1EEEvSO_, .Lfunc_end186-_ZN7rocprim17ROCPRIM_400000_NS6detail17trampoline_kernelINS0_14default_configENS1_29binary_search_config_selectorIfbEEZNS1_14transform_implILb0ES3_S5_N6thrust23THRUST_200600_302600_NS17counting_iteratorIfNS8_11use_defaultESA_SA_EEPbZNS1_13binary_searchIS3_S5_PfSB_SC_NS1_16binary_search_opENS8_6detail16wrapped_functionINS0_4lessIvEEbEEEE10hipError_tPvRmT1_T2_T3_mmT4_T5_P12ihipStream_tbEUlRKfE_EESL_SP_SQ_mSR_SU_bEUlT_E_NS1_11comp_targetILNS1_3genE10ELNS1_11target_archE1200ELNS1_3gpuE4ELNS1_3repE0EEENS1_30default_config_static_selectorELNS0_4arch9wavefront6targetE1EEEvSO_
                                        ; -- End function
	.section	.AMDGPU.csdata,"",@progbits
; Kernel info:
; codeLenInByte = 0
; NumSgprs: 4
; NumVgprs: 0
; NumAgprs: 0
; TotalNumVgprs: 0
; ScratchSize: 0
; MemoryBound: 0
; FloatMode: 240
; IeeeMode: 1
; LDSByteSize: 0 bytes/workgroup (compile time only)
; SGPRBlocks: 0
; VGPRBlocks: 0
; NumSGPRsForWavesPerEU: 4
; NumVGPRsForWavesPerEU: 1
; AccumOffset: 4
; Occupancy: 8
; WaveLimiterHint : 0
; COMPUTE_PGM_RSRC2:SCRATCH_EN: 0
; COMPUTE_PGM_RSRC2:USER_SGPR: 6
; COMPUTE_PGM_RSRC2:TRAP_HANDLER: 0
; COMPUTE_PGM_RSRC2:TGID_X_EN: 1
; COMPUTE_PGM_RSRC2:TGID_Y_EN: 0
; COMPUTE_PGM_RSRC2:TGID_Z_EN: 0
; COMPUTE_PGM_RSRC2:TIDIG_COMP_CNT: 0
; COMPUTE_PGM_RSRC3_GFX90A:ACCUM_OFFSET: 0
; COMPUTE_PGM_RSRC3_GFX90A:TG_SPLIT: 0
	.section	.text._ZN7rocprim17ROCPRIM_400000_NS6detail17trampoline_kernelINS0_14default_configENS1_29binary_search_config_selectorIfbEEZNS1_14transform_implILb0ES3_S5_N6thrust23THRUST_200600_302600_NS17counting_iteratorIfNS8_11use_defaultESA_SA_EEPbZNS1_13binary_searchIS3_S5_PfSB_SC_NS1_16binary_search_opENS8_6detail16wrapped_functionINS0_4lessIvEEbEEEE10hipError_tPvRmT1_T2_T3_mmT4_T5_P12ihipStream_tbEUlRKfE_EESL_SP_SQ_mSR_SU_bEUlT_E_NS1_11comp_targetILNS1_3genE9ELNS1_11target_archE1100ELNS1_3gpuE3ELNS1_3repE0EEENS1_30default_config_static_selectorELNS0_4arch9wavefront6targetE1EEEvSO_,"axG",@progbits,_ZN7rocprim17ROCPRIM_400000_NS6detail17trampoline_kernelINS0_14default_configENS1_29binary_search_config_selectorIfbEEZNS1_14transform_implILb0ES3_S5_N6thrust23THRUST_200600_302600_NS17counting_iteratorIfNS8_11use_defaultESA_SA_EEPbZNS1_13binary_searchIS3_S5_PfSB_SC_NS1_16binary_search_opENS8_6detail16wrapped_functionINS0_4lessIvEEbEEEE10hipError_tPvRmT1_T2_T3_mmT4_T5_P12ihipStream_tbEUlRKfE_EESL_SP_SQ_mSR_SU_bEUlT_E_NS1_11comp_targetILNS1_3genE9ELNS1_11target_archE1100ELNS1_3gpuE3ELNS1_3repE0EEENS1_30default_config_static_selectorELNS0_4arch9wavefront6targetE1EEEvSO_,comdat
	.protected	_ZN7rocprim17ROCPRIM_400000_NS6detail17trampoline_kernelINS0_14default_configENS1_29binary_search_config_selectorIfbEEZNS1_14transform_implILb0ES3_S5_N6thrust23THRUST_200600_302600_NS17counting_iteratorIfNS8_11use_defaultESA_SA_EEPbZNS1_13binary_searchIS3_S5_PfSB_SC_NS1_16binary_search_opENS8_6detail16wrapped_functionINS0_4lessIvEEbEEEE10hipError_tPvRmT1_T2_T3_mmT4_T5_P12ihipStream_tbEUlRKfE_EESL_SP_SQ_mSR_SU_bEUlT_E_NS1_11comp_targetILNS1_3genE9ELNS1_11target_archE1100ELNS1_3gpuE3ELNS1_3repE0EEENS1_30default_config_static_selectorELNS0_4arch9wavefront6targetE1EEEvSO_ ; -- Begin function _ZN7rocprim17ROCPRIM_400000_NS6detail17trampoline_kernelINS0_14default_configENS1_29binary_search_config_selectorIfbEEZNS1_14transform_implILb0ES3_S5_N6thrust23THRUST_200600_302600_NS17counting_iteratorIfNS8_11use_defaultESA_SA_EEPbZNS1_13binary_searchIS3_S5_PfSB_SC_NS1_16binary_search_opENS8_6detail16wrapped_functionINS0_4lessIvEEbEEEE10hipError_tPvRmT1_T2_T3_mmT4_T5_P12ihipStream_tbEUlRKfE_EESL_SP_SQ_mSR_SU_bEUlT_E_NS1_11comp_targetILNS1_3genE9ELNS1_11target_archE1100ELNS1_3gpuE3ELNS1_3repE0EEENS1_30default_config_static_selectorELNS0_4arch9wavefront6targetE1EEEvSO_
	.globl	_ZN7rocprim17ROCPRIM_400000_NS6detail17trampoline_kernelINS0_14default_configENS1_29binary_search_config_selectorIfbEEZNS1_14transform_implILb0ES3_S5_N6thrust23THRUST_200600_302600_NS17counting_iteratorIfNS8_11use_defaultESA_SA_EEPbZNS1_13binary_searchIS3_S5_PfSB_SC_NS1_16binary_search_opENS8_6detail16wrapped_functionINS0_4lessIvEEbEEEE10hipError_tPvRmT1_T2_T3_mmT4_T5_P12ihipStream_tbEUlRKfE_EESL_SP_SQ_mSR_SU_bEUlT_E_NS1_11comp_targetILNS1_3genE9ELNS1_11target_archE1100ELNS1_3gpuE3ELNS1_3repE0EEENS1_30default_config_static_selectorELNS0_4arch9wavefront6targetE1EEEvSO_
	.p2align	8
	.type	_ZN7rocprim17ROCPRIM_400000_NS6detail17trampoline_kernelINS0_14default_configENS1_29binary_search_config_selectorIfbEEZNS1_14transform_implILb0ES3_S5_N6thrust23THRUST_200600_302600_NS17counting_iteratorIfNS8_11use_defaultESA_SA_EEPbZNS1_13binary_searchIS3_S5_PfSB_SC_NS1_16binary_search_opENS8_6detail16wrapped_functionINS0_4lessIvEEbEEEE10hipError_tPvRmT1_T2_T3_mmT4_T5_P12ihipStream_tbEUlRKfE_EESL_SP_SQ_mSR_SU_bEUlT_E_NS1_11comp_targetILNS1_3genE9ELNS1_11target_archE1100ELNS1_3gpuE3ELNS1_3repE0EEENS1_30default_config_static_selectorELNS0_4arch9wavefront6targetE1EEEvSO_,@function
_ZN7rocprim17ROCPRIM_400000_NS6detail17trampoline_kernelINS0_14default_configENS1_29binary_search_config_selectorIfbEEZNS1_14transform_implILb0ES3_S5_N6thrust23THRUST_200600_302600_NS17counting_iteratorIfNS8_11use_defaultESA_SA_EEPbZNS1_13binary_searchIS3_S5_PfSB_SC_NS1_16binary_search_opENS8_6detail16wrapped_functionINS0_4lessIvEEbEEEE10hipError_tPvRmT1_T2_T3_mmT4_T5_P12ihipStream_tbEUlRKfE_EESL_SP_SQ_mSR_SU_bEUlT_E_NS1_11comp_targetILNS1_3genE9ELNS1_11target_archE1100ELNS1_3gpuE3ELNS1_3repE0EEENS1_30default_config_static_selectorELNS0_4arch9wavefront6targetE1EEEvSO_: ; @_ZN7rocprim17ROCPRIM_400000_NS6detail17trampoline_kernelINS0_14default_configENS1_29binary_search_config_selectorIfbEEZNS1_14transform_implILb0ES3_S5_N6thrust23THRUST_200600_302600_NS17counting_iteratorIfNS8_11use_defaultESA_SA_EEPbZNS1_13binary_searchIS3_S5_PfSB_SC_NS1_16binary_search_opENS8_6detail16wrapped_functionINS0_4lessIvEEbEEEE10hipError_tPvRmT1_T2_T3_mmT4_T5_P12ihipStream_tbEUlRKfE_EESL_SP_SQ_mSR_SU_bEUlT_E_NS1_11comp_targetILNS1_3genE9ELNS1_11target_archE1100ELNS1_3gpuE3ELNS1_3repE0EEENS1_30default_config_static_selectorELNS0_4arch9wavefront6targetE1EEEvSO_
; %bb.0:
	.section	.rodata,"a",@progbits
	.p2align	6, 0x0
	.amdhsa_kernel _ZN7rocprim17ROCPRIM_400000_NS6detail17trampoline_kernelINS0_14default_configENS1_29binary_search_config_selectorIfbEEZNS1_14transform_implILb0ES3_S5_N6thrust23THRUST_200600_302600_NS17counting_iteratorIfNS8_11use_defaultESA_SA_EEPbZNS1_13binary_searchIS3_S5_PfSB_SC_NS1_16binary_search_opENS8_6detail16wrapped_functionINS0_4lessIvEEbEEEE10hipError_tPvRmT1_T2_T3_mmT4_T5_P12ihipStream_tbEUlRKfE_EESL_SP_SQ_mSR_SU_bEUlT_E_NS1_11comp_targetILNS1_3genE9ELNS1_11target_archE1100ELNS1_3gpuE3ELNS1_3repE0EEENS1_30default_config_static_selectorELNS0_4arch9wavefront6targetE1EEEvSO_
		.amdhsa_group_segment_fixed_size 0
		.amdhsa_private_segment_fixed_size 0
		.amdhsa_kernarg_size 56
		.amdhsa_user_sgpr_count 6
		.amdhsa_user_sgpr_private_segment_buffer 1
		.amdhsa_user_sgpr_dispatch_ptr 0
		.amdhsa_user_sgpr_queue_ptr 0
		.amdhsa_user_sgpr_kernarg_segment_ptr 1
		.amdhsa_user_sgpr_dispatch_id 0
		.amdhsa_user_sgpr_flat_scratch_init 0
		.amdhsa_user_sgpr_kernarg_preload_length 0
		.amdhsa_user_sgpr_kernarg_preload_offset 0
		.amdhsa_user_sgpr_private_segment_size 0
		.amdhsa_uses_dynamic_stack 0
		.amdhsa_system_sgpr_private_segment_wavefront_offset 0
		.amdhsa_system_sgpr_workgroup_id_x 1
		.amdhsa_system_sgpr_workgroup_id_y 0
		.amdhsa_system_sgpr_workgroup_id_z 0
		.amdhsa_system_sgpr_workgroup_info 0
		.amdhsa_system_vgpr_workitem_id 0
		.amdhsa_next_free_vgpr 1
		.amdhsa_next_free_sgpr 0
		.amdhsa_accum_offset 4
		.amdhsa_reserve_vcc 0
		.amdhsa_reserve_flat_scratch 0
		.amdhsa_float_round_mode_32 0
		.amdhsa_float_round_mode_16_64 0
		.amdhsa_float_denorm_mode_32 3
		.amdhsa_float_denorm_mode_16_64 3
		.amdhsa_dx10_clamp 1
		.amdhsa_ieee_mode 1
		.amdhsa_fp16_overflow 0
		.amdhsa_tg_split 0
		.amdhsa_exception_fp_ieee_invalid_op 0
		.amdhsa_exception_fp_denorm_src 0
		.amdhsa_exception_fp_ieee_div_zero 0
		.amdhsa_exception_fp_ieee_overflow 0
		.amdhsa_exception_fp_ieee_underflow 0
		.amdhsa_exception_fp_ieee_inexact 0
		.amdhsa_exception_int_div_zero 0
	.end_amdhsa_kernel
	.section	.text._ZN7rocprim17ROCPRIM_400000_NS6detail17trampoline_kernelINS0_14default_configENS1_29binary_search_config_selectorIfbEEZNS1_14transform_implILb0ES3_S5_N6thrust23THRUST_200600_302600_NS17counting_iteratorIfNS8_11use_defaultESA_SA_EEPbZNS1_13binary_searchIS3_S5_PfSB_SC_NS1_16binary_search_opENS8_6detail16wrapped_functionINS0_4lessIvEEbEEEE10hipError_tPvRmT1_T2_T3_mmT4_T5_P12ihipStream_tbEUlRKfE_EESL_SP_SQ_mSR_SU_bEUlT_E_NS1_11comp_targetILNS1_3genE9ELNS1_11target_archE1100ELNS1_3gpuE3ELNS1_3repE0EEENS1_30default_config_static_selectorELNS0_4arch9wavefront6targetE1EEEvSO_,"axG",@progbits,_ZN7rocprim17ROCPRIM_400000_NS6detail17trampoline_kernelINS0_14default_configENS1_29binary_search_config_selectorIfbEEZNS1_14transform_implILb0ES3_S5_N6thrust23THRUST_200600_302600_NS17counting_iteratorIfNS8_11use_defaultESA_SA_EEPbZNS1_13binary_searchIS3_S5_PfSB_SC_NS1_16binary_search_opENS8_6detail16wrapped_functionINS0_4lessIvEEbEEEE10hipError_tPvRmT1_T2_T3_mmT4_T5_P12ihipStream_tbEUlRKfE_EESL_SP_SQ_mSR_SU_bEUlT_E_NS1_11comp_targetILNS1_3genE9ELNS1_11target_archE1100ELNS1_3gpuE3ELNS1_3repE0EEENS1_30default_config_static_selectorELNS0_4arch9wavefront6targetE1EEEvSO_,comdat
.Lfunc_end187:
	.size	_ZN7rocprim17ROCPRIM_400000_NS6detail17trampoline_kernelINS0_14default_configENS1_29binary_search_config_selectorIfbEEZNS1_14transform_implILb0ES3_S5_N6thrust23THRUST_200600_302600_NS17counting_iteratorIfNS8_11use_defaultESA_SA_EEPbZNS1_13binary_searchIS3_S5_PfSB_SC_NS1_16binary_search_opENS8_6detail16wrapped_functionINS0_4lessIvEEbEEEE10hipError_tPvRmT1_T2_T3_mmT4_T5_P12ihipStream_tbEUlRKfE_EESL_SP_SQ_mSR_SU_bEUlT_E_NS1_11comp_targetILNS1_3genE9ELNS1_11target_archE1100ELNS1_3gpuE3ELNS1_3repE0EEENS1_30default_config_static_selectorELNS0_4arch9wavefront6targetE1EEEvSO_, .Lfunc_end187-_ZN7rocprim17ROCPRIM_400000_NS6detail17trampoline_kernelINS0_14default_configENS1_29binary_search_config_selectorIfbEEZNS1_14transform_implILb0ES3_S5_N6thrust23THRUST_200600_302600_NS17counting_iteratorIfNS8_11use_defaultESA_SA_EEPbZNS1_13binary_searchIS3_S5_PfSB_SC_NS1_16binary_search_opENS8_6detail16wrapped_functionINS0_4lessIvEEbEEEE10hipError_tPvRmT1_T2_T3_mmT4_T5_P12ihipStream_tbEUlRKfE_EESL_SP_SQ_mSR_SU_bEUlT_E_NS1_11comp_targetILNS1_3genE9ELNS1_11target_archE1100ELNS1_3gpuE3ELNS1_3repE0EEENS1_30default_config_static_selectorELNS0_4arch9wavefront6targetE1EEEvSO_
                                        ; -- End function
	.section	.AMDGPU.csdata,"",@progbits
; Kernel info:
; codeLenInByte = 0
; NumSgprs: 4
; NumVgprs: 0
; NumAgprs: 0
; TotalNumVgprs: 0
; ScratchSize: 0
; MemoryBound: 0
; FloatMode: 240
; IeeeMode: 1
; LDSByteSize: 0 bytes/workgroup (compile time only)
; SGPRBlocks: 0
; VGPRBlocks: 0
; NumSGPRsForWavesPerEU: 4
; NumVGPRsForWavesPerEU: 1
; AccumOffset: 4
; Occupancy: 8
; WaveLimiterHint : 0
; COMPUTE_PGM_RSRC2:SCRATCH_EN: 0
; COMPUTE_PGM_RSRC2:USER_SGPR: 6
; COMPUTE_PGM_RSRC2:TRAP_HANDLER: 0
; COMPUTE_PGM_RSRC2:TGID_X_EN: 1
; COMPUTE_PGM_RSRC2:TGID_Y_EN: 0
; COMPUTE_PGM_RSRC2:TGID_Z_EN: 0
; COMPUTE_PGM_RSRC2:TIDIG_COMP_CNT: 0
; COMPUTE_PGM_RSRC3_GFX90A:ACCUM_OFFSET: 0
; COMPUTE_PGM_RSRC3_GFX90A:TG_SPLIT: 0
	.section	.text._ZN7rocprim17ROCPRIM_400000_NS6detail17trampoline_kernelINS0_14default_configENS1_29binary_search_config_selectorIfbEEZNS1_14transform_implILb0ES3_S5_N6thrust23THRUST_200600_302600_NS17counting_iteratorIfNS8_11use_defaultESA_SA_EEPbZNS1_13binary_searchIS3_S5_PfSB_SC_NS1_16binary_search_opENS8_6detail16wrapped_functionINS0_4lessIvEEbEEEE10hipError_tPvRmT1_T2_T3_mmT4_T5_P12ihipStream_tbEUlRKfE_EESL_SP_SQ_mSR_SU_bEUlT_E_NS1_11comp_targetILNS1_3genE8ELNS1_11target_archE1030ELNS1_3gpuE2ELNS1_3repE0EEENS1_30default_config_static_selectorELNS0_4arch9wavefront6targetE1EEEvSO_,"axG",@progbits,_ZN7rocprim17ROCPRIM_400000_NS6detail17trampoline_kernelINS0_14default_configENS1_29binary_search_config_selectorIfbEEZNS1_14transform_implILb0ES3_S5_N6thrust23THRUST_200600_302600_NS17counting_iteratorIfNS8_11use_defaultESA_SA_EEPbZNS1_13binary_searchIS3_S5_PfSB_SC_NS1_16binary_search_opENS8_6detail16wrapped_functionINS0_4lessIvEEbEEEE10hipError_tPvRmT1_T2_T3_mmT4_T5_P12ihipStream_tbEUlRKfE_EESL_SP_SQ_mSR_SU_bEUlT_E_NS1_11comp_targetILNS1_3genE8ELNS1_11target_archE1030ELNS1_3gpuE2ELNS1_3repE0EEENS1_30default_config_static_selectorELNS0_4arch9wavefront6targetE1EEEvSO_,comdat
	.protected	_ZN7rocprim17ROCPRIM_400000_NS6detail17trampoline_kernelINS0_14default_configENS1_29binary_search_config_selectorIfbEEZNS1_14transform_implILb0ES3_S5_N6thrust23THRUST_200600_302600_NS17counting_iteratorIfNS8_11use_defaultESA_SA_EEPbZNS1_13binary_searchIS3_S5_PfSB_SC_NS1_16binary_search_opENS8_6detail16wrapped_functionINS0_4lessIvEEbEEEE10hipError_tPvRmT1_T2_T3_mmT4_T5_P12ihipStream_tbEUlRKfE_EESL_SP_SQ_mSR_SU_bEUlT_E_NS1_11comp_targetILNS1_3genE8ELNS1_11target_archE1030ELNS1_3gpuE2ELNS1_3repE0EEENS1_30default_config_static_selectorELNS0_4arch9wavefront6targetE1EEEvSO_ ; -- Begin function _ZN7rocprim17ROCPRIM_400000_NS6detail17trampoline_kernelINS0_14default_configENS1_29binary_search_config_selectorIfbEEZNS1_14transform_implILb0ES3_S5_N6thrust23THRUST_200600_302600_NS17counting_iteratorIfNS8_11use_defaultESA_SA_EEPbZNS1_13binary_searchIS3_S5_PfSB_SC_NS1_16binary_search_opENS8_6detail16wrapped_functionINS0_4lessIvEEbEEEE10hipError_tPvRmT1_T2_T3_mmT4_T5_P12ihipStream_tbEUlRKfE_EESL_SP_SQ_mSR_SU_bEUlT_E_NS1_11comp_targetILNS1_3genE8ELNS1_11target_archE1030ELNS1_3gpuE2ELNS1_3repE0EEENS1_30default_config_static_selectorELNS0_4arch9wavefront6targetE1EEEvSO_
	.globl	_ZN7rocprim17ROCPRIM_400000_NS6detail17trampoline_kernelINS0_14default_configENS1_29binary_search_config_selectorIfbEEZNS1_14transform_implILb0ES3_S5_N6thrust23THRUST_200600_302600_NS17counting_iteratorIfNS8_11use_defaultESA_SA_EEPbZNS1_13binary_searchIS3_S5_PfSB_SC_NS1_16binary_search_opENS8_6detail16wrapped_functionINS0_4lessIvEEbEEEE10hipError_tPvRmT1_T2_T3_mmT4_T5_P12ihipStream_tbEUlRKfE_EESL_SP_SQ_mSR_SU_bEUlT_E_NS1_11comp_targetILNS1_3genE8ELNS1_11target_archE1030ELNS1_3gpuE2ELNS1_3repE0EEENS1_30default_config_static_selectorELNS0_4arch9wavefront6targetE1EEEvSO_
	.p2align	8
	.type	_ZN7rocprim17ROCPRIM_400000_NS6detail17trampoline_kernelINS0_14default_configENS1_29binary_search_config_selectorIfbEEZNS1_14transform_implILb0ES3_S5_N6thrust23THRUST_200600_302600_NS17counting_iteratorIfNS8_11use_defaultESA_SA_EEPbZNS1_13binary_searchIS3_S5_PfSB_SC_NS1_16binary_search_opENS8_6detail16wrapped_functionINS0_4lessIvEEbEEEE10hipError_tPvRmT1_T2_T3_mmT4_T5_P12ihipStream_tbEUlRKfE_EESL_SP_SQ_mSR_SU_bEUlT_E_NS1_11comp_targetILNS1_3genE8ELNS1_11target_archE1030ELNS1_3gpuE2ELNS1_3repE0EEENS1_30default_config_static_selectorELNS0_4arch9wavefront6targetE1EEEvSO_,@function
_ZN7rocprim17ROCPRIM_400000_NS6detail17trampoline_kernelINS0_14default_configENS1_29binary_search_config_selectorIfbEEZNS1_14transform_implILb0ES3_S5_N6thrust23THRUST_200600_302600_NS17counting_iteratorIfNS8_11use_defaultESA_SA_EEPbZNS1_13binary_searchIS3_S5_PfSB_SC_NS1_16binary_search_opENS8_6detail16wrapped_functionINS0_4lessIvEEbEEEE10hipError_tPvRmT1_T2_T3_mmT4_T5_P12ihipStream_tbEUlRKfE_EESL_SP_SQ_mSR_SU_bEUlT_E_NS1_11comp_targetILNS1_3genE8ELNS1_11target_archE1030ELNS1_3gpuE2ELNS1_3repE0EEENS1_30default_config_static_selectorELNS0_4arch9wavefront6targetE1EEEvSO_: ; @_ZN7rocprim17ROCPRIM_400000_NS6detail17trampoline_kernelINS0_14default_configENS1_29binary_search_config_selectorIfbEEZNS1_14transform_implILb0ES3_S5_N6thrust23THRUST_200600_302600_NS17counting_iteratorIfNS8_11use_defaultESA_SA_EEPbZNS1_13binary_searchIS3_S5_PfSB_SC_NS1_16binary_search_opENS8_6detail16wrapped_functionINS0_4lessIvEEbEEEE10hipError_tPvRmT1_T2_T3_mmT4_T5_P12ihipStream_tbEUlRKfE_EESL_SP_SQ_mSR_SU_bEUlT_E_NS1_11comp_targetILNS1_3genE8ELNS1_11target_archE1030ELNS1_3gpuE2ELNS1_3repE0EEENS1_30default_config_static_selectorELNS0_4arch9wavefront6targetE1EEEvSO_
; %bb.0:
	.section	.rodata,"a",@progbits
	.p2align	6, 0x0
	.amdhsa_kernel _ZN7rocprim17ROCPRIM_400000_NS6detail17trampoline_kernelINS0_14default_configENS1_29binary_search_config_selectorIfbEEZNS1_14transform_implILb0ES3_S5_N6thrust23THRUST_200600_302600_NS17counting_iteratorIfNS8_11use_defaultESA_SA_EEPbZNS1_13binary_searchIS3_S5_PfSB_SC_NS1_16binary_search_opENS8_6detail16wrapped_functionINS0_4lessIvEEbEEEE10hipError_tPvRmT1_T2_T3_mmT4_T5_P12ihipStream_tbEUlRKfE_EESL_SP_SQ_mSR_SU_bEUlT_E_NS1_11comp_targetILNS1_3genE8ELNS1_11target_archE1030ELNS1_3gpuE2ELNS1_3repE0EEENS1_30default_config_static_selectorELNS0_4arch9wavefront6targetE1EEEvSO_
		.amdhsa_group_segment_fixed_size 0
		.amdhsa_private_segment_fixed_size 0
		.amdhsa_kernarg_size 56
		.amdhsa_user_sgpr_count 6
		.amdhsa_user_sgpr_private_segment_buffer 1
		.amdhsa_user_sgpr_dispatch_ptr 0
		.amdhsa_user_sgpr_queue_ptr 0
		.amdhsa_user_sgpr_kernarg_segment_ptr 1
		.amdhsa_user_sgpr_dispatch_id 0
		.amdhsa_user_sgpr_flat_scratch_init 0
		.amdhsa_user_sgpr_kernarg_preload_length 0
		.amdhsa_user_sgpr_kernarg_preload_offset 0
		.amdhsa_user_sgpr_private_segment_size 0
		.amdhsa_uses_dynamic_stack 0
		.amdhsa_system_sgpr_private_segment_wavefront_offset 0
		.amdhsa_system_sgpr_workgroup_id_x 1
		.amdhsa_system_sgpr_workgroup_id_y 0
		.amdhsa_system_sgpr_workgroup_id_z 0
		.amdhsa_system_sgpr_workgroup_info 0
		.amdhsa_system_vgpr_workitem_id 0
		.amdhsa_next_free_vgpr 1
		.amdhsa_next_free_sgpr 0
		.amdhsa_accum_offset 4
		.amdhsa_reserve_vcc 0
		.amdhsa_reserve_flat_scratch 0
		.amdhsa_float_round_mode_32 0
		.amdhsa_float_round_mode_16_64 0
		.amdhsa_float_denorm_mode_32 3
		.amdhsa_float_denorm_mode_16_64 3
		.amdhsa_dx10_clamp 1
		.amdhsa_ieee_mode 1
		.amdhsa_fp16_overflow 0
		.amdhsa_tg_split 0
		.amdhsa_exception_fp_ieee_invalid_op 0
		.amdhsa_exception_fp_denorm_src 0
		.amdhsa_exception_fp_ieee_div_zero 0
		.amdhsa_exception_fp_ieee_overflow 0
		.amdhsa_exception_fp_ieee_underflow 0
		.amdhsa_exception_fp_ieee_inexact 0
		.amdhsa_exception_int_div_zero 0
	.end_amdhsa_kernel
	.section	.text._ZN7rocprim17ROCPRIM_400000_NS6detail17trampoline_kernelINS0_14default_configENS1_29binary_search_config_selectorIfbEEZNS1_14transform_implILb0ES3_S5_N6thrust23THRUST_200600_302600_NS17counting_iteratorIfNS8_11use_defaultESA_SA_EEPbZNS1_13binary_searchIS3_S5_PfSB_SC_NS1_16binary_search_opENS8_6detail16wrapped_functionINS0_4lessIvEEbEEEE10hipError_tPvRmT1_T2_T3_mmT4_T5_P12ihipStream_tbEUlRKfE_EESL_SP_SQ_mSR_SU_bEUlT_E_NS1_11comp_targetILNS1_3genE8ELNS1_11target_archE1030ELNS1_3gpuE2ELNS1_3repE0EEENS1_30default_config_static_selectorELNS0_4arch9wavefront6targetE1EEEvSO_,"axG",@progbits,_ZN7rocprim17ROCPRIM_400000_NS6detail17trampoline_kernelINS0_14default_configENS1_29binary_search_config_selectorIfbEEZNS1_14transform_implILb0ES3_S5_N6thrust23THRUST_200600_302600_NS17counting_iteratorIfNS8_11use_defaultESA_SA_EEPbZNS1_13binary_searchIS3_S5_PfSB_SC_NS1_16binary_search_opENS8_6detail16wrapped_functionINS0_4lessIvEEbEEEE10hipError_tPvRmT1_T2_T3_mmT4_T5_P12ihipStream_tbEUlRKfE_EESL_SP_SQ_mSR_SU_bEUlT_E_NS1_11comp_targetILNS1_3genE8ELNS1_11target_archE1030ELNS1_3gpuE2ELNS1_3repE0EEENS1_30default_config_static_selectorELNS0_4arch9wavefront6targetE1EEEvSO_,comdat
.Lfunc_end188:
	.size	_ZN7rocprim17ROCPRIM_400000_NS6detail17trampoline_kernelINS0_14default_configENS1_29binary_search_config_selectorIfbEEZNS1_14transform_implILb0ES3_S5_N6thrust23THRUST_200600_302600_NS17counting_iteratorIfNS8_11use_defaultESA_SA_EEPbZNS1_13binary_searchIS3_S5_PfSB_SC_NS1_16binary_search_opENS8_6detail16wrapped_functionINS0_4lessIvEEbEEEE10hipError_tPvRmT1_T2_T3_mmT4_T5_P12ihipStream_tbEUlRKfE_EESL_SP_SQ_mSR_SU_bEUlT_E_NS1_11comp_targetILNS1_3genE8ELNS1_11target_archE1030ELNS1_3gpuE2ELNS1_3repE0EEENS1_30default_config_static_selectorELNS0_4arch9wavefront6targetE1EEEvSO_, .Lfunc_end188-_ZN7rocprim17ROCPRIM_400000_NS6detail17trampoline_kernelINS0_14default_configENS1_29binary_search_config_selectorIfbEEZNS1_14transform_implILb0ES3_S5_N6thrust23THRUST_200600_302600_NS17counting_iteratorIfNS8_11use_defaultESA_SA_EEPbZNS1_13binary_searchIS3_S5_PfSB_SC_NS1_16binary_search_opENS8_6detail16wrapped_functionINS0_4lessIvEEbEEEE10hipError_tPvRmT1_T2_T3_mmT4_T5_P12ihipStream_tbEUlRKfE_EESL_SP_SQ_mSR_SU_bEUlT_E_NS1_11comp_targetILNS1_3genE8ELNS1_11target_archE1030ELNS1_3gpuE2ELNS1_3repE0EEENS1_30default_config_static_selectorELNS0_4arch9wavefront6targetE1EEEvSO_
                                        ; -- End function
	.section	.AMDGPU.csdata,"",@progbits
; Kernel info:
; codeLenInByte = 0
; NumSgprs: 4
; NumVgprs: 0
; NumAgprs: 0
; TotalNumVgprs: 0
; ScratchSize: 0
; MemoryBound: 0
; FloatMode: 240
; IeeeMode: 1
; LDSByteSize: 0 bytes/workgroup (compile time only)
; SGPRBlocks: 0
; VGPRBlocks: 0
; NumSGPRsForWavesPerEU: 4
; NumVGPRsForWavesPerEU: 1
; AccumOffset: 4
; Occupancy: 8
; WaveLimiterHint : 0
; COMPUTE_PGM_RSRC2:SCRATCH_EN: 0
; COMPUTE_PGM_RSRC2:USER_SGPR: 6
; COMPUTE_PGM_RSRC2:TRAP_HANDLER: 0
; COMPUTE_PGM_RSRC2:TGID_X_EN: 1
; COMPUTE_PGM_RSRC2:TGID_Y_EN: 0
; COMPUTE_PGM_RSRC2:TGID_Z_EN: 0
; COMPUTE_PGM_RSRC2:TIDIG_COMP_CNT: 0
; COMPUTE_PGM_RSRC3_GFX90A:ACCUM_OFFSET: 0
; COMPUTE_PGM_RSRC3_GFX90A:TG_SPLIT: 0
	.section	.text._Z20binary_search_kernelIyEvmPT_Pb,"axG",@progbits,_Z20binary_search_kernelIyEvmPT_Pb,comdat
	.protected	_Z20binary_search_kernelIyEvmPT_Pb ; -- Begin function _Z20binary_search_kernelIyEvmPT_Pb
	.globl	_Z20binary_search_kernelIyEvmPT_Pb
	.p2align	8
	.type	_Z20binary_search_kernelIyEvmPT_Pb,@function
_Z20binary_search_kernelIyEvmPT_Pb:     ; @_Z20binary_search_kernelIyEvmPT_Pb
; %bb.0:
	s_load_dwordx4 s[8:11], s[4:5], 0x0
	s_load_dwordx2 s[2:3], s[4:5], 0x10
	s_mov_b64 s[0:1], 0
	s_waitcnt lgkmcnt(0)
	s_cmp_eq_u64 s[8:9], 0
	s_cbranch_scc1 .LBB189_2
; %bb.1:
	s_load_dwordx2 s[4:5], s[10:11], 0x0
	s_waitcnt lgkmcnt(0)
	s_cmp_eq_u64 s[4:5], 0
	s_cselect_b64 s[6:7], -1, 0
	s_branch .LBB189_3
.LBB189_2:
	s_mov_b64 s[6:7], 0
.LBB189_3:
	s_lshl_b64 s[4:5], s[8:9], 3
	s_ashr_i64 s[4:5], s[4:5], 3
	v_cmp_lt_i64_e64 s[12:13], s[4:5], 1
	v_mov_b32_e32 v0, 0
	v_cndmask_b32_e64 v1, 0, 1, s[6:7]
	s_and_b64 vcc, exec, s[12:13]
	global_store_byte v0, v1, s[2:3]
	s_cbranch_vccnz .LBB189_6
; %bb.4:
	s_mov_b64 s[6:7], s[4:5]
.LBB189_5:                              ; =>This Inner Loop Header: Depth=1
	s_sub_u32 s12, s6, s0
	s_subb_u32 s13, s7, s1
	s_lshr_b32 s14, s13, 31
	s_add_u32 s12, s12, s14
	s_addc_u32 s13, s13, 0
	s_ashr_i64 s[12:13], s[12:13], 1
	s_add_u32 s12, s12, s0
	s_addc_u32 s13, s13, s1
	s_lshl_b64 s[14:15], s[12:13], 3
	s_add_u32 s14, s10, s14
	s_addc_u32 s15, s11, s15
	s_load_dwordx2 s[14:15], s[14:15], 0x0
	s_add_u32 s16, s12, 1
	s_addc_u32 s17, s13, 0
	s_waitcnt lgkmcnt(0)
	s_cmp_eq_u64 s[14:15], 0
	s_cselect_b32 s7, s7, s13
	s_cselect_b32 s6, s6, s12
	;; [unrolled: 1-line block ×4, first 2 shown]
	v_pk_mov_b32 v[0:1], s[6:7], s[6:7] op_sel:[0,1]
	v_cmp_lt_i64_e32 vcc, s[0:1], v[0:1]
	s_cbranch_vccnz .LBB189_5
.LBB189_6:
	v_cmp_gt_i64_e64 s[12:13], s[4:5], 0
	s_mov_b64 s[6:7], 0
	s_cmp_eq_u64 s[0:1], s[8:9]
	s_mov_b64 s[14:15], 0
	s_cbranch_scc1 .LBB189_8
; %bb.7:
	s_lshl_b64 s[0:1], s[0:1], 3
	s_add_u32 s0, s10, s0
	s_addc_u32 s1, s11, s1
	s_load_dwordx2 s[0:1], s[0:1], 0x0
	s_waitcnt lgkmcnt(0)
	v_cmp_lt_u64_e64 s[14:15], s[0:1], 2
.LBB189_8:
	v_cndmask_b32_e64 v2, 0, 1, s[12:13]
	v_cndmask_b32_e64 v0, 0, 1, s[14:15]
	v_mov_b32_e32 v1, 0
	v_cmp_ne_u32_e64 s[0:1], 1, v2
	s_andn2_b64 vcc, exec, s[12:13]
	global_store_byte v1, v0, s[2:3] offset:1
	s_cbranch_vccnz .LBB189_11
; %bb.9:
	s_mov_b64 s[12:13], s[4:5]
.LBB189_10:                             ; =>This Inner Loop Header: Depth=1
	s_sub_u32 s14, s12, s6
	s_subb_u32 s15, s13, s7
	s_lshr_b32 s16, s15, 31
	s_add_u32 s14, s14, s16
	s_addc_u32 s15, s15, 0
	s_ashr_i64 s[14:15], s[14:15], 1
	s_add_u32 s14, s14, s6
	s_addc_u32 s15, s15, s7
	s_lshl_b64 s[16:17], s[14:15], 3
	s_add_u32 s16, s10, s16
	s_addc_u32 s17, s11, s17
	s_load_dwordx2 s[16:17], s[16:17], 0x0
	s_add_u32 s18, s14, 1
	s_addc_u32 s19, s15, 0
	s_waitcnt lgkmcnt(0)
	v_cmp_lt_u64_e64 s[16:17], s[16:17], 2
	s_and_b64 s[16:17], s[16:17], exec
	s_cselect_b32 s13, s13, s15
	s_cselect_b32 s12, s12, s14
	s_cselect_b32 s7, s19, s7
	s_cselect_b32 s6, s18, s6
	v_pk_mov_b32 v[0:1], s[12:13], s[12:13] op_sel:[0,1]
	v_cmp_lt_i64_e32 vcc, s[6:7], v[0:1]
	s_cbranch_vccnz .LBB189_10
.LBB189_11:
	s_mov_b64 s[12:13], 0
	s_cmp_eq_u64 s[6:7], s[8:9]
	s_mov_b64 s[14:15], 0
	s_cbranch_scc1 .LBB189_13
; %bb.12:
	s_lshl_b64 s[6:7], s[6:7], 3
	s_add_u32 s6, s10, s6
	s_addc_u32 s7, s11, s7
	s_load_dwordx2 s[6:7], s[6:7], 0x0
	s_waitcnt lgkmcnt(0)
	v_cmp_lt_u64_e64 s[14:15], s[6:7], 3
.LBB189_13:
	v_cndmask_b32_e64 v0, 0, 1, s[14:15]
	v_mov_b32_e32 v1, 0
	s_and_b64 vcc, exec, s[0:1]
	global_store_byte v1, v0, s[2:3] offset:2
	s_cbranch_vccnz .LBB189_16
; %bb.14:
	s_mov_b64 s[6:7], s[4:5]
.LBB189_15:                             ; =>This Inner Loop Header: Depth=1
	s_sub_u32 s14, s6, s12
	s_subb_u32 s15, s7, s13
	s_lshr_b32 s16, s15, 31
	s_add_u32 s14, s14, s16
	s_addc_u32 s15, s15, 0
	s_ashr_i64 s[14:15], s[14:15], 1
	s_add_u32 s14, s14, s12
	s_addc_u32 s15, s15, s13
	s_lshl_b64 s[16:17], s[14:15], 3
	s_add_u32 s16, s10, s16
	s_addc_u32 s17, s11, s17
	s_load_dwordx2 s[16:17], s[16:17], 0x0
	s_add_u32 s18, s14, 1
	s_addc_u32 s19, s15, 0
	s_waitcnt lgkmcnt(0)
	v_cmp_lt_u64_e64 s[16:17], s[16:17], 3
	s_and_b64 s[16:17], s[16:17], exec
	s_cselect_b32 s7, s7, s15
	s_cselect_b32 s6, s6, s14
	s_cselect_b32 s13, s19, s13
	s_cselect_b32 s12, s18, s12
	v_pk_mov_b32 v[0:1], s[6:7], s[6:7] op_sel:[0,1]
	v_cmp_lt_i64_e32 vcc, s[12:13], v[0:1]
	s_cbranch_vccnz .LBB189_15
.LBB189_16:
	s_mov_b64 s[6:7], 0
	s_cmp_eq_u64 s[12:13], s[8:9]
	s_mov_b64 s[14:15], 0
	s_cbranch_scc1 .LBB189_18
; %bb.17:
	s_lshl_b64 s[12:13], s[12:13], 3
	s_add_u32 s12, s10, s12
	s_addc_u32 s13, s11, s13
	s_load_dwordx2 s[12:13], s[12:13], 0x0
	s_waitcnt lgkmcnt(0)
	v_cmp_lt_u64_e64 s[14:15], s[12:13], 4
.LBB189_18:
	v_cndmask_b32_e64 v0, 0, 1, s[14:15]
	v_mov_b32_e32 v1, 0
	s_and_b64 vcc, exec, s[0:1]
	global_store_byte v1, v0, s[2:3] offset:3
	s_cbranch_vccnz .LBB189_21
; %bb.19:
	s_mov_b64 s[12:13], s[4:5]
.LBB189_20:                             ; =>This Inner Loop Header: Depth=1
	s_sub_u32 s14, s12, s6
	s_subb_u32 s15, s13, s7
	s_lshr_b32 s16, s15, 31
	s_add_u32 s14, s14, s16
	s_addc_u32 s15, s15, 0
	s_ashr_i64 s[14:15], s[14:15], 1
	s_add_u32 s14, s14, s6
	s_addc_u32 s15, s15, s7
	s_lshl_b64 s[16:17], s[14:15], 3
	s_add_u32 s16, s10, s16
	s_addc_u32 s17, s11, s17
	s_load_dwordx2 s[16:17], s[16:17], 0x0
	s_add_u32 s18, s14, 1
	s_addc_u32 s19, s15, 0
	s_waitcnt lgkmcnt(0)
	v_cmp_lt_u64_e64 s[16:17], s[16:17], 4
	s_and_b64 s[16:17], s[16:17], exec
	s_cselect_b32 s13, s13, s15
	s_cselect_b32 s12, s12, s14
	s_cselect_b32 s7, s19, s7
	s_cselect_b32 s6, s18, s6
	v_pk_mov_b32 v[0:1], s[12:13], s[12:13] op_sel:[0,1]
	v_cmp_lt_i64_e32 vcc, s[6:7], v[0:1]
	s_cbranch_vccnz .LBB189_20
.LBB189_21:
	s_mov_b64 s[12:13], 0
	s_cmp_eq_u64 s[6:7], s[8:9]
	s_mov_b64 s[14:15], 0
	s_cbranch_scc1 .LBB189_23
; %bb.22:
	s_lshl_b64 s[6:7], s[6:7], 3
	s_add_u32 s6, s10, s6
	s_addc_u32 s7, s11, s7
	s_load_dwordx2 s[6:7], s[6:7], 0x0
	s_waitcnt lgkmcnt(0)
	v_cmp_lt_u64_e64 s[14:15], s[6:7], 5
.LBB189_23:
	v_cndmask_b32_e64 v0, 0, 1, s[14:15]
	v_mov_b32_e32 v1, 0
	s_and_b64 vcc, exec, s[0:1]
	global_store_byte v1, v0, s[2:3] offset:4
	s_cbranch_vccnz .LBB189_26
; %bb.24:
	s_mov_b64 s[6:7], s[4:5]
.LBB189_25:                             ; =>This Inner Loop Header: Depth=1
	s_sub_u32 s14, s6, s12
	s_subb_u32 s15, s7, s13
	s_lshr_b32 s16, s15, 31
	s_add_u32 s14, s14, s16
	s_addc_u32 s15, s15, 0
	s_ashr_i64 s[14:15], s[14:15], 1
	s_add_u32 s14, s14, s12
	s_addc_u32 s15, s15, s13
	s_lshl_b64 s[16:17], s[14:15], 3
	s_add_u32 s16, s10, s16
	s_addc_u32 s17, s11, s17
	s_load_dwordx2 s[16:17], s[16:17], 0x0
	s_add_u32 s18, s14, 1
	s_addc_u32 s19, s15, 0
	s_waitcnt lgkmcnt(0)
	v_cmp_lt_u64_e64 s[16:17], s[16:17], 5
	s_and_b64 s[16:17], s[16:17], exec
	s_cselect_b32 s7, s7, s15
	s_cselect_b32 s6, s6, s14
	s_cselect_b32 s13, s19, s13
	s_cselect_b32 s12, s18, s12
	v_pk_mov_b32 v[0:1], s[6:7], s[6:7] op_sel:[0,1]
	v_cmp_lt_i64_e32 vcc, s[12:13], v[0:1]
	s_cbranch_vccnz .LBB189_25
.LBB189_26:
	s_mov_b64 s[6:7], 0
	s_cmp_eq_u64 s[12:13], s[8:9]
	s_mov_b64 s[14:15], 0
	s_cbranch_scc1 .LBB189_28
; %bb.27:
	s_lshl_b64 s[12:13], s[12:13], 3
	s_add_u32 s12, s10, s12
	s_addc_u32 s13, s11, s13
	s_load_dwordx2 s[12:13], s[12:13], 0x0
	s_waitcnt lgkmcnt(0)
	v_cmp_lt_u64_e64 s[14:15], s[12:13], 6
.LBB189_28:
	v_cndmask_b32_e64 v0, 0, 1, s[14:15]
	v_mov_b32_e32 v1, 0
	s_and_b64 vcc, exec, s[0:1]
	global_store_byte v1, v0, s[2:3] offset:5
	s_cbranch_vccnz .LBB189_31
; %bb.29:
	s_mov_b64 s[12:13], s[4:5]
.LBB189_30:                             ; =>This Inner Loop Header: Depth=1
	s_sub_u32 s14, s12, s6
	s_subb_u32 s15, s13, s7
	s_lshr_b32 s16, s15, 31
	s_add_u32 s14, s14, s16
	s_addc_u32 s15, s15, 0
	s_ashr_i64 s[14:15], s[14:15], 1
	s_add_u32 s14, s14, s6
	s_addc_u32 s15, s15, s7
	s_lshl_b64 s[16:17], s[14:15], 3
	s_add_u32 s16, s10, s16
	s_addc_u32 s17, s11, s17
	s_load_dwordx2 s[16:17], s[16:17], 0x0
	s_add_u32 s18, s14, 1
	s_addc_u32 s19, s15, 0
	s_waitcnt lgkmcnt(0)
	v_cmp_lt_u64_e64 s[16:17], s[16:17], 6
	s_and_b64 s[16:17], s[16:17], exec
	s_cselect_b32 s13, s13, s15
	s_cselect_b32 s12, s12, s14
	s_cselect_b32 s7, s19, s7
	s_cselect_b32 s6, s18, s6
	v_pk_mov_b32 v[0:1], s[12:13], s[12:13] op_sel:[0,1]
	v_cmp_lt_i64_e32 vcc, s[6:7], v[0:1]
	s_cbranch_vccnz .LBB189_30
.LBB189_31:
	s_mov_b64 s[12:13], 0
	s_cmp_eq_u64 s[6:7], s[8:9]
	s_mov_b64 s[14:15], 0
	s_cbranch_scc1 .LBB189_33
; %bb.32:
	s_lshl_b64 s[6:7], s[6:7], 3
	s_add_u32 s6, s10, s6
	s_addc_u32 s7, s11, s7
	s_load_dwordx2 s[6:7], s[6:7], 0x0
	s_waitcnt lgkmcnt(0)
	v_cmp_lt_u64_e64 s[14:15], s[6:7], 7
.LBB189_33:
	v_cndmask_b32_e64 v0, 0, 1, s[14:15]
	v_mov_b32_e32 v1, 0
	s_and_b64 vcc, exec, s[0:1]
	global_store_byte v1, v0, s[2:3] offset:6
	s_cbranch_vccnz .LBB189_36
; %bb.34:
	s_mov_b64 s[6:7], s[4:5]
.LBB189_35:                             ; =>This Inner Loop Header: Depth=1
	s_sub_u32 s14, s6, s12
	s_subb_u32 s15, s7, s13
	s_lshr_b32 s16, s15, 31
	s_add_u32 s14, s14, s16
	s_addc_u32 s15, s15, 0
	s_ashr_i64 s[14:15], s[14:15], 1
	s_add_u32 s14, s14, s12
	s_addc_u32 s15, s15, s13
	s_lshl_b64 s[16:17], s[14:15], 3
	s_add_u32 s16, s10, s16
	s_addc_u32 s17, s11, s17
	s_load_dwordx2 s[16:17], s[16:17], 0x0
	s_add_u32 s18, s14, 1
	s_addc_u32 s19, s15, 0
	s_waitcnt lgkmcnt(0)
	v_cmp_lt_u64_e64 s[16:17], s[16:17], 7
	s_and_b64 s[16:17], s[16:17], exec
	s_cselect_b32 s7, s7, s15
	s_cselect_b32 s6, s6, s14
	s_cselect_b32 s13, s19, s13
	s_cselect_b32 s12, s18, s12
	v_pk_mov_b32 v[0:1], s[6:7], s[6:7] op_sel:[0,1]
	v_cmp_lt_i64_e32 vcc, s[12:13], v[0:1]
	s_cbranch_vccnz .LBB189_35
.LBB189_36:
	s_mov_b64 s[14:15], 0
	s_cmp_eq_u64 s[12:13], s[8:9]
	s_mov_b64 s[6:7], 0
	s_cbranch_scc1 .LBB189_38
; %bb.37:
	s_lshl_b64 s[6:7], s[12:13], 3
	s_add_u32 s6, s10, s6
	s_addc_u32 s7, s11, s7
	s_load_dwordx2 s[6:7], s[6:7], 0x0
	s_waitcnt lgkmcnt(0)
	v_cmp_lt_u64_e64 s[6:7], s[6:7], 8
.LBB189_38:
	v_cndmask_b32_e64 v0, 0, 1, s[6:7]
	v_mov_b32_e32 v1, 0
	s_and_b64 vcc, exec, s[0:1]
	global_store_byte v1, v0, s[2:3] offset:7
	s_cbranch_vccnz .LBB189_41
; %bb.39:
	s_mov_b64 s[6:7], s[4:5]
.LBB189_40:                             ; =>This Inner Loop Header: Depth=1
	s_sub_u32 s12, s6, s14
	s_subb_u32 s13, s7, s15
	s_lshr_b32 s16, s13, 31
	s_add_u32 s12, s12, s16
	s_addc_u32 s13, s13, 0
	s_ashr_i64 s[12:13], s[12:13], 1
	s_add_u32 s12, s12, s14
	s_addc_u32 s13, s13, s15
	s_lshl_b64 s[16:17], s[12:13], 3
	s_add_u32 s16, s10, s16
	s_addc_u32 s17, s11, s17
	s_load_dwordx2 s[16:17], s[16:17], 0x0
	s_add_u32 s18, s12, 1
	s_addc_u32 s19, s13, 0
	s_waitcnt lgkmcnt(0)
	v_cmp_lt_u64_e64 s[16:17], s[16:17], 8
	s_and_b64 s[16:17], s[16:17], exec
	s_cselect_b32 s7, s7, s13
	s_cselect_b32 s6, s6, s12
	s_cselect_b32 s15, s19, s15
	s_cselect_b32 s14, s18, s14
	v_pk_mov_b32 v[0:1], s[6:7], s[6:7] op_sel:[0,1]
	v_cmp_lt_i64_e32 vcc, s[14:15], v[0:1]
	s_cbranch_vccnz .LBB189_40
.LBB189_41:
	s_mov_b64 s[6:7], 0
	s_cmp_eq_u64 s[14:15], s[8:9]
	s_mov_b64 s[12:13], 0
	s_cbranch_scc1 .LBB189_43
; %bb.42:
	s_lshl_b64 s[12:13], s[14:15], 3
	s_add_u32 s12, s10, s12
	s_addc_u32 s13, s11, s13
	s_load_dwordx2 s[12:13], s[12:13], 0x0
	s_waitcnt lgkmcnt(0)
	v_cmp_lt_u64_e64 s[12:13], s[12:13], 9
.LBB189_43:
	v_cndmask_b32_e64 v0, 0, 1, s[12:13]
	v_mov_b32_e32 v1, 0
	s_and_b64 vcc, exec, s[0:1]
	global_store_byte v1, v0, s[2:3] offset:8
	s_cbranch_vccnz .LBB189_45
.LBB189_44:                             ; =>This Inner Loop Header: Depth=1
	s_sub_u32 s0, s4, s6
	s_subb_u32 s1, s5, s7
	s_lshr_b32 s12, s1, 31
	s_add_u32 s0, s0, s12
	s_addc_u32 s1, s1, 0
	s_ashr_i64 s[0:1], s[0:1], 1
	s_add_u32 s0, s0, s6
	s_addc_u32 s1, s1, s7
	s_lshl_b64 s[12:13], s[0:1], 3
	s_add_u32 s12, s10, s12
	s_addc_u32 s13, s11, s13
	s_load_dwordx2 s[12:13], s[12:13], 0x0
	s_add_u32 s14, s0, 1
	s_addc_u32 s15, s1, 0
	s_waitcnt lgkmcnt(0)
	v_cmp_lt_u64_e64 s[12:13], s[12:13], 9
	s_and_b64 s[12:13], s[12:13], exec
	s_cselect_b32 s5, s5, s1
	s_cselect_b32 s4, s4, s0
	;; [unrolled: 1-line block ×4, first 2 shown]
	v_pk_mov_b32 v[0:1], s[4:5], s[4:5] op_sel:[0,1]
	v_cmp_lt_i64_e32 vcc, s[6:7], v[0:1]
	s_cbranch_vccnz .LBB189_44
.LBB189_45:
	s_cmp_eq_u64 s[6:7], s[8:9]
	s_mov_b64 s[0:1], 0
	s_cbranch_scc1 .LBB189_47
; %bb.46:
	s_lshl_b64 s[0:1], s[6:7], 3
	s_add_u32 s0, s10, s0
	s_addc_u32 s1, s11, s1
	s_load_dwordx2 s[0:1], s[0:1], 0x0
	s_waitcnt lgkmcnt(0)
	v_cmp_lt_u64_e64 s[0:1], s[0:1], 10
.LBB189_47:
	v_mov_b32_e32 v0, 0
	v_cndmask_b32_e64 v1, 0, 1, s[0:1]
	global_store_byte v0, v1, s[2:3] offset:9
	s_endpgm
	.section	.rodata,"a",@progbits
	.p2align	6, 0x0
	.amdhsa_kernel _Z20binary_search_kernelIyEvmPT_Pb
		.amdhsa_group_segment_fixed_size 0
		.amdhsa_private_segment_fixed_size 0
		.amdhsa_kernarg_size 24
		.amdhsa_user_sgpr_count 6
		.amdhsa_user_sgpr_private_segment_buffer 1
		.amdhsa_user_sgpr_dispatch_ptr 0
		.amdhsa_user_sgpr_queue_ptr 0
		.amdhsa_user_sgpr_kernarg_segment_ptr 1
		.amdhsa_user_sgpr_dispatch_id 0
		.amdhsa_user_sgpr_flat_scratch_init 0
		.amdhsa_user_sgpr_kernarg_preload_length 0
		.amdhsa_user_sgpr_kernarg_preload_offset 0
		.amdhsa_user_sgpr_private_segment_size 0
		.amdhsa_uses_dynamic_stack 0
		.amdhsa_system_sgpr_private_segment_wavefront_offset 0
		.amdhsa_system_sgpr_workgroup_id_x 1
		.amdhsa_system_sgpr_workgroup_id_y 0
		.amdhsa_system_sgpr_workgroup_id_z 0
		.amdhsa_system_sgpr_workgroup_info 0
		.amdhsa_system_vgpr_workitem_id 0
		.amdhsa_next_free_vgpr 3
		.amdhsa_next_free_sgpr 20
		.amdhsa_accum_offset 4
		.amdhsa_reserve_vcc 1
		.amdhsa_reserve_flat_scratch 0
		.amdhsa_float_round_mode_32 0
		.amdhsa_float_round_mode_16_64 0
		.amdhsa_float_denorm_mode_32 3
		.amdhsa_float_denorm_mode_16_64 3
		.amdhsa_dx10_clamp 1
		.amdhsa_ieee_mode 1
		.amdhsa_fp16_overflow 0
		.amdhsa_tg_split 0
		.amdhsa_exception_fp_ieee_invalid_op 0
		.amdhsa_exception_fp_denorm_src 0
		.amdhsa_exception_fp_ieee_div_zero 0
		.amdhsa_exception_fp_ieee_overflow 0
		.amdhsa_exception_fp_ieee_underflow 0
		.amdhsa_exception_fp_ieee_inexact 0
		.amdhsa_exception_int_div_zero 0
	.end_amdhsa_kernel
	.section	.text._Z20binary_search_kernelIyEvmPT_Pb,"axG",@progbits,_Z20binary_search_kernelIyEvmPT_Pb,comdat
.Lfunc_end189:
	.size	_Z20binary_search_kernelIyEvmPT_Pb, .Lfunc_end189-_Z20binary_search_kernelIyEvmPT_Pb
                                        ; -- End function
	.section	.AMDGPU.csdata,"",@progbits
; Kernel info:
; codeLenInByte = 1800
; NumSgprs: 24
; NumVgprs: 3
; NumAgprs: 0
; TotalNumVgprs: 3
; ScratchSize: 0
; MemoryBound: 1
; FloatMode: 240
; IeeeMode: 1
; LDSByteSize: 0 bytes/workgroup (compile time only)
; SGPRBlocks: 2
; VGPRBlocks: 0
; NumSGPRsForWavesPerEU: 24
; NumVGPRsForWavesPerEU: 3
; AccumOffset: 4
; Occupancy: 8
; WaveLimiterHint : 0
; COMPUTE_PGM_RSRC2:SCRATCH_EN: 0
; COMPUTE_PGM_RSRC2:USER_SGPR: 6
; COMPUTE_PGM_RSRC2:TRAP_HANDLER: 0
; COMPUTE_PGM_RSRC2:TGID_X_EN: 1
; COMPUTE_PGM_RSRC2:TGID_Y_EN: 0
; COMPUTE_PGM_RSRC2:TGID_Z_EN: 0
; COMPUTE_PGM_RSRC2:TIDIG_COMP_CNT: 0
; COMPUTE_PGM_RSRC3_GFX90A:ACCUM_OFFSET: 0
; COMPUTE_PGM_RSRC3_GFX90A:TG_SPLIT: 0
	.section	.text._ZN7rocprim17ROCPRIM_400000_NS6detail17trampoline_kernelINS0_14default_configENS1_29binary_search_config_selectorIybEEZNS1_14transform_implILb0ES3_S5_N6thrust23THRUST_200600_302600_NS17counting_iteratorIyNS8_11use_defaultESA_SA_EEPbZNS1_13binary_searchIS3_S5_PySB_SC_NS1_16binary_search_opENS8_6detail16wrapped_functionINS0_4lessIvEEbEEEE10hipError_tPvRmT1_T2_T3_mmT4_T5_P12ihipStream_tbEUlRKyE_EESL_SP_SQ_mSR_SU_bEUlT_E_NS1_11comp_targetILNS1_3genE0ELNS1_11target_archE4294967295ELNS1_3gpuE0ELNS1_3repE0EEENS1_30default_config_static_selectorELNS0_4arch9wavefront6targetE1EEEvSO_,"axG",@progbits,_ZN7rocprim17ROCPRIM_400000_NS6detail17trampoline_kernelINS0_14default_configENS1_29binary_search_config_selectorIybEEZNS1_14transform_implILb0ES3_S5_N6thrust23THRUST_200600_302600_NS17counting_iteratorIyNS8_11use_defaultESA_SA_EEPbZNS1_13binary_searchIS3_S5_PySB_SC_NS1_16binary_search_opENS8_6detail16wrapped_functionINS0_4lessIvEEbEEEE10hipError_tPvRmT1_T2_T3_mmT4_T5_P12ihipStream_tbEUlRKyE_EESL_SP_SQ_mSR_SU_bEUlT_E_NS1_11comp_targetILNS1_3genE0ELNS1_11target_archE4294967295ELNS1_3gpuE0ELNS1_3repE0EEENS1_30default_config_static_selectorELNS0_4arch9wavefront6targetE1EEEvSO_,comdat
	.protected	_ZN7rocprim17ROCPRIM_400000_NS6detail17trampoline_kernelINS0_14default_configENS1_29binary_search_config_selectorIybEEZNS1_14transform_implILb0ES3_S5_N6thrust23THRUST_200600_302600_NS17counting_iteratorIyNS8_11use_defaultESA_SA_EEPbZNS1_13binary_searchIS3_S5_PySB_SC_NS1_16binary_search_opENS8_6detail16wrapped_functionINS0_4lessIvEEbEEEE10hipError_tPvRmT1_T2_T3_mmT4_T5_P12ihipStream_tbEUlRKyE_EESL_SP_SQ_mSR_SU_bEUlT_E_NS1_11comp_targetILNS1_3genE0ELNS1_11target_archE4294967295ELNS1_3gpuE0ELNS1_3repE0EEENS1_30default_config_static_selectorELNS0_4arch9wavefront6targetE1EEEvSO_ ; -- Begin function _ZN7rocprim17ROCPRIM_400000_NS6detail17trampoline_kernelINS0_14default_configENS1_29binary_search_config_selectorIybEEZNS1_14transform_implILb0ES3_S5_N6thrust23THRUST_200600_302600_NS17counting_iteratorIyNS8_11use_defaultESA_SA_EEPbZNS1_13binary_searchIS3_S5_PySB_SC_NS1_16binary_search_opENS8_6detail16wrapped_functionINS0_4lessIvEEbEEEE10hipError_tPvRmT1_T2_T3_mmT4_T5_P12ihipStream_tbEUlRKyE_EESL_SP_SQ_mSR_SU_bEUlT_E_NS1_11comp_targetILNS1_3genE0ELNS1_11target_archE4294967295ELNS1_3gpuE0ELNS1_3repE0EEENS1_30default_config_static_selectorELNS0_4arch9wavefront6targetE1EEEvSO_
	.globl	_ZN7rocprim17ROCPRIM_400000_NS6detail17trampoline_kernelINS0_14default_configENS1_29binary_search_config_selectorIybEEZNS1_14transform_implILb0ES3_S5_N6thrust23THRUST_200600_302600_NS17counting_iteratorIyNS8_11use_defaultESA_SA_EEPbZNS1_13binary_searchIS3_S5_PySB_SC_NS1_16binary_search_opENS8_6detail16wrapped_functionINS0_4lessIvEEbEEEE10hipError_tPvRmT1_T2_T3_mmT4_T5_P12ihipStream_tbEUlRKyE_EESL_SP_SQ_mSR_SU_bEUlT_E_NS1_11comp_targetILNS1_3genE0ELNS1_11target_archE4294967295ELNS1_3gpuE0ELNS1_3repE0EEENS1_30default_config_static_selectorELNS0_4arch9wavefront6targetE1EEEvSO_
	.p2align	8
	.type	_ZN7rocprim17ROCPRIM_400000_NS6detail17trampoline_kernelINS0_14default_configENS1_29binary_search_config_selectorIybEEZNS1_14transform_implILb0ES3_S5_N6thrust23THRUST_200600_302600_NS17counting_iteratorIyNS8_11use_defaultESA_SA_EEPbZNS1_13binary_searchIS3_S5_PySB_SC_NS1_16binary_search_opENS8_6detail16wrapped_functionINS0_4lessIvEEbEEEE10hipError_tPvRmT1_T2_T3_mmT4_T5_P12ihipStream_tbEUlRKyE_EESL_SP_SQ_mSR_SU_bEUlT_E_NS1_11comp_targetILNS1_3genE0ELNS1_11target_archE4294967295ELNS1_3gpuE0ELNS1_3repE0EEENS1_30default_config_static_selectorELNS0_4arch9wavefront6targetE1EEEvSO_,@function
_ZN7rocprim17ROCPRIM_400000_NS6detail17trampoline_kernelINS0_14default_configENS1_29binary_search_config_selectorIybEEZNS1_14transform_implILb0ES3_S5_N6thrust23THRUST_200600_302600_NS17counting_iteratorIyNS8_11use_defaultESA_SA_EEPbZNS1_13binary_searchIS3_S5_PySB_SC_NS1_16binary_search_opENS8_6detail16wrapped_functionINS0_4lessIvEEbEEEE10hipError_tPvRmT1_T2_T3_mmT4_T5_P12ihipStream_tbEUlRKyE_EESL_SP_SQ_mSR_SU_bEUlT_E_NS1_11comp_targetILNS1_3genE0ELNS1_11target_archE4294967295ELNS1_3gpuE0ELNS1_3repE0EEENS1_30default_config_static_selectorELNS0_4arch9wavefront6targetE1EEEvSO_: ; @_ZN7rocprim17ROCPRIM_400000_NS6detail17trampoline_kernelINS0_14default_configENS1_29binary_search_config_selectorIybEEZNS1_14transform_implILb0ES3_S5_N6thrust23THRUST_200600_302600_NS17counting_iteratorIyNS8_11use_defaultESA_SA_EEPbZNS1_13binary_searchIS3_S5_PySB_SC_NS1_16binary_search_opENS8_6detail16wrapped_functionINS0_4lessIvEEbEEEE10hipError_tPvRmT1_T2_T3_mmT4_T5_P12ihipStream_tbEUlRKyE_EESL_SP_SQ_mSR_SU_bEUlT_E_NS1_11comp_targetILNS1_3genE0ELNS1_11target_archE4294967295ELNS1_3gpuE0ELNS1_3repE0EEENS1_30default_config_static_selectorELNS0_4arch9wavefront6targetE1EEEvSO_
; %bb.0:
	.section	.rodata,"a",@progbits
	.p2align	6, 0x0
	.amdhsa_kernel _ZN7rocprim17ROCPRIM_400000_NS6detail17trampoline_kernelINS0_14default_configENS1_29binary_search_config_selectorIybEEZNS1_14transform_implILb0ES3_S5_N6thrust23THRUST_200600_302600_NS17counting_iteratorIyNS8_11use_defaultESA_SA_EEPbZNS1_13binary_searchIS3_S5_PySB_SC_NS1_16binary_search_opENS8_6detail16wrapped_functionINS0_4lessIvEEbEEEE10hipError_tPvRmT1_T2_T3_mmT4_T5_P12ihipStream_tbEUlRKyE_EESL_SP_SQ_mSR_SU_bEUlT_E_NS1_11comp_targetILNS1_3genE0ELNS1_11target_archE4294967295ELNS1_3gpuE0ELNS1_3repE0EEENS1_30default_config_static_selectorELNS0_4arch9wavefront6targetE1EEEvSO_
		.amdhsa_group_segment_fixed_size 0
		.amdhsa_private_segment_fixed_size 0
		.amdhsa_kernarg_size 56
		.amdhsa_user_sgpr_count 6
		.amdhsa_user_sgpr_private_segment_buffer 1
		.amdhsa_user_sgpr_dispatch_ptr 0
		.amdhsa_user_sgpr_queue_ptr 0
		.amdhsa_user_sgpr_kernarg_segment_ptr 1
		.amdhsa_user_sgpr_dispatch_id 0
		.amdhsa_user_sgpr_flat_scratch_init 0
		.amdhsa_user_sgpr_kernarg_preload_length 0
		.amdhsa_user_sgpr_kernarg_preload_offset 0
		.amdhsa_user_sgpr_private_segment_size 0
		.amdhsa_uses_dynamic_stack 0
		.amdhsa_system_sgpr_private_segment_wavefront_offset 0
		.amdhsa_system_sgpr_workgroup_id_x 1
		.amdhsa_system_sgpr_workgroup_id_y 0
		.amdhsa_system_sgpr_workgroup_id_z 0
		.amdhsa_system_sgpr_workgroup_info 0
		.amdhsa_system_vgpr_workitem_id 0
		.amdhsa_next_free_vgpr 1
		.amdhsa_next_free_sgpr 0
		.amdhsa_accum_offset 4
		.amdhsa_reserve_vcc 0
		.amdhsa_reserve_flat_scratch 0
		.amdhsa_float_round_mode_32 0
		.amdhsa_float_round_mode_16_64 0
		.amdhsa_float_denorm_mode_32 3
		.amdhsa_float_denorm_mode_16_64 3
		.amdhsa_dx10_clamp 1
		.amdhsa_ieee_mode 1
		.amdhsa_fp16_overflow 0
		.amdhsa_tg_split 0
		.amdhsa_exception_fp_ieee_invalid_op 0
		.amdhsa_exception_fp_denorm_src 0
		.amdhsa_exception_fp_ieee_div_zero 0
		.amdhsa_exception_fp_ieee_overflow 0
		.amdhsa_exception_fp_ieee_underflow 0
		.amdhsa_exception_fp_ieee_inexact 0
		.amdhsa_exception_int_div_zero 0
	.end_amdhsa_kernel
	.section	.text._ZN7rocprim17ROCPRIM_400000_NS6detail17trampoline_kernelINS0_14default_configENS1_29binary_search_config_selectorIybEEZNS1_14transform_implILb0ES3_S5_N6thrust23THRUST_200600_302600_NS17counting_iteratorIyNS8_11use_defaultESA_SA_EEPbZNS1_13binary_searchIS3_S5_PySB_SC_NS1_16binary_search_opENS8_6detail16wrapped_functionINS0_4lessIvEEbEEEE10hipError_tPvRmT1_T2_T3_mmT4_T5_P12ihipStream_tbEUlRKyE_EESL_SP_SQ_mSR_SU_bEUlT_E_NS1_11comp_targetILNS1_3genE0ELNS1_11target_archE4294967295ELNS1_3gpuE0ELNS1_3repE0EEENS1_30default_config_static_selectorELNS0_4arch9wavefront6targetE1EEEvSO_,"axG",@progbits,_ZN7rocprim17ROCPRIM_400000_NS6detail17trampoline_kernelINS0_14default_configENS1_29binary_search_config_selectorIybEEZNS1_14transform_implILb0ES3_S5_N6thrust23THRUST_200600_302600_NS17counting_iteratorIyNS8_11use_defaultESA_SA_EEPbZNS1_13binary_searchIS3_S5_PySB_SC_NS1_16binary_search_opENS8_6detail16wrapped_functionINS0_4lessIvEEbEEEE10hipError_tPvRmT1_T2_T3_mmT4_T5_P12ihipStream_tbEUlRKyE_EESL_SP_SQ_mSR_SU_bEUlT_E_NS1_11comp_targetILNS1_3genE0ELNS1_11target_archE4294967295ELNS1_3gpuE0ELNS1_3repE0EEENS1_30default_config_static_selectorELNS0_4arch9wavefront6targetE1EEEvSO_,comdat
.Lfunc_end190:
	.size	_ZN7rocprim17ROCPRIM_400000_NS6detail17trampoline_kernelINS0_14default_configENS1_29binary_search_config_selectorIybEEZNS1_14transform_implILb0ES3_S5_N6thrust23THRUST_200600_302600_NS17counting_iteratorIyNS8_11use_defaultESA_SA_EEPbZNS1_13binary_searchIS3_S5_PySB_SC_NS1_16binary_search_opENS8_6detail16wrapped_functionINS0_4lessIvEEbEEEE10hipError_tPvRmT1_T2_T3_mmT4_T5_P12ihipStream_tbEUlRKyE_EESL_SP_SQ_mSR_SU_bEUlT_E_NS1_11comp_targetILNS1_3genE0ELNS1_11target_archE4294967295ELNS1_3gpuE0ELNS1_3repE0EEENS1_30default_config_static_selectorELNS0_4arch9wavefront6targetE1EEEvSO_, .Lfunc_end190-_ZN7rocprim17ROCPRIM_400000_NS6detail17trampoline_kernelINS0_14default_configENS1_29binary_search_config_selectorIybEEZNS1_14transform_implILb0ES3_S5_N6thrust23THRUST_200600_302600_NS17counting_iteratorIyNS8_11use_defaultESA_SA_EEPbZNS1_13binary_searchIS3_S5_PySB_SC_NS1_16binary_search_opENS8_6detail16wrapped_functionINS0_4lessIvEEbEEEE10hipError_tPvRmT1_T2_T3_mmT4_T5_P12ihipStream_tbEUlRKyE_EESL_SP_SQ_mSR_SU_bEUlT_E_NS1_11comp_targetILNS1_3genE0ELNS1_11target_archE4294967295ELNS1_3gpuE0ELNS1_3repE0EEENS1_30default_config_static_selectorELNS0_4arch9wavefront6targetE1EEEvSO_
                                        ; -- End function
	.section	.AMDGPU.csdata,"",@progbits
; Kernel info:
; codeLenInByte = 0
; NumSgprs: 4
; NumVgprs: 0
; NumAgprs: 0
; TotalNumVgprs: 0
; ScratchSize: 0
; MemoryBound: 0
; FloatMode: 240
; IeeeMode: 1
; LDSByteSize: 0 bytes/workgroup (compile time only)
; SGPRBlocks: 0
; VGPRBlocks: 0
; NumSGPRsForWavesPerEU: 4
; NumVGPRsForWavesPerEU: 1
; AccumOffset: 4
; Occupancy: 8
; WaveLimiterHint : 0
; COMPUTE_PGM_RSRC2:SCRATCH_EN: 0
; COMPUTE_PGM_RSRC2:USER_SGPR: 6
; COMPUTE_PGM_RSRC2:TRAP_HANDLER: 0
; COMPUTE_PGM_RSRC2:TGID_X_EN: 1
; COMPUTE_PGM_RSRC2:TGID_Y_EN: 0
; COMPUTE_PGM_RSRC2:TGID_Z_EN: 0
; COMPUTE_PGM_RSRC2:TIDIG_COMP_CNT: 0
; COMPUTE_PGM_RSRC3_GFX90A:ACCUM_OFFSET: 0
; COMPUTE_PGM_RSRC3_GFX90A:TG_SPLIT: 0
	.section	.text._ZN7rocprim17ROCPRIM_400000_NS6detail17trampoline_kernelINS0_14default_configENS1_29binary_search_config_selectorIybEEZNS1_14transform_implILb0ES3_S5_N6thrust23THRUST_200600_302600_NS17counting_iteratorIyNS8_11use_defaultESA_SA_EEPbZNS1_13binary_searchIS3_S5_PySB_SC_NS1_16binary_search_opENS8_6detail16wrapped_functionINS0_4lessIvEEbEEEE10hipError_tPvRmT1_T2_T3_mmT4_T5_P12ihipStream_tbEUlRKyE_EESL_SP_SQ_mSR_SU_bEUlT_E_NS1_11comp_targetILNS1_3genE5ELNS1_11target_archE942ELNS1_3gpuE9ELNS1_3repE0EEENS1_30default_config_static_selectorELNS0_4arch9wavefront6targetE1EEEvSO_,"axG",@progbits,_ZN7rocprim17ROCPRIM_400000_NS6detail17trampoline_kernelINS0_14default_configENS1_29binary_search_config_selectorIybEEZNS1_14transform_implILb0ES3_S5_N6thrust23THRUST_200600_302600_NS17counting_iteratorIyNS8_11use_defaultESA_SA_EEPbZNS1_13binary_searchIS3_S5_PySB_SC_NS1_16binary_search_opENS8_6detail16wrapped_functionINS0_4lessIvEEbEEEE10hipError_tPvRmT1_T2_T3_mmT4_T5_P12ihipStream_tbEUlRKyE_EESL_SP_SQ_mSR_SU_bEUlT_E_NS1_11comp_targetILNS1_3genE5ELNS1_11target_archE942ELNS1_3gpuE9ELNS1_3repE0EEENS1_30default_config_static_selectorELNS0_4arch9wavefront6targetE1EEEvSO_,comdat
	.protected	_ZN7rocprim17ROCPRIM_400000_NS6detail17trampoline_kernelINS0_14default_configENS1_29binary_search_config_selectorIybEEZNS1_14transform_implILb0ES3_S5_N6thrust23THRUST_200600_302600_NS17counting_iteratorIyNS8_11use_defaultESA_SA_EEPbZNS1_13binary_searchIS3_S5_PySB_SC_NS1_16binary_search_opENS8_6detail16wrapped_functionINS0_4lessIvEEbEEEE10hipError_tPvRmT1_T2_T3_mmT4_T5_P12ihipStream_tbEUlRKyE_EESL_SP_SQ_mSR_SU_bEUlT_E_NS1_11comp_targetILNS1_3genE5ELNS1_11target_archE942ELNS1_3gpuE9ELNS1_3repE0EEENS1_30default_config_static_selectorELNS0_4arch9wavefront6targetE1EEEvSO_ ; -- Begin function _ZN7rocprim17ROCPRIM_400000_NS6detail17trampoline_kernelINS0_14default_configENS1_29binary_search_config_selectorIybEEZNS1_14transform_implILb0ES3_S5_N6thrust23THRUST_200600_302600_NS17counting_iteratorIyNS8_11use_defaultESA_SA_EEPbZNS1_13binary_searchIS3_S5_PySB_SC_NS1_16binary_search_opENS8_6detail16wrapped_functionINS0_4lessIvEEbEEEE10hipError_tPvRmT1_T2_T3_mmT4_T5_P12ihipStream_tbEUlRKyE_EESL_SP_SQ_mSR_SU_bEUlT_E_NS1_11comp_targetILNS1_3genE5ELNS1_11target_archE942ELNS1_3gpuE9ELNS1_3repE0EEENS1_30default_config_static_selectorELNS0_4arch9wavefront6targetE1EEEvSO_
	.globl	_ZN7rocprim17ROCPRIM_400000_NS6detail17trampoline_kernelINS0_14default_configENS1_29binary_search_config_selectorIybEEZNS1_14transform_implILb0ES3_S5_N6thrust23THRUST_200600_302600_NS17counting_iteratorIyNS8_11use_defaultESA_SA_EEPbZNS1_13binary_searchIS3_S5_PySB_SC_NS1_16binary_search_opENS8_6detail16wrapped_functionINS0_4lessIvEEbEEEE10hipError_tPvRmT1_T2_T3_mmT4_T5_P12ihipStream_tbEUlRKyE_EESL_SP_SQ_mSR_SU_bEUlT_E_NS1_11comp_targetILNS1_3genE5ELNS1_11target_archE942ELNS1_3gpuE9ELNS1_3repE0EEENS1_30default_config_static_selectorELNS0_4arch9wavefront6targetE1EEEvSO_
	.p2align	8
	.type	_ZN7rocprim17ROCPRIM_400000_NS6detail17trampoline_kernelINS0_14default_configENS1_29binary_search_config_selectorIybEEZNS1_14transform_implILb0ES3_S5_N6thrust23THRUST_200600_302600_NS17counting_iteratorIyNS8_11use_defaultESA_SA_EEPbZNS1_13binary_searchIS3_S5_PySB_SC_NS1_16binary_search_opENS8_6detail16wrapped_functionINS0_4lessIvEEbEEEE10hipError_tPvRmT1_T2_T3_mmT4_T5_P12ihipStream_tbEUlRKyE_EESL_SP_SQ_mSR_SU_bEUlT_E_NS1_11comp_targetILNS1_3genE5ELNS1_11target_archE942ELNS1_3gpuE9ELNS1_3repE0EEENS1_30default_config_static_selectorELNS0_4arch9wavefront6targetE1EEEvSO_,@function
_ZN7rocprim17ROCPRIM_400000_NS6detail17trampoline_kernelINS0_14default_configENS1_29binary_search_config_selectorIybEEZNS1_14transform_implILb0ES3_S5_N6thrust23THRUST_200600_302600_NS17counting_iteratorIyNS8_11use_defaultESA_SA_EEPbZNS1_13binary_searchIS3_S5_PySB_SC_NS1_16binary_search_opENS8_6detail16wrapped_functionINS0_4lessIvEEbEEEE10hipError_tPvRmT1_T2_T3_mmT4_T5_P12ihipStream_tbEUlRKyE_EESL_SP_SQ_mSR_SU_bEUlT_E_NS1_11comp_targetILNS1_3genE5ELNS1_11target_archE942ELNS1_3gpuE9ELNS1_3repE0EEENS1_30default_config_static_selectorELNS0_4arch9wavefront6targetE1EEEvSO_: ; @_ZN7rocprim17ROCPRIM_400000_NS6detail17trampoline_kernelINS0_14default_configENS1_29binary_search_config_selectorIybEEZNS1_14transform_implILb0ES3_S5_N6thrust23THRUST_200600_302600_NS17counting_iteratorIyNS8_11use_defaultESA_SA_EEPbZNS1_13binary_searchIS3_S5_PySB_SC_NS1_16binary_search_opENS8_6detail16wrapped_functionINS0_4lessIvEEbEEEE10hipError_tPvRmT1_T2_T3_mmT4_T5_P12ihipStream_tbEUlRKyE_EESL_SP_SQ_mSR_SU_bEUlT_E_NS1_11comp_targetILNS1_3genE5ELNS1_11target_archE942ELNS1_3gpuE9ELNS1_3repE0EEENS1_30default_config_static_selectorELNS0_4arch9wavefront6targetE1EEEvSO_
; %bb.0:
	.section	.rodata,"a",@progbits
	.p2align	6, 0x0
	.amdhsa_kernel _ZN7rocprim17ROCPRIM_400000_NS6detail17trampoline_kernelINS0_14default_configENS1_29binary_search_config_selectorIybEEZNS1_14transform_implILb0ES3_S5_N6thrust23THRUST_200600_302600_NS17counting_iteratorIyNS8_11use_defaultESA_SA_EEPbZNS1_13binary_searchIS3_S5_PySB_SC_NS1_16binary_search_opENS8_6detail16wrapped_functionINS0_4lessIvEEbEEEE10hipError_tPvRmT1_T2_T3_mmT4_T5_P12ihipStream_tbEUlRKyE_EESL_SP_SQ_mSR_SU_bEUlT_E_NS1_11comp_targetILNS1_3genE5ELNS1_11target_archE942ELNS1_3gpuE9ELNS1_3repE0EEENS1_30default_config_static_selectorELNS0_4arch9wavefront6targetE1EEEvSO_
		.amdhsa_group_segment_fixed_size 0
		.amdhsa_private_segment_fixed_size 0
		.amdhsa_kernarg_size 56
		.amdhsa_user_sgpr_count 6
		.amdhsa_user_sgpr_private_segment_buffer 1
		.amdhsa_user_sgpr_dispatch_ptr 0
		.amdhsa_user_sgpr_queue_ptr 0
		.amdhsa_user_sgpr_kernarg_segment_ptr 1
		.amdhsa_user_sgpr_dispatch_id 0
		.amdhsa_user_sgpr_flat_scratch_init 0
		.amdhsa_user_sgpr_kernarg_preload_length 0
		.amdhsa_user_sgpr_kernarg_preload_offset 0
		.amdhsa_user_sgpr_private_segment_size 0
		.amdhsa_uses_dynamic_stack 0
		.amdhsa_system_sgpr_private_segment_wavefront_offset 0
		.amdhsa_system_sgpr_workgroup_id_x 1
		.amdhsa_system_sgpr_workgroup_id_y 0
		.amdhsa_system_sgpr_workgroup_id_z 0
		.amdhsa_system_sgpr_workgroup_info 0
		.amdhsa_system_vgpr_workitem_id 0
		.amdhsa_next_free_vgpr 1
		.amdhsa_next_free_sgpr 0
		.amdhsa_accum_offset 4
		.amdhsa_reserve_vcc 0
		.amdhsa_reserve_flat_scratch 0
		.amdhsa_float_round_mode_32 0
		.amdhsa_float_round_mode_16_64 0
		.amdhsa_float_denorm_mode_32 3
		.amdhsa_float_denorm_mode_16_64 3
		.amdhsa_dx10_clamp 1
		.amdhsa_ieee_mode 1
		.amdhsa_fp16_overflow 0
		.amdhsa_tg_split 0
		.amdhsa_exception_fp_ieee_invalid_op 0
		.amdhsa_exception_fp_denorm_src 0
		.amdhsa_exception_fp_ieee_div_zero 0
		.amdhsa_exception_fp_ieee_overflow 0
		.amdhsa_exception_fp_ieee_underflow 0
		.amdhsa_exception_fp_ieee_inexact 0
		.amdhsa_exception_int_div_zero 0
	.end_amdhsa_kernel
	.section	.text._ZN7rocprim17ROCPRIM_400000_NS6detail17trampoline_kernelINS0_14default_configENS1_29binary_search_config_selectorIybEEZNS1_14transform_implILb0ES3_S5_N6thrust23THRUST_200600_302600_NS17counting_iteratorIyNS8_11use_defaultESA_SA_EEPbZNS1_13binary_searchIS3_S5_PySB_SC_NS1_16binary_search_opENS8_6detail16wrapped_functionINS0_4lessIvEEbEEEE10hipError_tPvRmT1_T2_T3_mmT4_T5_P12ihipStream_tbEUlRKyE_EESL_SP_SQ_mSR_SU_bEUlT_E_NS1_11comp_targetILNS1_3genE5ELNS1_11target_archE942ELNS1_3gpuE9ELNS1_3repE0EEENS1_30default_config_static_selectorELNS0_4arch9wavefront6targetE1EEEvSO_,"axG",@progbits,_ZN7rocprim17ROCPRIM_400000_NS6detail17trampoline_kernelINS0_14default_configENS1_29binary_search_config_selectorIybEEZNS1_14transform_implILb0ES3_S5_N6thrust23THRUST_200600_302600_NS17counting_iteratorIyNS8_11use_defaultESA_SA_EEPbZNS1_13binary_searchIS3_S5_PySB_SC_NS1_16binary_search_opENS8_6detail16wrapped_functionINS0_4lessIvEEbEEEE10hipError_tPvRmT1_T2_T3_mmT4_T5_P12ihipStream_tbEUlRKyE_EESL_SP_SQ_mSR_SU_bEUlT_E_NS1_11comp_targetILNS1_3genE5ELNS1_11target_archE942ELNS1_3gpuE9ELNS1_3repE0EEENS1_30default_config_static_selectorELNS0_4arch9wavefront6targetE1EEEvSO_,comdat
.Lfunc_end191:
	.size	_ZN7rocprim17ROCPRIM_400000_NS6detail17trampoline_kernelINS0_14default_configENS1_29binary_search_config_selectorIybEEZNS1_14transform_implILb0ES3_S5_N6thrust23THRUST_200600_302600_NS17counting_iteratorIyNS8_11use_defaultESA_SA_EEPbZNS1_13binary_searchIS3_S5_PySB_SC_NS1_16binary_search_opENS8_6detail16wrapped_functionINS0_4lessIvEEbEEEE10hipError_tPvRmT1_T2_T3_mmT4_T5_P12ihipStream_tbEUlRKyE_EESL_SP_SQ_mSR_SU_bEUlT_E_NS1_11comp_targetILNS1_3genE5ELNS1_11target_archE942ELNS1_3gpuE9ELNS1_3repE0EEENS1_30default_config_static_selectorELNS0_4arch9wavefront6targetE1EEEvSO_, .Lfunc_end191-_ZN7rocprim17ROCPRIM_400000_NS6detail17trampoline_kernelINS0_14default_configENS1_29binary_search_config_selectorIybEEZNS1_14transform_implILb0ES3_S5_N6thrust23THRUST_200600_302600_NS17counting_iteratorIyNS8_11use_defaultESA_SA_EEPbZNS1_13binary_searchIS3_S5_PySB_SC_NS1_16binary_search_opENS8_6detail16wrapped_functionINS0_4lessIvEEbEEEE10hipError_tPvRmT1_T2_T3_mmT4_T5_P12ihipStream_tbEUlRKyE_EESL_SP_SQ_mSR_SU_bEUlT_E_NS1_11comp_targetILNS1_3genE5ELNS1_11target_archE942ELNS1_3gpuE9ELNS1_3repE0EEENS1_30default_config_static_selectorELNS0_4arch9wavefront6targetE1EEEvSO_
                                        ; -- End function
	.section	.AMDGPU.csdata,"",@progbits
; Kernel info:
; codeLenInByte = 0
; NumSgprs: 4
; NumVgprs: 0
; NumAgprs: 0
; TotalNumVgprs: 0
; ScratchSize: 0
; MemoryBound: 0
; FloatMode: 240
; IeeeMode: 1
; LDSByteSize: 0 bytes/workgroup (compile time only)
; SGPRBlocks: 0
; VGPRBlocks: 0
; NumSGPRsForWavesPerEU: 4
; NumVGPRsForWavesPerEU: 1
; AccumOffset: 4
; Occupancy: 8
; WaveLimiterHint : 0
; COMPUTE_PGM_RSRC2:SCRATCH_EN: 0
; COMPUTE_PGM_RSRC2:USER_SGPR: 6
; COMPUTE_PGM_RSRC2:TRAP_HANDLER: 0
; COMPUTE_PGM_RSRC2:TGID_X_EN: 1
; COMPUTE_PGM_RSRC2:TGID_Y_EN: 0
; COMPUTE_PGM_RSRC2:TGID_Z_EN: 0
; COMPUTE_PGM_RSRC2:TIDIG_COMP_CNT: 0
; COMPUTE_PGM_RSRC3_GFX90A:ACCUM_OFFSET: 0
; COMPUTE_PGM_RSRC3_GFX90A:TG_SPLIT: 0
	.section	.text._ZN7rocprim17ROCPRIM_400000_NS6detail17trampoline_kernelINS0_14default_configENS1_29binary_search_config_selectorIybEEZNS1_14transform_implILb0ES3_S5_N6thrust23THRUST_200600_302600_NS17counting_iteratorIyNS8_11use_defaultESA_SA_EEPbZNS1_13binary_searchIS3_S5_PySB_SC_NS1_16binary_search_opENS8_6detail16wrapped_functionINS0_4lessIvEEbEEEE10hipError_tPvRmT1_T2_T3_mmT4_T5_P12ihipStream_tbEUlRKyE_EESL_SP_SQ_mSR_SU_bEUlT_E_NS1_11comp_targetILNS1_3genE4ELNS1_11target_archE910ELNS1_3gpuE8ELNS1_3repE0EEENS1_30default_config_static_selectorELNS0_4arch9wavefront6targetE1EEEvSO_,"axG",@progbits,_ZN7rocprim17ROCPRIM_400000_NS6detail17trampoline_kernelINS0_14default_configENS1_29binary_search_config_selectorIybEEZNS1_14transform_implILb0ES3_S5_N6thrust23THRUST_200600_302600_NS17counting_iteratorIyNS8_11use_defaultESA_SA_EEPbZNS1_13binary_searchIS3_S5_PySB_SC_NS1_16binary_search_opENS8_6detail16wrapped_functionINS0_4lessIvEEbEEEE10hipError_tPvRmT1_T2_T3_mmT4_T5_P12ihipStream_tbEUlRKyE_EESL_SP_SQ_mSR_SU_bEUlT_E_NS1_11comp_targetILNS1_3genE4ELNS1_11target_archE910ELNS1_3gpuE8ELNS1_3repE0EEENS1_30default_config_static_selectorELNS0_4arch9wavefront6targetE1EEEvSO_,comdat
	.protected	_ZN7rocprim17ROCPRIM_400000_NS6detail17trampoline_kernelINS0_14default_configENS1_29binary_search_config_selectorIybEEZNS1_14transform_implILb0ES3_S5_N6thrust23THRUST_200600_302600_NS17counting_iteratorIyNS8_11use_defaultESA_SA_EEPbZNS1_13binary_searchIS3_S5_PySB_SC_NS1_16binary_search_opENS8_6detail16wrapped_functionINS0_4lessIvEEbEEEE10hipError_tPvRmT1_T2_T3_mmT4_T5_P12ihipStream_tbEUlRKyE_EESL_SP_SQ_mSR_SU_bEUlT_E_NS1_11comp_targetILNS1_3genE4ELNS1_11target_archE910ELNS1_3gpuE8ELNS1_3repE0EEENS1_30default_config_static_selectorELNS0_4arch9wavefront6targetE1EEEvSO_ ; -- Begin function _ZN7rocprim17ROCPRIM_400000_NS6detail17trampoline_kernelINS0_14default_configENS1_29binary_search_config_selectorIybEEZNS1_14transform_implILb0ES3_S5_N6thrust23THRUST_200600_302600_NS17counting_iteratorIyNS8_11use_defaultESA_SA_EEPbZNS1_13binary_searchIS3_S5_PySB_SC_NS1_16binary_search_opENS8_6detail16wrapped_functionINS0_4lessIvEEbEEEE10hipError_tPvRmT1_T2_T3_mmT4_T5_P12ihipStream_tbEUlRKyE_EESL_SP_SQ_mSR_SU_bEUlT_E_NS1_11comp_targetILNS1_3genE4ELNS1_11target_archE910ELNS1_3gpuE8ELNS1_3repE0EEENS1_30default_config_static_selectorELNS0_4arch9wavefront6targetE1EEEvSO_
	.globl	_ZN7rocprim17ROCPRIM_400000_NS6detail17trampoline_kernelINS0_14default_configENS1_29binary_search_config_selectorIybEEZNS1_14transform_implILb0ES3_S5_N6thrust23THRUST_200600_302600_NS17counting_iteratorIyNS8_11use_defaultESA_SA_EEPbZNS1_13binary_searchIS3_S5_PySB_SC_NS1_16binary_search_opENS8_6detail16wrapped_functionINS0_4lessIvEEbEEEE10hipError_tPvRmT1_T2_T3_mmT4_T5_P12ihipStream_tbEUlRKyE_EESL_SP_SQ_mSR_SU_bEUlT_E_NS1_11comp_targetILNS1_3genE4ELNS1_11target_archE910ELNS1_3gpuE8ELNS1_3repE0EEENS1_30default_config_static_selectorELNS0_4arch9wavefront6targetE1EEEvSO_
	.p2align	8
	.type	_ZN7rocprim17ROCPRIM_400000_NS6detail17trampoline_kernelINS0_14default_configENS1_29binary_search_config_selectorIybEEZNS1_14transform_implILb0ES3_S5_N6thrust23THRUST_200600_302600_NS17counting_iteratorIyNS8_11use_defaultESA_SA_EEPbZNS1_13binary_searchIS3_S5_PySB_SC_NS1_16binary_search_opENS8_6detail16wrapped_functionINS0_4lessIvEEbEEEE10hipError_tPvRmT1_T2_T3_mmT4_T5_P12ihipStream_tbEUlRKyE_EESL_SP_SQ_mSR_SU_bEUlT_E_NS1_11comp_targetILNS1_3genE4ELNS1_11target_archE910ELNS1_3gpuE8ELNS1_3repE0EEENS1_30default_config_static_selectorELNS0_4arch9wavefront6targetE1EEEvSO_,@function
_ZN7rocprim17ROCPRIM_400000_NS6detail17trampoline_kernelINS0_14default_configENS1_29binary_search_config_selectorIybEEZNS1_14transform_implILb0ES3_S5_N6thrust23THRUST_200600_302600_NS17counting_iteratorIyNS8_11use_defaultESA_SA_EEPbZNS1_13binary_searchIS3_S5_PySB_SC_NS1_16binary_search_opENS8_6detail16wrapped_functionINS0_4lessIvEEbEEEE10hipError_tPvRmT1_T2_T3_mmT4_T5_P12ihipStream_tbEUlRKyE_EESL_SP_SQ_mSR_SU_bEUlT_E_NS1_11comp_targetILNS1_3genE4ELNS1_11target_archE910ELNS1_3gpuE8ELNS1_3repE0EEENS1_30default_config_static_selectorELNS0_4arch9wavefront6targetE1EEEvSO_: ; @_ZN7rocprim17ROCPRIM_400000_NS6detail17trampoline_kernelINS0_14default_configENS1_29binary_search_config_selectorIybEEZNS1_14transform_implILb0ES3_S5_N6thrust23THRUST_200600_302600_NS17counting_iteratorIyNS8_11use_defaultESA_SA_EEPbZNS1_13binary_searchIS3_S5_PySB_SC_NS1_16binary_search_opENS8_6detail16wrapped_functionINS0_4lessIvEEbEEEE10hipError_tPvRmT1_T2_T3_mmT4_T5_P12ihipStream_tbEUlRKyE_EESL_SP_SQ_mSR_SU_bEUlT_E_NS1_11comp_targetILNS1_3genE4ELNS1_11target_archE910ELNS1_3gpuE8ELNS1_3repE0EEENS1_30default_config_static_selectorELNS0_4arch9wavefront6targetE1EEEvSO_
; %bb.0:
	s_load_dwordx4 s[0:3], s[4:5], 0x0
	s_load_dwordx2 s[12:13], s[4:5], 0x28
	s_load_dword s7, s[4:5], 0x38
	s_load_dwordx4 s[8:11], s[4:5], 0x18
	s_waitcnt lgkmcnt(0)
	s_add_u32 s17, s2, s0
	s_addc_u32 s18, s3, s1
	s_lshl_b32 s16, s6, 6
	s_add_i32 s7, s7, -1
	s_cmp_lg_u32 s6, s7
	s_cbranch_scc0 .LBB192_8
; %bb.1:
	s_add_u32 s0, s17, s16
	s_addc_u32 s1, s18, 0
	v_mov_b32_e32 v1, s1
	v_add_co_u32_e32 v4, vcc, s0, v0
	v_mov_b32_e32 v3, 0
	v_addc_co_u32_e32 v5, vcc, 0, v1, vcc
	s_mov_b64 s[0:1], 0
	s_cmp_eq_u64 s[12:13], 0
	v_pk_mov_b32 v[6:7], 0, 0
	s_cbranch_scc1 .LBB192_5
; %bb.2:
	v_pk_mov_b32 v[6:7], 0, 0
	v_pk_mov_b32 v[8:9], s[12:13], s[12:13] op_sel:[0,1]
	v_mov_b32_e32 v1, s11
.LBB192_3:                              ; =>This Inner Loop Header: Depth=1
	v_sub_co_u32_e32 v10, vcc, v8, v6
	v_subb_co_u32_e32 v11, vcc, v9, v7, vcc
	v_lshrrev_b64 v[12:13], 1, v[10:11]
	v_add_co_u32_e32 v2, vcc, v12, v6
	v_lshrrev_b64 v[10:11], 6, v[10:11]
	v_addc_co_u32_e32 v12, vcc, v13, v7, vcc
	v_add_co_u32_e32 v10, vcc, v2, v10
	v_addc_co_u32_e32 v11, vcc, v12, v11, vcc
	v_lshlrev_b64 v[12:13], 3, v[10:11]
	v_add_co_u32_e32 v12, vcc, s10, v12
	v_addc_co_u32_e32 v13, vcc, v1, v13, vcc
	global_load_dwordx2 v[12:13], v[12:13], off
	v_add_co_u32_e32 v2, vcc, 1, v10
	v_addc_co_u32_e32 v14, vcc, 0, v11, vcc
	s_waitcnt vmcnt(0)
	v_cmp_lt_u64_e32 vcc, v[12:13], v[4:5]
	v_cndmask_b32_e32 v9, v11, v9, vcc
	v_cndmask_b32_e32 v8, v10, v8, vcc
	;; [unrolled: 1-line block ×4, first 2 shown]
	v_cmp_ge_u64_e32 vcc, v[6:7], v[8:9]
	s_or_b64 s[0:1], vcc, s[0:1]
	s_andn2_b64 exec, exec, s[0:1]
	s_cbranch_execnz .LBB192_3
; %bb.4:
	s_or_b64 exec, exec, s[0:1]
.LBB192_5:
	v_cmp_ne_u64_e32 vcc, s[12:13], v[6:7]
	s_mov_b64 s[6:7], 0
	s_mov_b64 s[14:15], 0
	s_and_saveexec_b64 s[0:1], vcc
	s_cbranch_execz .LBB192_7
; %bb.6:
	v_lshlrev_b64 v[6:7], 3, v[6:7]
	v_mov_b32_e32 v1, s11
	v_add_co_u32_e32 v6, vcc, s10, v6
	v_addc_co_u32_e32 v7, vcc, v1, v7, vcc
	global_load_dwordx2 v[6:7], v[6:7], off
	s_waitcnt vmcnt(0)
	v_cmp_le_u64_e32 vcc, v[6:7], v[4:5]
	s_and_b64 s[14:15], vcc, exec
.LBB192_7:
	s_or_b64 exec, exec, s[0:1]
	v_cndmask_b32_e64 v1, 0, 1, s[14:15]
	s_mov_b64 s[0:1], -1
	s_and_b64 vcc, exec, s[6:7]
	s_cbranch_vccnz .LBB192_9
	s_branch .LBB192_18
.LBB192_8:
	s_mov_b64 s[0:1], 0
                                        ; implicit-def: $vgpr1
                                        ; implicit-def: $vgpr2_vgpr3
	s_cbranch_execz .LBB192_18
.LBB192_9:
	s_load_dword s0, s[4:5], 0x10
	v_mov_b32_e32 v3, 0
                                        ; implicit-def: $vgpr1
	s_waitcnt lgkmcnt(0)
	s_sub_i32 s0, s0, s16
	v_cmp_gt_u32_e64 s[0:1], s0, v0
	s_and_saveexec_b64 s[4:5], s[0:1]
	s_cbranch_execz .LBB192_17
; %bb.10:
	s_add_u32 s6, s17, s16
	s_addc_u32 s7, s18, 0
	v_mov_b32_e32 v1, s7
	v_add_co_u32_e32 v4, vcc, s6, v0
	v_addc_co_u32_e32 v5, vcc, 0, v1, vcc
	s_mov_b64 s[6:7], 0
	s_cmp_eq_u64 s[12:13], 0
	v_pk_mov_b32 v[6:7], 0, 0
	s_cbranch_scc1 .LBB192_14
; %bb.11:
	v_pk_mov_b32 v[6:7], 0, 0
	v_pk_mov_b32 v[8:9], s[12:13], s[12:13] op_sel:[0,1]
	v_mov_b32_e32 v1, s11
.LBB192_12:                             ; =>This Inner Loop Header: Depth=1
	v_sub_co_u32_e32 v10, vcc, v8, v6
	v_subb_co_u32_e32 v11, vcc, v9, v7, vcc
	v_lshrrev_b64 v[12:13], 1, v[10:11]
	v_add_co_u32_e32 v2, vcc, v12, v6
	v_lshrrev_b64 v[10:11], 6, v[10:11]
	v_addc_co_u32_e32 v12, vcc, v13, v7, vcc
	v_add_co_u32_e32 v10, vcc, v2, v10
	v_addc_co_u32_e32 v11, vcc, v12, v11, vcc
	v_lshlrev_b64 v[12:13], 3, v[10:11]
	v_add_co_u32_e32 v12, vcc, s10, v12
	v_addc_co_u32_e32 v13, vcc, v1, v13, vcc
	global_load_dwordx2 v[12:13], v[12:13], off
	v_add_co_u32_e32 v2, vcc, 1, v10
	v_addc_co_u32_e32 v14, vcc, 0, v11, vcc
	s_waitcnt vmcnt(0)
	v_cmp_lt_u64_e32 vcc, v[12:13], v[4:5]
	v_cndmask_b32_e32 v9, v11, v9, vcc
	v_cndmask_b32_e32 v8, v10, v8, vcc
	;; [unrolled: 1-line block ×4, first 2 shown]
	v_cmp_ge_u64_e32 vcc, v[6:7], v[8:9]
	s_or_b64 s[6:7], vcc, s[6:7]
	s_andn2_b64 exec, exec, s[6:7]
	s_cbranch_execnz .LBB192_12
; %bb.13:
	s_or_b64 exec, exec, s[6:7]
.LBB192_14:
	v_cmp_ne_u64_e32 vcc, s[12:13], v[6:7]
	s_mov_b64 s[12:13], 0
	s_and_saveexec_b64 s[6:7], vcc
	s_cbranch_execz .LBB192_16
; %bb.15:
	v_lshlrev_b64 v[6:7], 3, v[6:7]
	v_mov_b32_e32 v1, s11
	v_add_co_u32_e32 v6, vcc, s10, v6
	v_addc_co_u32_e32 v7, vcc, v1, v7, vcc
	global_load_dwordx2 v[6:7], v[6:7], off
	s_waitcnt vmcnt(0)
	v_cmp_le_u64_e32 vcc, v[6:7], v[4:5]
	s_and_b64 s[12:13], vcc, exec
.LBB192_16:
	s_or_b64 exec, exec, s[6:7]
	v_cndmask_b32_e64 v1, 0, 1, s[12:13]
.LBB192_17:
	s_or_b64 exec, exec, s[4:5]
.LBB192_18:
	s_and_saveexec_b64 s[4:5], s[0:1]
	s_cbranch_execz .LBB192_20
; %bb.19:
	s_add_u32 s0, s8, s2
	s_addc_u32 s1, s9, s3
	s_add_u32 s0, s0, s16
	s_addc_u32 s1, s1, 0
	v_mov_b32_e32 v4, s1
	v_add_co_u32_e32 v2, vcc, s0, v0
	v_addc_co_u32_e32 v3, vcc, v4, v3, vcc
	global_store_byte v[2:3], v1, off
.LBB192_20:
	s_endpgm
	.section	.rodata,"a",@progbits
	.p2align	6, 0x0
	.amdhsa_kernel _ZN7rocprim17ROCPRIM_400000_NS6detail17trampoline_kernelINS0_14default_configENS1_29binary_search_config_selectorIybEEZNS1_14transform_implILb0ES3_S5_N6thrust23THRUST_200600_302600_NS17counting_iteratorIyNS8_11use_defaultESA_SA_EEPbZNS1_13binary_searchIS3_S5_PySB_SC_NS1_16binary_search_opENS8_6detail16wrapped_functionINS0_4lessIvEEbEEEE10hipError_tPvRmT1_T2_T3_mmT4_T5_P12ihipStream_tbEUlRKyE_EESL_SP_SQ_mSR_SU_bEUlT_E_NS1_11comp_targetILNS1_3genE4ELNS1_11target_archE910ELNS1_3gpuE8ELNS1_3repE0EEENS1_30default_config_static_selectorELNS0_4arch9wavefront6targetE1EEEvSO_
		.amdhsa_group_segment_fixed_size 0
		.amdhsa_private_segment_fixed_size 0
		.amdhsa_kernarg_size 312
		.amdhsa_user_sgpr_count 6
		.amdhsa_user_sgpr_private_segment_buffer 1
		.amdhsa_user_sgpr_dispatch_ptr 0
		.amdhsa_user_sgpr_queue_ptr 0
		.amdhsa_user_sgpr_kernarg_segment_ptr 1
		.amdhsa_user_sgpr_dispatch_id 0
		.amdhsa_user_sgpr_flat_scratch_init 0
		.amdhsa_user_sgpr_kernarg_preload_length 0
		.amdhsa_user_sgpr_kernarg_preload_offset 0
		.amdhsa_user_sgpr_private_segment_size 0
		.amdhsa_uses_dynamic_stack 0
		.amdhsa_system_sgpr_private_segment_wavefront_offset 0
		.amdhsa_system_sgpr_workgroup_id_x 1
		.amdhsa_system_sgpr_workgroup_id_y 0
		.amdhsa_system_sgpr_workgroup_id_z 0
		.amdhsa_system_sgpr_workgroup_info 0
		.amdhsa_system_vgpr_workitem_id 0
		.amdhsa_next_free_vgpr 15
		.amdhsa_next_free_sgpr 19
		.amdhsa_accum_offset 16
		.amdhsa_reserve_vcc 1
		.amdhsa_reserve_flat_scratch 0
		.amdhsa_float_round_mode_32 0
		.amdhsa_float_round_mode_16_64 0
		.amdhsa_float_denorm_mode_32 3
		.amdhsa_float_denorm_mode_16_64 3
		.amdhsa_dx10_clamp 1
		.amdhsa_ieee_mode 1
		.amdhsa_fp16_overflow 0
		.amdhsa_tg_split 0
		.amdhsa_exception_fp_ieee_invalid_op 0
		.amdhsa_exception_fp_denorm_src 0
		.amdhsa_exception_fp_ieee_div_zero 0
		.amdhsa_exception_fp_ieee_overflow 0
		.amdhsa_exception_fp_ieee_underflow 0
		.amdhsa_exception_fp_ieee_inexact 0
		.amdhsa_exception_int_div_zero 0
	.end_amdhsa_kernel
	.section	.text._ZN7rocprim17ROCPRIM_400000_NS6detail17trampoline_kernelINS0_14default_configENS1_29binary_search_config_selectorIybEEZNS1_14transform_implILb0ES3_S5_N6thrust23THRUST_200600_302600_NS17counting_iteratorIyNS8_11use_defaultESA_SA_EEPbZNS1_13binary_searchIS3_S5_PySB_SC_NS1_16binary_search_opENS8_6detail16wrapped_functionINS0_4lessIvEEbEEEE10hipError_tPvRmT1_T2_T3_mmT4_T5_P12ihipStream_tbEUlRKyE_EESL_SP_SQ_mSR_SU_bEUlT_E_NS1_11comp_targetILNS1_3genE4ELNS1_11target_archE910ELNS1_3gpuE8ELNS1_3repE0EEENS1_30default_config_static_selectorELNS0_4arch9wavefront6targetE1EEEvSO_,"axG",@progbits,_ZN7rocprim17ROCPRIM_400000_NS6detail17trampoline_kernelINS0_14default_configENS1_29binary_search_config_selectorIybEEZNS1_14transform_implILb0ES3_S5_N6thrust23THRUST_200600_302600_NS17counting_iteratorIyNS8_11use_defaultESA_SA_EEPbZNS1_13binary_searchIS3_S5_PySB_SC_NS1_16binary_search_opENS8_6detail16wrapped_functionINS0_4lessIvEEbEEEE10hipError_tPvRmT1_T2_T3_mmT4_T5_P12ihipStream_tbEUlRKyE_EESL_SP_SQ_mSR_SU_bEUlT_E_NS1_11comp_targetILNS1_3genE4ELNS1_11target_archE910ELNS1_3gpuE8ELNS1_3repE0EEENS1_30default_config_static_selectorELNS0_4arch9wavefront6targetE1EEEvSO_,comdat
.Lfunc_end192:
	.size	_ZN7rocprim17ROCPRIM_400000_NS6detail17trampoline_kernelINS0_14default_configENS1_29binary_search_config_selectorIybEEZNS1_14transform_implILb0ES3_S5_N6thrust23THRUST_200600_302600_NS17counting_iteratorIyNS8_11use_defaultESA_SA_EEPbZNS1_13binary_searchIS3_S5_PySB_SC_NS1_16binary_search_opENS8_6detail16wrapped_functionINS0_4lessIvEEbEEEE10hipError_tPvRmT1_T2_T3_mmT4_T5_P12ihipStream_tbEUlRKyE_EESL_SP_SQ_mSR_SU_bEUlT_E_NS1_11comp_targetILNS1_3genE4ELNS1_11target_archE910ELNS1_3gpuE8ELNS1_3repE0EEENS1_30default_config_static_selectorELNS0_4arch9wavefront6targetE1EEEvSO_, .Lfunc_end192-_ZN7rocprim17ROCPRIM_400000_NS6detail17trampoline_kernelINS0_14default_configENS1_29binary_search_config_selectorIybEEZNS1_14transform_implILb0ES3_S5_N6thrust23THRUST_200600_302600_NS17counting_iteratorIyNS8_11use_defaultESA_SA_EEPbZNS1_13binary_searchIS3_S5_PySB_SC_NS1_16binary_search_opENS8_6detail16wrapped_functionINS0_4lessIvEEbEEEE10hipError_tPvRmT1_T2_T3_mmT4_T5_P12ihipStream_tbEUlRKyE_EESL_SP_SQ_mSR_SU_bEUlT_E_NS1_11comp_targetILNS1_3genE4ELNS1_11target_archE910ELNS1_3gpuE8ELNS1_3repE0EEENS1_30default_config_static_selectorELNS0_4arch9wavefront6targetE1EEEvSO_
                                        ; -- End function
	.section	.AMDGPU.csdata,"",@progbits
; Kernel info:
; codeLenInByte = 668
; NumSgprs: 23
; NumVgprs: 15
; NumAgprs: 0
; TotalNumVgprs: 15
; ScratchSize: 0
; MemoryBound: 0
; FloatMode: 240
; IeeeMode: 1
; LDSByteSize: 0 bytes/workgroup (compile time only)
; SGPRBlocks: 2
; VGPRBlocks: 1
; NumSGPRsForWavesPerEU: 23
; NumVGPRsForWavesPerEU: 15
; AccumOffset: 16
; Occupancy: 8
; WaveLimiterHint : 0
; COMPUTE_PGM_RSRC2:SCRATCH_EN: 0
; COMPUTE_PGM_RSRC2:USER_SGPR: 6
; COMPUTE_PGM_RSRC2:TRAP_HANDLER: 0
; COMPUTE_PGM_RSRC2:TGID_X_EN: 1
; COMPUTE_PGM_RSRC2:TGID_Y_EN: 0
; COMPUTE_PGM_RSRC2:TGID_Z_EN: 0
; COMPUTE_PGM_RSRC2:TIDIG_COMP_CNT: 0
; COMPUTE_PGM_RSRC3_GFX90A:ACCUM_OFFSET: 3
; COMPUTE_PGM_RSRC3_GFX90A:TG_SPLIT: 0
	.section	.text._ZN7rocprim17ROCPRIM_400000_NS6detail17trampoline_kernelINS0_14default_configENS1_29binary_search_config_selectorIybEEZNS1_14transform_implILb0ES3_S5_N6thrust23THRUST_200600_302600_NS17counting_iteratorIyNS8_11use_defaultESA_SA_EEPbZNS1_13binary_searchIS3_S5_PySB_SC_NS1_16binary_search_opENS8_6detail16wrapped_functionINS0_4lessIvEEbEEEE10hipError_tPvRmT1_T2_T3_mmT4_T5_P12ihipStream_tbEUlRKyE_EESL_SP_SQ_mSR_SU_bEUlT_E_NS1_11comp_targetILNS1_3genE3ELNS1_11target_archE908ELNS1_3gpuE7ELNS1_3repE0EEENS1_30default_config_static_selectorELNS0_4arch9wavefront6targetE1EEEvSO_,"axG",@progbits,_ZN7rocprim17ROCPRIM_400000_NS6detail17trampoline_kernelINS0_14default_configENS1_29binary_search_config_selectorIybEEZNS1_14transform_implILb0ES3_S5_N6thrust23THRUST_200600_302600_NS17counting_iteratorIyNS8_11use_defaultESA_SA_EEPbZNS1_13binary_searchIS3_S5_PySB_SC_NS1_16binary_search_opENS8_6detail16wrapped_functionINS0_4lessIvEEbEEEE10hipError_tPvRmT1_T2_T3_mmT4_T5_P12ihipStream_tbEUlRKyE_EESL_SP_SQ_mSR_SU_bEUlT_E_NS1_11comp_targetILNS1_3genE3ELNS1_11target_archE908ELNS1_3gpuE7ELNS1_3repE0EEENS1_30default_config_static_selectorELNS0_4arch9wavefront6targetE1EEEvSO_,comdat
	.protected	_ZN7rocprim17ROCPRIM_400000_NS6detail17trampoline_kernelINS0_14default_configENS1_29binary_search_config_selectorIybEEZNS1_14transform_implILb0ES3_S5_N6thrust23THRUST_200600_302600_NS17counting_iteratorIyNS8_11use_defaultESA_SA_EEPbZNS1_13binary_searchIS3_S5_PySB_SC_NS1_16binary_search_opENS8_6detail16wrapped_functionINS0_4lessIvEEbEEEE10hipError_tPvRmT1_T2_T3_mmT4_T5_P12ihipStream_tbEUlRKyE_EESL_SP_SQ_mSR_SU_bEUlT_E_NS1_11comp_targetILNS1_3genE3ELNS1_11target_archE908ELNS1_3gpuE7ELNS1_3repE0EEENS1_30default_config_static_selectorELNS0_4arch9wavefront6targetE1EEEvSO_ ; -- Begin function _ZN7rocprim17ROCPRIM_400000_NS6detail17trampoline_kernelINS0_14default_configENS1_29binary_search_config_selectorIybEEZNS1_14transform_implILb0ES3_S5_N6thrust23THRUST_200600_302600_NS17counting_iteratorIyNS8_11use_defaultESA_SA_EEPbZNS1_13binary_searchIS3_S5_PySB_SC_NS1_16binary_search_opENS8_6detail16wrapped_functionINS0_4lessIvEEbEEEE10hipError_tPvRmT1_T2_T3_mmT4_T5_P12ihipStream_tbEUlRKyE_EESL_SP_SQ_mSR_SU_bEUlT_E_NS1_11comp_targetILNS1_3genE3ELNS1_11target_archE908ELNS1_3gpuE7ELNS1_3repE0EEENS1_30default_config_static_selectorELNS0_4arch9wavefront6targetE1EEEvSO_
	.globl	_ZN7rocprim17ROCPRIM_400000_NS6detail17trampoline_kernelINS0_14default_configENS1_29binary_search_config_selectorIybEEZNS1_14transform_implILb0ES3_S5_N6thrust23THRUST_200600_302600_NS17counting_iteratorIyNS8_11use_defaultESA_SA_EEPbZNS1_13binary_searchIS3_S5_PySB_SC_NS1_16binary_search_opENS8_6detail16wrapped_functionINS0_4lessIvEEbEEEE10hipError_tPvRmT1_T2_T3_mmT4_T5_P12ihipStream_tbEUlRKyE_EESL_SP_SQ_mSR_SU_bEUlT_E_NS1_11comp_targetILNS1_3genE3ELNS1_11target_archE908ELNS1_3gpuE7ELNS1_3repE0EEENS1_30default_config_static_selectorELNS0_4arch9wavefront6targetE1EEEvSO_
	.p2align	8
	.type	_ZN7rocprim17ROCPRIM_400000_NS6detail17trampoline_kernelINS0_14default_configENS1_29binary_search_config_selectorIybEEZNS1_14transform_implILb0ES3_S5_N6thrust23THRUST_200600_302600_NS17counting_iteratorIyNS8_11use_defaultESA_SA_EEPbZNS1_13binary_searchIS3_S5_PySB_SC_NS1_16binary_search_opENS8_6detail16wrapped_functionINS0_4lessIvEEbEEEE10hipError_tPvRmT1_T2_T3_mmT4_T5_P12ihipStream_tbEUlRKyE_EESL_SP_SQ_mSR_SU_bEUlT_E_NS1_11comp_targetILNS1_3genE3ELNS1_11target_archE908ELNS1_3gpuE7ELNS1_3repE0EEENS1_30default_config_static_selectorELNS0_4arch9wavefront6targetE1EEEvSO_,@function
_ZN7rocprim17ROCPRIM_400000_NS6detail17trampoline_kernelINS0_14default_configENS1_29binary_search_config_selectorIybEEZNS1_14transform_implILb0ES3_S5_N6thrust23THRUST_200600_302600_NS17counting_iteratorIyNS8_11use_defaultESA_SA_EEPbZNS1_13binary_searchIS3_S5_PySB_SC_NS1_16binary_search_opENS8_6detail16wrapped_functionINS0_4lessIvEEbEEEE10hipError_tPvRmT1_T2_T3_mmT4_T5_P12ihipStream_tbEUlRKyE_EESL_SP_SQ_mSR_SU_bEUlT_E_NS1_11comp_targetILNS1_3genE3ELNS1_11target_archE908ELNS1_3gpuE7ELNS1_3repE0EEENS1_30default_config_static_selectorELNS0_4arch9wavefront6targetE1EEEvSO_: ; @_ZN7rocprim17ROCPRIM_400000_NS6detail17trampoline_kernelINS0_14default_configENS1_29binary_search_config_selectorIybEEZNS1_14transform_implILb0ES3_S5_N6thrust23THRUST_200600_302600_NS17counting_iteratorIyNS8_11use_defaultESA_SA_EEPbZNS1_13binary_searchIS3_S5_PySB_SC_NS1_16binary_search_opENS8_6detail16wrapped_functionINS0_4lessIvEEbEEEE10hipError_tPvRmT1_T2_T3_mmT4_T5_P12ihipStream_tbEUlRKyE_EESL_SP_SQ_mSR_SU_bEUlT_E_NS1_11comp_targetILNS1_3genE3ELNS1_11target_archE908ELNS1_3gpuE7ELNS1_3repE0EEENS1_30default_config_static_selectorELNS0_4arch9wavefront6targetE1EEEvSO_
; %bb.0:
	.section	.rodata,"a",@progbits
	.p2align	6, 0x0
	.amdhsa_kernel _ZN7rocprim17ROCPRIM_400000_NS6detail17trampoline_kernelINS0_14default_configENS1_29binary_search_config_selectorIybEEZNS1_14transform_implILb0ES3_S5_N6thrust23THRUST_200600_302600_NS17counting_iteratorIyNS8_11use_defaultESA_SA_EEPbZNS1_13binary_searchIS3_S5_PySB_SC_NS1_16binary_search_opENS8_6detail16wrapped_functionINS0_4lessIvEEbEEEE10hipError_tPvRmT1_T2_T3_mmT4_T5_P12ihipStream_tbEUlRKyE_EESL_SP_SQ_mSR_SU_bEUlT_E_NS1_11comp_targetILNS1_3genE3ELNS1_11target_archE908ELNS1_3gpuE7ELNS1_3repE0EEENS1_30default_config_static_selectorELNS0_4arch9wavefront6targetE1EEEvSO_
		.amdhsa_group_segment_fixed_size 0
		.amdhsa_private_segment_fixed_size 0
		.amdhsa_kernarg_size 56
		.amdhsa_user_sgpr_count 6
		.amdhsa_user_sgpr_private_segment_buffer 1
		.amdhsa_user_sgpr_dispatch_ptr 0
		.amdhsa_user_sgpr_queue_ptr 0
		.amdhsa_user_sgpr_kernarg_segment_ptr 1
		.amdhsa_user_sgpr_dispatch_id 0
		.amdhsa_user_sgpr_flat_scratch_init 0
		.amdhsa_user_sgpr_kernarg_preload_length 0
		.amdhsa_user_sgpr_kernarg_preload_offset 0
		.amdhsa_user_sgpr_private_segment_size 0
		.amdhsa_uses_dynamic_stack 0
		.amdhsa_system_sgpr_private_segment_wavefront_offset 0
		.amdhsa_system_sgpr_workgroup_id_x 1
		.amdhsa_system_sgpr_workgroup_id_y 0
		.amdhsa_system_sgpr_workgroup_id_z 0
		.amdhsa_system_sgpr_workgroup_info 0
		.amdhsa_system_vgpr_workitem_id 0
		.amdhsa_next_free_vgpr 1
		.amdhsa_next_free_sgpr 0
		.amdhsa_accum_offset 4
		.amdhsa_reserve_vcc 0
		.amdhsa_reserve_flat_scratch 0
		.amdhsa_float_round_mode_32 0
		.amdhsa_float_round_mode_16_64 0
		.amdhsa_float_denorm_mode_32 3
		.amdhsa_float_denorm_mode_16_64 3
		.amdhsa_dx10_clamp 1
		.amdhsa_ieee_mode 1
		.amdhsa_fp16_overflow 0
		.amdhsa_tg_split 0
		.amdhsa_exception_fp_ieee_invalid_op 0
		.amdhsa_exception_fp_denorm_src 0
		.amdhsa_exception_fp_ieee_div_zero 0
		.amdhsa_exception_fp_ieee_overflow 0
		.amdhsa_exception_fp_ieee_underflow 0
		.amdhsa_exception_fp_ieee_inexact 0
		.amdhsa_exception_int_div_zero 0
	.end_amdhsa_kernel
	.section	.text._ZN7rocprim17ROCPRIM_400000_NS6detail17trampoline_kernelINS0_14default_configENS1_29binary_search_config_selectorIybEEZNS1_14transform_implILb0ES3_S5_N6thrust23THRUST_200600_302600_NS17counting_iteratorIyNS8_11use_defaultESA_SA_EEPbZNS1_13binary_searchIS3_S5_PySB_SC_NS1_16binary_search_opENS8_6detail16wrapped_functionINS0_4lessIvEEbEEEE10hipError_tPvRmT1_T2_T3_mmT4_T5_P12ihipStream_tbEUlRKyE_EESL_SP_SQ_mSR_SU_bEUlT_E_NS1_11comp_targetILNS1_3genE3ELNS1_11target_archE908ELNS1_3gpuE7ELNS1_3repE0EEENS1_30default_config_static_selectorELNS0_4arch9wavefront6targetE1EEEvSO_,"axG",@progbits,_ZN7rocprim17ROCPRIM_400000_NS6detail17trampoline_kernelINS0_14default_configENS1_29binary_search_config_selectorIybEEZNS1_14transform_implILb0ES3_S5_N6thrust23THRUST_200600_302600_NS17counting_iteratorIyNS8_11use_defaultESA_SA_EEPbZNS1_13binary_searchIS3_S5_PySB_SC_NS1_16binary_search_opENS8_6detail16wrapped_functionINS0_4lessIvEEbEEEE10hipError_tPvRmT1_T2_T3_mmT4_T5_P12ihipStream_tbEUlRKyE_EESL_SP_SQ_mSR_SU_bEUlT_E_NS1_11comp_targetILNS1_3genE3ELNS1_11target_archE908ELNS1_3gpuE7ELNS1_3repE0EEENS1_30default_config_static_selectorELNS0_4arch9wavefront6targetE1EEEvSO_,comdat
.Lfunc_end193:
	.size	_ZN7rocprim17ROCPRIM_400000_NS6detail17trampoline_kernelINS0_14default_configENS1_29binary_search_config_selectorIybEEZNS1_14transform_implILb0ES3_S5_N6thrust23THRUST_200600_302600_NS17counting_iteratorIyNS8_11use_defaultESA_SA_EEPbZNS1_13binary_searchIS3_S5_PySB_SC_NS1_16binary_search_opENS8_6detail16wrapped_functionINS0_4lessIvEEbEEEE10hipError_tPvRmT1_T2_T3_mmT4_T5_P12ihipStream_tbEUlRKyE_EESL_SP_SQ_mSR_SU_bEUlT_E_NS1_11comp_targetILNS1_3genE3ELNS1_11target_archE908ELNS1_3gpuE7ELNS1_3repE0EEENS1_30default_config_static_selectorELNS0_4arch9wavefront6targetE1EEEvSO_, .Lfunc_end193-_ZN7rocprim17ROCPRIM_400000_NS6detail17trampoline_kernelINS0_14default_configENS1_29binary_search_config_selectorIybEEZNS1_14transform_implILb0ES3_S5_N6thrust23THRUST_200600_302600_NS17counting_iteratorIyNS8_11use_defaultESA_SA_EEPbZNS1_13binary_searchIS3_S5_PySB_SC_NS1_16binary_search_opENS8_6detail16wrapped_functionINS0_4lessIvEEbEEEE10hipError_tPvRmT1_T2_T3_mmT4_T5_P12ihipStream_tbEUlRKyE_EESL_SP_SQ_mSR_SU_bEUlT_E_NS1_11comp_targetILNS1_3genE3ELNS1_11target_archE908ELNS1_3gpuE7ELNS1_3repE0EEENS1_30default_config_static_selectorELNS0_4arch9wavefront6targetE1EEEvSO_
                                        ; -- End function
	.section	.AMDGPU.csdata,"",@progbits
; Kernel info:
; codeLenInByte = 0
; NumSgprs: 4
; NumVgprs: 0
; NumAgprs: 0
; TotalNumVgprs: 0
; ScratchSize: 0
; MemoryBound: 0
; FloatMode: 240
; IeeeMode: 1
; LDSByteSize: 0 bytes/workgroup (compile time only)
; SGPRBlocks: 0
; VGPRBlocks: 0
; NumSGPRsForWavesPerEU: 4
; NumVGPRsForWavesPerEU: 1
; AccumOffset: 4
; Occupancy: 8
; WaveLimiterHint : 0
; COMPUTE_PGM_RSRC2:SCRATCH_EN: 0
; COMPUTE_PGM_RSRC2:USER_SGPR: 6
; COMPUTE_PGM_RSRC2:TRAP_HANDLER: 0
; COMPUTE_PGM_RSRC2:TGID_X_EN: 1
; COMPUTE_PGM_RSRC2:TGID_Y_EN: 0
; COMPUTE_PGM_RSRC2:TGID_Z_EN: 0
; COMPUTE_PGM_RSRC2:TIDIG_COMP_CNT: 0
; COMPUTE_PGM_RSRC3_GFX90A:ACCUM_OFFSET: 0
; COMPUTE_PGM_RSRC3_GFX90A:TG_SPLIT: 0
	.section	.text._ZN7rocprim17ROCPRIM_400000_NS6detail17trampoline_kernelINS0_14default_configENS1_29binary_search_config_selectorIybEEZNS1_14transform_implILb0ES3_S5_N6thrust23THRUST_200600_302600_NS17counting_iteratorIyNS8_11use_defaultESA_SA_EEPbZNS1_13binary_searchIS3_S5_PySB_SC_NS1_16binary_search_opENS8_6detail16wrapped_functionINS0_4lessIvEEbEEEE10hipError_tPvRmT1_T2_T3_mmT4_T5_P12ihipStream_tbEUlRKyE_EESL_SP_SQ_mSR_SU_bEUlT_E_NS1_11comp_targetILNS1_3genE2ELNS1_11target_archE906ELNS1_3gpuE6ELNS1_3repE0EEENS1_30default_config_static_selectorELNS0_4arch9wavefront6targetE1EEEvSO_,"axG",@progbits,_ZN7rocprim17ROCPRIM_400000_NS6detail17trampoline_kernelINS0_14default_configENS1_29binary_search_config_selectorIybEEZNS1_14transform_implILb0ES3_S5_N6thrust23THRUST_200600_302600_NS17counting_iteratorIyNS8_11use_defaultESA_SA_EEPbZNS1_13binary_searchIS3_S5_PySB_SC_NS1_16binary_search_opENS8_6detail16wrapped_functionINS0_4lessIvEEbEEEE10hipError_tPvRmT1_T2_T3_mmT4_T5_P12ihipStream_tbEUlRKyE_EESL_SP_SQ_mSR_SU_bEUlT_E_NS1_11comp_targetILNS1_3genE2ELNS1_11target_archE906ELNS1_3gpuE6ELNS1_3repE0EEENS1_30default_config_static_selectorELNS0_4arch9wavefront6targetE1EEEvSO_,comdat
	.protected	_ZN7rocprim17ROCPRIM_400000_NS6detail17trampoline_kernelINS0_14default_configENS1_29binary_search_config_selectorIybEEZNS1_14transform_implILb0ES3_S5_N6thrust23THRUST_200600_302600_NS17counting_iteratorIyNS8_11use_defaultESA_SA_EEPbZNS1_13binary_searchIS3_S5_PySB_SC_NS1_16binary_search_opENS8_6detail16wrapped_functionINS0_4lessIvEEbEEEE10hipError_tPvRmT1_T2_T3_mmT4_T5_P12ihipStream_tbEUlRKyE_EESL_SP_SQ_mSR_SU_bEUlT_E_NS1_11comp_targetILNS1_3genE2ELNS1_11target_archE906ELNS1_3gpuE6ELNS1_3repE0EEENS1_30default_config_static_selectorELNS0_4arch9wavefront6targetE1EEEvSO_ ; -- Begin function _ZN7rocprim17ROCPRIM_400000_NS6detail17trampoline_kernelINS0_14default_configENS1_29binary_search_config_selectorIybEEZNS1_14transform_implILb0ES3_S5_N6thrust23THRUST_200600_302600_NS17counting_iteratorIyNS8_11use_defaultESA_SA_EEPbZNS1_13binary_searchIS3_S5_PySB_SC_NS1_16binary_search_opENS8_6detail16wrapped_functionINS0_4lessIvEEbEEEE10hipError_tPvRmT1_T2_T3_mmT4_T5_P12ihipStream_tbEUlRKyE_EESL_SP_SQ_mSR_SU_bEUlT_E_NS1_11comp_targetILNS1_3genE2ELNS1_11target_archE906ELNS1_3gpuE6ELNS1_3repE0EEENS1_30default_config_static_selectorELNS0_4arch9wavefront6targetE1EEEvSO_
	.globl	_ZN7rocprim17ROCPRIM_400000_NS6detail17trampoline_kernelINS0_14default_configENS1_29binary_search_config_selectorIybEEZNS1_14transform_implILb0ES3_S5_N6thrust23THRUST_200600_302600_NS17counting_iteratorIyNS8_11use_defaultESA_SA_EEPbZNS1_13binary_searchIS3_S5_PySB_SC_NS1_16binary_search_opENS8_6detail16wrapped_functionINS0_4lessIvEEbEEEE10hipError_tPvRmT1_T2_T3_mmT4_T5_P12ihipStream_tbEUlRKyE_EESL_SP_SQ_mSR_SU_bEUlT_E_NS1_11comp_targetILNS1_3genE2ELNS1_11target_archE906ELNS1_3gpuE6ELNS1_3repE0EEENS1_30default_config_static_selectorELNS0_4arch9wavefront6targetE1EEEvSO_
	.p2align	8
	.type	_ZN7rocprim17ROCPRIM_400000_NS6detail17trampoline_kernelINS0_14default_configENS1_29binary_search_config_selectorIybEEZNS1_14transform_implILb0ES3_S5_N6thrust23THRUST_200600_302600_NS17counting_iteratorIyNS8_11use_defaultESA_SA_EEPbZNS1_13binary_searchIS3_S5_PySB_SC_NS1_16binary_search_opENS8_6detail16wrapped_functionINS0_4lessIvEEbEEEE10hipError_tPvRmT1_T2_T3_mmT4_T5_P12ihipStream_tbEUlRKyE_EESL_SP_SQ_mSR_SU_bEUlT_E_NS1_11comp_targetILNS1_3genE2ELNS1_11target_archE906ELNS1_3gpuE6ELNS1_3repE0EEENS1_30default_config_static_selectorELNS0_4arch9wavefront6targetE1EEEvSO_,@function
_ZN7rocprim17ROCPRIM_400000_NS6detail17trampoline_kernelINS0_14default_configENS1_29binary_search_config_selectorIybEEZNS1_14transform_implILb0ES3_S5_N6thrust23THRUST_200600_302600_NS17counting_iteratorIyNS8_11use_defaultESA_SA_EEPbZNS1_13binary_searchIS3_S5_PySB_SC_NS1_16binary_search_opENS8_6detail16wrapped_functionINS0_4lessIvEEbEEEE10hipError_tPvRmT1_T2_T3_mmT4_T5_P12ihipStream_tbEUlRKyE_EESL_SP_SQ_mSR_SU_bEUlT_E_NS1_11comp_targetILNS1_3genE2ELNS1_11target_archE906ELNS1_3gpuE6ELNS1_3repE0EEENS1_30default_config_static_selectorELNS0_4arch9wavefront6targetE1EEEvSO_: ; @_ZN7rocprim17ROCPRIM_400000_NS6detail17trampoline_kernelINS0_14default_configENS1_29binary_search_config_selectorIybEEZNS1_14transform_implILb0ES3_S5_N6thrust23THRUST_200600_302600_NS17counting_iteratorIyNS8_11use_defaultESA_SA_EEPbZNS1_13binary_searchIS3_S5_PySB_SC_NS1_16binary_search_opENS8_6detail16wrapped_functionINS0_4lessIvEEbEEEE10hipError_tPvRmT1_T2_T3_mmT4_T5_P12ihipStream_tbEUlRKyE_EESL_SP_SQ_mSR_SU_bEUlT_E_NS1_11comp_targetILNS1_3genE2ELNS1_11target_archE906ELNS1_3gpuE6ELNS1_3repE0EEENS1_30default_config_static_selectorELNS0_4arch9wavefront6targetE1EEEvSO_
; %bb.0:
	.section	.rodata,"a",@progbits
	.p2align	6, 0x0
	.amdhsa_kernel _ZN7rocprim17ROCPRIM_400000_NS6detail17trampoline_kernelINS0_14default_configENS1_29binary_search_config_selectorIybEEZNS1_14transform_implILb0ES3_S5_N6thrust23THRUST_200600_302600_NS17counting_iteratorIyNS8_11use_defaultESA_SA_EEPbZNS1_13binary_searchIS3_S5_PySB_SC_NS1_16binary_search_opENS8_6detail16wrapped_functionINS0_4lessIvEEbEEEE10hipError_tPvRmT1_T2_T3_mmT4_T5_P12ihipStream_tbEUlRKyE_EESL_SP_SQ_mSR_SU_bEUlT_E_NS1_11comp_targetILNS1_3genE2ELNS1_11target_archE906ELNS1_3gpuE6ELNS1_3repE0EEENS1_30default_config_static_selectorELNS0_4arch9wavefront6targetE1EEEvSO_
		.amdhsa_group_segment_fixed_size 0
		.amdhsa_private_segment_fixed_size 0
		.amdhsa_kernarg_size 56
		.amdhsa_user_sgpr_count 6
		.amdhsa_user_sgpr_private_segment_buffer 1
		.amdhsa_user_sgpr_dispatch_ptr 0
		.amdhsa_user_sgpr_queue_ptr 0
		.amdhsa_user_sgpr_kernarg_segment_ptr 1
		.amdhsa_user_sgpr_dispatch_id 0
		.amdhsa_user_sgpr_flat_scratch_init 0
		.amdhsa_user_sgpr_kernarg_preload_length 0
		.amdhsa_user_sgpr_kernarg_preload_offset 0
		.amdhsa_user_sgpr_private_segment_size 0
		.amdhsa_uses_dynamic_stack 0
		.amdhsa_system_sgpr_private_segment_wavefront_offset 0
		.amdhsa_system_sgpr_workgroup_id_x 1
		.amdhsa_system_sgpr_workgroup_id_y 0
		.amdhsa_system_sgpr_workgroup_id_z 0
		.amdhsa_system_sgpr_workgroup_info 0
		.amdhsa_system_vgpr_workitem_id 0
		.amdhsa_next_free_vgpr 1
		.amdhsa_next_free_sgpr 0
		.amdhsa_accum_offset 4
		.amdhsa_reserve_vcc 0
		.amdhsa_reserve_flat_scratch 0
		.amdhsa_float_round_mode_32 0
		.amdhsa_float_round_mode_16_64 0
		.amdhsa_float_denorm_mode_32 3
		.amdhsa_float_denorm_mode_16_64 3
		.amdhsa_dx10_clamp 1
		.amdhsa_ieee_mode 1
		.amdhsa_fp16_overflow 0
		.amdhsa_tg_split 0
		.amdhsa_exception_fp_ieee_invalid_op 0
		.amdhsa_exception_fp_denorm_src 0
		.amdhsa_exception_fp_ieee_div_zero 0
		.amdhsa_exception_fp_ieee_overflow 0
		.amdhsa_exception_fp_ieee_underflow 0
		.amdhsa_exception_fp_ieee_inexact 0
		.amdhsa_exception_int_div_zero 0
	.end_amdhsa_kernel
	.section	.text._ZN7rocprim17ROCPRIM_400000_NS6detail17trampoline_kernelINS0_14default_configENS1_29binary_search_config_selectorIybEEZNS1_14transform_implILb0ES3_S5_N6thrust23THRUST_200600_302600_NS17counting_iteratorIyNS8_11use_defaultESA_SA_EEPbZNS1_13binary_searchIS3_S5_PySB_SC_NS1_16binary_search_opENS8_6detail16wrapped_functionINS0_4lessIvEEbEEEE10hipError_tPvRmT1_T2_T3_mmT4_T5_P12ihipStream_tbEUlRKyE_EESL_SP_SQ_mSR_SU_bEUlT_E_NS1_11comp_targetILNS1_3genE2ELNS1_11target_archE906ELNS1_3gpuE6ELNS1_3repE0EEENS1_30default_config_static_selectorELNS0_4arch9wavefront6targetE1EEEvSO_,"axG",@progbits,_ZN7rocprim17ROCPRIM_400000_NS6detail17trampoline_kernelINS0_14default_configENS1_29binary_search_config_selectorIybEEZNS1_14transform_implILb0ES3_S5_N6thrust23THRUST_200600_302600_NS17counting_iteratorIyNS8_11use_defaultESA_SA_EEPbZNS1_13binary_searchIS3_S5_PySB_SC_NS1_16binary_search_opENS8_6detail16wrapped_functionINS0_4lessIvEEbEEEE10hipError_tPvRmT1_T2_T3_mmT4_T5_P12ihipStream_tbEUlRKyE_EESL_SP_SQ_mSR_SU_bEUlT_E_NS1_11comp_targetILNS1_3genE2ELNS1_11target_archE906ELNS1_3gpuE6ELNS1_3repE0EEENS1_30default_config_static_selectorELNS0_4arch9wavefront6targetE1EEEvSO_,comdat
.Lfunc_end194:
	.size	_ZN7rocprim17ROCPRIM_400000_NS6detail17trampoline_kernelINS0_14default_configENS1_29binary_search_config_selectorIybEEZNS1_14transform_implILb0ES3_S5_N6thrust23THRUST_200600_302600_NS17counting_iteratorIyNS8_11use_defaultESA_SA_EEPbZNS1_13binary_searchIS3_S5_PySB_SC_NS1_16binary_search_opENS8_6detail16wrapped_functionINS0_4lessIvEEbEEEE10hipError_tPvRmT1_T2_T3_mmT4_T5_P12ihipStream_tbEUlRKyE_EESL_SP_SQ_mSR_SU_bEUlT_E_NS1_11comp_targetILNS1_3genE2ELNS1_11target_archE906ELNS1_3gpuE6ELNS1_3repE0EEENS1_30default_config_static_selectorELNS0_4arch9wavefront6targetE1EEEvSO_, .Lfunc_end194-_ZN7rocprim17ROCPRIM_400000_NS6detail17trampoline_kernelINS0_14default_configENS1_29binary_search_config_selectorIybEEZNS1_14transform_implILb0ES3_S5_N6thrust23THRUST_200600_302600_NS17counting_iteratorIyNS8_11use_defaultESA_SA_EEPbZNS1_13binary_searchIS3_S5_PySB_SC_NS1_16binary_search_opENS8_6detail16wrapped_functionINS0_4lessIvEEbEEEE10hipError_tPvRmT1_T2_T3_mmT4_T5_P12ihipStream_tbEUlRKyE_EESL_SP_SQ_mSR_SU_bEUlT_E_NS1_11comp_targetILNS1_3genE2ELNS1_11target_archE906ELNS1_3gpuE6ELNS1_3repE0EEENS1_30default_config_static_selectorELNS0_4arch9wavefront6targetE1EEEvSO_
                                        ; -- End function
	.section	.AMDGPU.csdata,"",@progbits
; Kernel info:
; codeLenInByte = 0
; NumSgprs: 4
; NumVgprs: 0
; NumAgprs: 0
; TotalNumVgprs: 0
; ScratchSize: 0
; MemoryBound: 0
; FloatMode: 240
; IeeeMode: 1
; LDSByteSize: 0 bytes/workgroup (compile time only)
; SGPRBlocks: 0
; VGPRBlocks: 0
; NumSGPRsForWavesPerEU: 4
; NumVGPRsForWavesPerEU: 1
; AccumOffset: 4
; Occupancy: 8
; WaveLimiterHint : 0
; COMPUTE_PGM_RSRC2:SCRATCH_EN: 0
; COMPUTE_PGM_RSRC2:USER_SGPR: 6
; COMPUTE_PGM_RSRC2:TRAP_HANDLER: 0
; COMPUTE_PGM_RSRC2:TGID_X_EN: 1
; COMPUTE_PGM_RSRC2:TGID_Y_EN: 0
; COMPUTE_PGM_RSRC2:TGID_Z_EN: 0
; COMPUTE_PGM_RSRC2:TIDIG_COMP_CNT: 0
; COMPUTE_PGM_RSRC3_GFX90A:ACCUM_OFFSET: 0
; COMPUTE_PGM_RSRC3_GFX90A:TG_SPLIT: 0
	.section	.text._ZN7rocprim17ROCPRIM_400000_NS6detail17trampoline_kernelINS0_14default_configENS1_29binary_search_config_selectorIybEEZNS1_14transform_implILb0ES3_S5_N6thrust23THRUST_200600_302600_NS17counting_iteratorIyNS8_11use_defaultESA_SA_EEPbZNS1_13binary_searchIS3_S5_PySB_SC_NS1_16binary_search_opENS8_6detail16wrapped_functionINS0_4lessIvEEbEEEE10hipError_tPvRmT1_T2_T3_mmT4_T5_P12ihipStream_tbEUlRKyE_EESL_SP_SQ_mSR_SU_bEUlT_E_NS1_11comp_targetILNS1_3genE10ELNS1_11target_archE1201ELNS1_3gpuE5ELNS1_3repE0EEENS1_30default_config_static_selectorELNS0_4arch9wavefront6targetE1EEEvSO_,"axG",@progbits,_ZN7rocprim17ROCPRIM_400000_NS6detail17trampoline_kernelINS0_14default_configENS1_29binary_search_config_selectorIybEEZNS1_14transform_implILb0ES3_S5_N6thrust23THRUST_200600_302600_NS17counting_iteratorIyNS8_11use_defaultESA_SA_EEPbZNS1_13binary_searchIS3_S5_PySB_SC_NS1_16binary_search_opENS8_6detail16wrapped_functionINS0_4lessIvEEbEEEE10hipError_tPvRmT1_T2_T3_mmT4_T5_P12ihipStream_tbEUlRKyE_EESL_SP_SQ_mSR_SU_bEUlT_E_NS1_11comp_targetILNS1_3genE10ELNS1_11target_archE1201ELNS1_3gpuE5ELNS1_3repE0EEENS1_30default_config_static_selectorELNS0_4arch9wavefront6targetE1EEEvSO_,comdat
	.protected	_ZN7rocprim17ROCPRIM_400000_NS6detail17trampoline_kernelINS0_14default_configENS1_29binary_search_config_selectorIybEEZNS1_14transform_implILb0ES3_S5_N6thrust23THRUST_200600_302600_NS17counting_iteratorIyNS8_11use_defaultESA_SA_EEPbZNS1_13binary_searchIS3_S5_PySB_SC_NS1_16binary_search_opENS8_6detail16wrapped_functionINS0_4lessIvEEbEEEE10hipError_tPvRmT1_T2_T3_mmT4_T5_P12ihipStream_tbEUlRKyE_EESL_SP_SQ_mSR_SU_bEUlT_E_NS1_11comp_targetILNS1_3genE10ELNS1_11target_archE1201ELNS1_3gpuE5ELNS1_3repE0EEENS1_30default_config_static_selectorELNS0_4arch9wavefront6targetE1EEEvSO_ ; -- Begin function _ZN7rocprim17ROCPRIM_400000_NS6detail17trampoline_kernelINS0_14default_configENS1_29binary_search_config_selectorIybEEZNS1_14transform_implILb0ES3_S5_N6thrust23THRUST_200600_302600_NS17counting_iteratorIyNS8_11use_defaultESA_SA_EEPbZNS1_13binary_searchIS3_S5_PySB_SC_NS1_16binary_search_opENS8_6detail16wrapped_functionINS0_4lessIvEEbEEEE10hipError_tPvRmT1_T2_T3_mmT4_T5_P12ihipStream_tbEUlRKyE_EESL_SP_SQ_mSR_SU_bEUlT_E_NS1_11comp_targetILNS1_3genE10ELNS1_11target_archE1201ELNS1_3gpuE5ELNS1_3repE0EEENS1_30default_config_static_selectorELNS0_4arch9wavefront6targetE1EEEvSO_
	.globl	_ZN7rocprim17ROCPRIM_400000_NS6detail17trampoline_kernelINS0_14default_configENS1_29binary_search_config_selectorIybEEZNS1_14transform_implILb0ES3_S5_N6thrust23THRUST_200600_302600_NS17counting_iteratorIyNS8_11use_defaultESA_SA_EEPbZNS1_13binary_searchIS3_S5_PySB_SC_NS1_16binary_search_opENS8_6detail16wrapped_functionINS0_4lessIvEEbEEEE10hipError_tPvRmT1_T2_T3_mmT4_T5_P12ihipStream_tbEUlRKyE_EESL_SP_SQ_mSR_SU_bEUlT_E_NS1_11comp_targetILNS1_3genE10ELNS1_11target_archE1201ELNS1_3gpuE5ELNS1_3repE0EEENS1_30default_config_static_selectorELNS0_4arch9wavefront6targetE1EEEvSO_
	.p2align	8
	.type	_ZN7rocprim17ROCPRIM_400000_NS6detail17trampoline_kernelINS0_14default_configENS1_29binary_search_config_selectorIybEEZNS1_14transform_implILb0ES3_S5_N6thrust23THRUST_200600_302600_NS17counting_iteratorIyNS8_11use_defaultESA_SA_EEPbZNS1_13binary_searchIS3_S5_PySB_SC_NS1_16binary_search_opENS8_6detail16wrapped_functionINS0_4lessIvEEbEEEE10hipError_tPvRmT1_T2_T3_mmT4_T5_P12ihipStream_tbEUlRKyE_EESL_SP_SQ_mSR_SU_bEUlT_E_NS1_11comp_targetILNS1_3genE10ELNS1_11target_archE1201ELNS1_3gpuE5ELNS1_3repE0EEENS1_30default_config_static_selectorELNS0_4arch9wavefront6targetE1EEEvSO_,@function
_ZN7rocprim17ROCPRIM_400000_NS6detail17trampoline_kernelINS0_14default_configENS1_29binary_search_config_selectorIybEEZNS1_14transform_implILb0ES3_S5_N6thrust23THRUST_200600_302600_NS17counting_iteratorIyNS8_11use_defaultESA_SA_EEPbZNS1_13binary_searchIS3_S5_PySB_SC_NS1_16binary_search_opENS8_6detail16wrapped_functionINS0_4lessIvEEbEEEE10hipError_tPvRmT1_T2_T3_mmT4_T5_P12ihipStream_tbEUlRKyE_EESL_SP_SQ_mSR_SU_bEUlT_E_NS1_11comp_targetILNS1_3genE10ELNS1_11target_archE1201ELNS1_3gpuE5ELNS1_3repE0EEENS1_30default_config_static_selectorELNS0_4arch9wavefront6targetE1EEEvSO_: ; @_ZN7rocprim17ROCPRIM_400000_NS6detail17trampoline_kernelINS0_14default_configENS1_29binary_search_config_selectorIybEEZNS1_14transform_implILb0ES3_S5_N6thrust23THRUST_200600_302600_NS17counting_iteratorIyNS8_11use_defaultESA_SA_EEPbZNS1_13binary_searchIS3_S5_PySB_SC_NS1_16binary_search_opENS8_6detail16wrapped_functionINS0_4lessIvEEbEEEE10hipError_tPvRmT1_T2_T3_mmT4_T5_P12ihipStream_tbEUlRKyE_EESL_SP_SQ_mSR_SU_bEUlT_E_NS1_11comp_targetILNS1_3genE10ELNS1_11target_archE1201ELNS1_3gpuE5ELNS1_3repE0EEENS1_30default_config_static_selectorELNS0_4arch9wavefront6targetE1EEEvSO_
; %bb.0:
	.section	.rodata,"a",@progbits
	.p2align	6, 0x0
	.amdhsa_kernel _ZN7rocprim17ROCPRIM_400000_NS6detail17trampoline_kernelINS0_14default_configENS1_29binary_search_config_selectorIybEEZNS1_14transform_implILb0ES3_S5_N6thrust23THRUST_200600_302600_NS17counting_iteratorIyNS8_11use_defaultESA_SA_EEPbZNS1_13binary_searchIS3_S5_PySB_SC_NS1_16binary_search_opENS8_6detail16wrapped_functionINS0_4lessIvEEbEEEE10hipError_tPvRmT1_T2_T3_mmT4_T5_P12ihipStream_tbEUlRKyE_EESL_SP_SQ_mSR_SU_bEUlT_E_NS1_11comp_targetILNS1_3genE10ELNS1_11target_archE1201ELNS1_3gpuE5ELNS1_3repE0EEENS1_30default_config_static_selectorELNS0_4arch9wavefront6targetE1EEEvSO_
		.amdhsa_group_segment_fixed_size 0
		.amdhsa_private_segment_fixed_size 0
		.amdhsa_kernarg_size 56
		.amdhsa_user_sgpr_count 6
		.amdhsa_user_sgpr_private_segment_buffer 1
		.amdhsa_user_sgpr_dispatch_ptr 0
		.amdhsa_user_sgpr_queue_ptr 0
		.amdhsa_user_sgpr_kernarg_segment_ptr 1
		.amdhsa_user_sgpr_dispatch_id 0
		.amdhsa_user_sgpr_flat_scratch_init 0
		.amdhsa_user_sgpr_kernarg_preload_length 0
		.amdhsa_user_sgpr_kernarg_preload_offset 0
		.amdhsa_user_sgpr_private_segment_size 0
		.amdhsa_uses_dynamic_stack 0
		.amdhsa_system_sgpr_private_segment_wavefront_offset 0
		.amdhsa_system_sgpr_workgroup_id_x 1
		.amdhsa_system_sgpr_workgroup_id_y 0
		.amdhsa_system_sgpr_workgroup_id_z 0
		.amdhsa_system_sgpr_workgroup_info 0
		.amdhsa_system_vgpr_workitem_id 0
		.amdhsa_next_free_vgpr 1
		.amdhsa_next_free_sgpr 0
		.amdhsa_accum_offset 4
		.amdhsa_reserve_vcc 0
		.amdhsa_reserve_flat_scratch 0
		.amdhsa_float_round_mode_32 0
		.amdhsa_float_round_mode_16_64 0
		.amdhsa_float_denorm_mode_32 3
		.amdhsa_float_denorm_mode_16_64 3
		.amdhsa_dx10_clamp 1
		.amdhsa_ieee_mode 1
		.amdhsa_fp16_overflow 0
		.amdhsa_tg_split 0
		.amdhsa_exception_fp_ieee_invalid_op 0
		.amdhsa_exception_fp_denorm_src 0
		.amdhsa_exception_fp_ieee_div_zero 0
		.amdhsa_exception_fp_ieee_overflow 0
		.amdhsa_exception_fp_ieee_underflow 0
		.amdhsa_exception_fp_ieee_inexact 0
		.amdhsa_exception_int_div_zero 0
	.end_amdhsa_kernel
	.section	.text._ZN7rocprim17ROCPRIM_400000_NS6detail17trampoline_kernelINS0_14default_configENS1_29binary_search_config_selectorIybEEZNS1_14transform_implILb0ES3_S5_N6thrust23THRUST_200600_302600_NS17counting_iteratorIyNS8_11use_defaultESA_SA_EEPbZNS1_13binary_searchIS3_S5_PySB_SC_NS1_16binary_search_opENS8_6detail16wrapped_functionINS0_4lessIvEEbEEEE10hipError_tPvRmT1_T2_T3_mmT4_T5_P12ihipStream_tbEUlRKyE_EESL_SP_SQ_mSR_SU_bEUlT_E_NS1_11comp_targetILNS1_3genE10ELNS1_11target_archE1201ELNS1_3gpuE5ELNS1_3repE0EEENS1_30default_config_static_selectorELNS0_4arch9wavefront6targetE1EEEvSO_,"axG",@progbits,_ZN7rocprim17ROCPRIM_400000_NS6detail17trampoline_kernelINS0_14default_configENS1_29binary_search_config_selectorIybEEZNS1_14transform_implILb0ES3_S5_N6thrust23THRUST_200600_302600_NS17counting_iteratorIyNS8_11use_defaultESA_SA_EEPbZNS1_13binary_searchIS3_S5_PySB_SC_NS1_16binary_search_opENS8_6detail16wrapped_functionINS0_4lessIvEEbEEEE10hipError_tPvRmT1_T2_T3_mmT4_T5_P12ihipStream_tbEUlRKyE_EESL_SP_SQ_mSR_SU_bEUlT_E_NS1_11comp_targetILNS1_3genE10ELNS1_11target_archE1201ELNS1_3gpuE5ELNS1_3repE0EEENS1_30default_config_static_selectorELNS0_4arch9wavefront6targetE1EEEvSO_,comdat
.Lfunc_end195:
	.size	_ZN7rocprim17ROCPRIM_400000_NS6detail17trampoline_kernelINS0_14default_configENS1_29binary_search_config_selectorIybEEZNS1_14transform_implILb0ES3_S5_N6thrust23THRUST_200600_302600_NS17counting_iteratorIyNS8_11use_defaultESA_SA_EEPbZNS1_13binary_searchIS3_S5_PySB_SC_NS1_16binary_search_opENS8_6detail16wrapped_functionINS0_4lessIvEEbEEEE10hipError_tPvRmT1_T2_T3_mmT4_T5_P12ihipStream_tbEUlRKyE_EESL_SP_SQ_mSR_SU_bEUlT_E_NS1_11comp_targetILNS1_3genE10ELNS1_11target_archE1201ELNS1_3gpuE5ELNS1_3repE0EEENS1_30default_config_static_selectorELNS0_4arch9wavefront6targetE1EEEvSO_, .Lfunc_end195-_ZN7rocprim17ROCPRIM_400000_NS6detail17trampoline_kernelINS0_14default_configENS1_29binary_search_config_selectorIybEEZNS1_14transform_implILb0ES3_S5_N6thrust23THRUST_200600_302600_NS17counting_iteratorIyNS8_11use_defaultESA_SA_EEPbZNS1_13binary_searchIS3_S5_PySB_SC_NS1_16binary_search_opENS8_6detail16wrapped_functionINS0_4lessIvEEbEEEE10hipError_tPvRmT1_T2_T3_mmT4_T5_P12ihipStream_tbEUlRKyE_EESL_SP_SQ_mSR_SU_bEUlT_E_NS1_11comp_targetILNS1_3genE10ELNS1_11target_archE1201ELNS1_3gpuE5ELNS1_3repE0EEENS1_30default_config_static_selectorELNS0_4arch9wavefront6targetE1EEEvSO_
                                        ; -- End function
	.section	.AMDGPU.csdata,"",@progbits
; Kernel info:
; codeLenInByte = 0
; NumSgprs: 4
; NumVgprs: 0
; NumAgprs: 0
; TotalNumVgprs: 0
; ScratchSize: 0
; MemoryBound: 0
; FloatMode: 240
; IeeeMode: 1
; LDSByteSize: 0 bytes/workgroup (compile time only)
; SGPRBlocks: 0
; VGPRBlocks: 0
; NumSGPRsForWavesPerEU: 4
; NumVGPRsForWavesPerEU: 1
; AccumOffset: 4
; Occupancy: 8
; WaveLimiterHint : 0
; COMPUTE_PGM_RSRC2:SCRATCH_EN: 0
; COMPUTE_PGM_RSRC2:USER_SGPR: 6
; COMPUTE_PGM_RSRC2:TRAP_HANDLER: 0
; COMPUTE_PGM_RSRC2:TGID_X_EN: 1
; COMPUTE_PGM_RSRC2:TGID_Y_EN: 0
; COMPUTE_PGM_RSRC2:TGID_Z_EN: 0
; COMPUTE_PGM_RSRC2:TIDIG_COMP_CNT: 0
; COMPUTE_PGM_RSRC3_GFX90A:ACCUM_OFFSET: 0
; COMPUTE_PGM_RSRC3_GFX90A:TG_SPLIT: 0
	.section	.text._ZN7rocprim17ROCPRIM_400000_NS6detail17trampoline_kernelINS0_14default_configENS1_29binary_search_config_selectorIybEEZNS1_14transform_implILb0ES3_S5_N6thrust23THRUST_200600_302600_NS17counting_iteratorIyNS8_11use_defaultESA_SA_EEPbZNS1_13binary_searchIS3_S5_PySB_SC_NS1_16binary_search_opENS8_6detail16wrapped_functionINS0_4lessIvEEbEEEE10hipError_tPvRmT1_T2_T3_mmT4_T5_P12ihipStream_tbEUlRKyE_EESL_SP_SQ_mSR_SU_bEUlT_E_NS1_11comp_targetILNS1_3genE10ELNS1_11target_archE1200ELNS1_3gpuE4ELNS1_3repE0EEENS1_30default_config_static_selectorELNS0_4arch9wavefront6targetE1EEEvSO_,"axG",@progbits,_ZN7rocprim17ROCPRIM_400000_NS6detail17trampoline_kernelINS0_14default_configENS1_29binary_search_config_selectorIybEEZNS1_14transform_implILb0ES3_S5_N6thrust23THRUST_200600_302600_NS17counting_iteratorIyNS8_11use_defaultESA_SA_EEPbZNS1_13binary_searchIS3_S5_PySB_SC_NS1_16binary_search_opENS8_6detail16wrapped_functionINS0_4lessIvEEbEEEE10hipError_tPvRmT1_T2_T3_mmT4_T5_P12ihipStream_tbEUlRKyE_EESL_SP_SQ_mSR_SU_bEUlT_E_NS1_11comp_targetILNS1_3genE10ELNS1_11target_archE1200ELNS1_3gpuE4ELNS1_3repE0EEENS1_30default_config_static_selectorELNS0_4arch9wavefront6targetE1EEEvSO_,comdat
	.protected	_ZN7rocprim17ROCPRIM_400000_NS6detail17trampoline_kernelINS0_14default_configENS1_29binary_search_config_selectorIybEEZNS1_14transform_implILb0ES3_S5_N6thrust23THRUST_200600_302600_NS17counting_iteratorIyNS8_11use_defaultESA_SA_EEPbZNS1_13binary_searchIS3_S5_PySB_SC_NS1_16binary_search_opENS8_6detail16wrapped_functionINS0_4lessIvEEbEEEE10hipError_tPvRmT1_T2_T3_mmT4_T5_P12ihipStream_tbEUlRKyE_EESL_SP_SQ_mSR_SU_bEUlT_E_NS1_11comp_targetILNS1_3genE10ELNS1_11target_archE1200ELNS1_3gpuE4ELNS1_3repE0EEENS1_30default_config_static_selectorELNS0_4arch9wavefront6targetE1EEEvSO_ ; -- Begin function _ZN7rocprim17ROCPRIM_400000_NS6detail17trampoline_kernelINS0_14default_configENS1_29binary_search_config_selectorIybEEZNS1_14transform_implILb0ES3_S5_N6thrust23THRUST_200600_302600_NS17counting_iteratorIyNS8_11use_defaultESA_SA_EEPbZNS1_13binary_searchIS3_S5_PySB_SC_NS1_16binary_search_opENS8_6detail16wrapped_functionINS0_4lessIvEEbEEEE10hipError_tPvRmT1_T2_T3_mmT4_T5_P12ihipStream_tbEUlRKyE_EESL_SP_SQ_mSR_SU_bEUlT_E_NS1_11comp_targetILNS1_3genE10ELNS1_11target_archE1200ELNS1_3gpuE4ELNS1_3repE0EEENS1_30default_config_static_selectorELNS0_4arch9wavefront6targetE1EEEvSO_
	.globl	_ZN7rocprim17ROCPRIM_400000_NS6detail17trampoline_kernelINS0_14default_configENS1_29binary_search_config_selectorIybEEZNS1_14transform_implILb0ES3_S5_N6thrust23THRUST_200600_302600_NS17counting_iteratorIyNS8_11use_defaultESA_SA_EEPbZNS1_13binary_searchIS3_S5_PySB_SC_NS1_16binary_search_opENS8_6detail16wrapped_functionINS0_4lessIvEEbEEEE10hipError_tPvRmT1_T2_T3_mmT4_T5_P12ihipStream_tbEUlRKyE_EESL_SP_SQ_mSR_SU_bEUlT_E_NS1_11comp_targetILNS1_3genE10ELNS1_11target_archE1200ELNS1_3gpuE4ELNS1_3repE0EEENS1_30default_config_static_selectorELNS0_4arch9wavefront6targetE1EEEvSO_
	.p2align	8
	.type	_ZN7rocprim17ROCPRIM_400000_NS6detail17trampoline_kernelINS0_14default_configENS1_29binary_search_config_selectorIybEEZNS1_14transform_implILb0ES3_S5_N6thrust23THRUST_200600_302600_NS17counting_iteratorIyNS8_11use_defaultESA_SA_EEPbZNS1_13binary_searchIS3_S5_PySB_SC_NS1_16binary_search_opENS8_6detail16wrapped_functionINS0_4lessIvEEbEEEE10hipError_tPvRmT1_T2_T3_mmT4_T5_P12ihipStream_tbEUlRKyE_EESL_SP_SQ_mSR_SU_bEUlT_E_NS1_11comp_targetILNS1_3genE10ELNS1_11target_archE1200ELNS1_3gpuE4ELNS1_3repE0EEENS1_30default_config_static_selectorELNS0_4arch9wavefront6targetE1EEEvSO_,@function
_ZN7rocprim17ROCPRIM_400000_NS6detail17trampoline_kernelINS0_14default_configENS1_29binary_search_config_selectorIybEEZNS1_14transform_implILb0ES3_S5_N6thrust23THRUST_200600_302600_NS17counting_iteratorIyNS8_11use_defaultESA_SA_EEPbZNS1_13binary_searchIS3_S5_PySB_SC_NS1_16binary_search_opENS8_6detail16wrapped_functionINS0_4lessIvEEbEEEE10hipError_tPvRmT1_T2_T3_mmT4_T5_P12ihipStream_tbEUlRKyE_EESL_SP_SQ_mSR_SU_bEUlT_E_NS1_11comp_targetILNS1_3genE10ELNS1_11target_archE1200ELNS1_3gpuE4ELNS1_3repE0EEENS1_30default_config_static_selectorELNS0_4arch9wavefront6targetE1EEEvSO_: ; @_ZN7rocprim17ROCPRIM_400000_NS6detail17trampoline_kernelINS0_14default_configENS1_29binary_search_config_selectorIybEEZNS1_14transform_implILb0ES3_S5_N6thrust23THRUST_200600_302600_NS17counting_iteratorIyNS8_11use_defaultESA_SA_EEPbZNS1_13binary_searchIS3_S5_PySB_SC_NS1_16binary_search_opENS8_6detail16wrapped_functionINS0_4lessIvEEbEEEE10hipError_tPvRmT1_T2_T3_mmT4_T5_P12ihipStream_tbEUlRKyE_EESL_SP_SQ_mSR_SU_bEUlT_E_NS1_11comp_targetILNS1_3genE10ELNS1_11target_archE1200ELNS1_3gpuE4ELNS1_3repE0EEENS1_30default_config_static_selectorELNS0_4arch9wavefront6targetE1EEEvSO_
; %bb.0:
	.section	.rodata,"a",@progbits
	.p2align	6, 0x0
	.amdhsa_kernel _ZN7rocprim17ROCPRIM_400000_NS6detail17trampoline_kernelINS0_14default_configENS1_29binary_search_config_selectorIybEEZNS1_14transform_implILb0ES3_S5_N6thrust23THRUST_200600_302600_NS17counting_iteratorIyNS8_11use_defaultESA_SA_EEPbZNS1_13binary_searchIS3_S5_PySB_SC_NS1_16binary_search_opENS8_6detail16wrapped_functionINS0_4lessIvEEbEEEE10hipError_tPvRmT1_T2_T3_mmT4_T5_P12ihipStream_tbEUlRKyE_EESL_SP_SQ_mSR_SU_bEUlT_E_NS1_11comp_targetILNS1_3genE10ELNS1_11target_archE1200ELNS1_3gpuE4ELNS1_3repE0EEENS1_30default_config_static_selectorELNS0_4arch9wavefront6targetE1EEEvSO_
		.amdhsa_group_segment_fixed_size 0
		.amdhsa_private_segment_fixed_size 0
		.amdhsa_kernarg_size 56
		.amdhsa_user_sgpr_count 6
		.amdhsa_user_sgpr_private_segment_buffer 1
		.amdhsa_user_sgpr_dispatch_ptr 0
		.amdhsa_user_sgpr_queue_ptr 0
		.amdhsa_user_sgpr_kernarg_segment_ptr 1
		.amdhsa_user_sgpr_dispatch_id 0
		.amdhsa_user_sgpr_flat_scratch_init 0
		.amdhsa_user_sgpr_kernarg_preload_length 0
		.amdhsa_user_sgpr_kernarg_preload_offset 0
		.amdhsa_user_sgpr_private_segment_size 0
		.amdhsa_uses_dynamic_stack 0
		.amdhsa_system_sgpr_private_segment_wavefront_offset 0
		.amdhsa_system_sgpr_workgroup_id_x 1
		.amdhsa_system_sgpr_workgroup_id_y 0
		.amdhsa_system_sgpr_workgroup_id_z 0
		.amdhsa_system_sgpr_workgroup_info 0
		.amdhsa_system_vgpr_workitem_id 0
		.amdhsa_next_free_vgpr 1
		.amdhsa_next_free_sgpr 0
		.amdhsa_accum_offset 4
		.amdhsa_reserve_vcc 0
		.amdhsa_reserve_flat_scratch 0
		.amdhsa_float_round_mode_32 0
		.amdhsa_float_round_mode_16_64 0
		.amdhsa_float_denorm_mode_32 3
		.amdhsa_float_denorm_mode_16_64 3
		.amdhsa_dx10_clamp 1
		.amdhsa_ieee_mode 1
		.amdhsa_fp16_overflow 0
		.amdhsa_tg_split 0
		.amdhsa_exception_fp_ieee_invalid_op 0
		.amdhsa_exception_fp_denorm_src 0
		.amdhsa_exception_fp_ieee_div_zero 0
		.amdhsa_exception_fp_ieee_overflow 0
		.amdhsa_exception_fp_ieee_underflow 0
		.amdhsa_exception_fp_ieee_inexact 0
		.amdhsa_exception_int_div_zero 0
	.end_amdhsa_kernel
	.section	.text._ZN7rocprim17ROCPRIM_400000_NS6detail17trampoline_kernelINS0_14default_configENS1_29binary_search_config_selectorIybEEZNS1_14transform_implILb0ES3_S5_N6thrust23THRUST_200600_302600_NS17counting_iteratorIyNS8_11use_defaultESA_SA_EEPbZNS1_13binary_searchIS3_S5_PySB_SC_NS1_16binary_search_opENS8_6detail16wrapped_functionINS0_4lessIvEEbEEEE10hipError_tPvRmT1_T2_T3_mmT4_T5_P12ihipStream_tbEUlRKyE_EESL_SP_SQ_mSR_SU_bEUlT_E_NS1_11comp_targetILNS1_3genE10ELNS1_11target_archE1200ELNS1_3gpuE4ELNS1_3repE0EEENS1_30default_config_static_selectorELNS0_4arch9wavefront6targetE1EEEvSO_,"axG",@progbits,_ZN7rocprim17ROCPRIM_400000_NS6detail17trampoline_kernelINS0_14default_configENS1_29binary_search_config_selectorIybEEZNS1_14transform_implILb0ES3_S5_N6thrust23THRUST_200600_302600_NS17counting_iteratorIyNS8_11use_defaultESA_SA_EEPbZNS1_13binary_searchIS3_S5_PySB_SC_NS1_16binary_search_opENS8_6detail16wrapped_functionINS0_4lessIvEEbEEEE10hipError_tPvRmT1_T2_T3_mmT4_T5_P12ihipStream_tbEUlRKyE_EESL_SP_SQ_mSR_SU_bEUlT_E_NS1_11comp_targetILNS1_3genE10ELNS1_11target_archE1200ELNS1_3gpuE4ELNS1_3repE0EEENS1_30default_config_static_selectorELNS0_4arch9wavefront6targetE1EEEvSO_,comdat
.Lfunc_end196:
	.size	_ZN7rocprim17ROCPRIM_400000_NS6detail17trampoline_kernelINS0_14default_configENS1_29binary_search_config_selectorIybEEZNS1_14transform_implILb0ES3_S5_N6thrust23THRUST_200600_302600_NS17counting_iteratorIyNS8_11use_defaultESA_SA_EEPbZNS1_13binary_searchIS3_S5_PySB_SC_NS1_16binary_search_opENS8_6detail16wrapped_functionINS0_4lessIvEEbEEEE10hipError_tPvRmT1_T2_T3_mmT4_T5_P12ihipStream_tbEUlRKyE_EESL_SP_SQ_mSR_SU_bEUlT_E_NS1_11comp_targetILNS1_3genE10ELNS1_11target_archE1200ELNS1_3gpuE4ELNS1_3repE0EEENS1_30default_config_static_selectorELNS0_4arch9wavefront6targetE1EEEvSO_, .Lfunc_end196-_ZN7rocprim17ROCPRIM_400000_NS6detail17trampoline_kernelINS0_14default_configENS1_29binary_search_config_selectorIybEEZNS1_14transform_implILb0ES3_S5_N6thrust23THRUST_200600_302600_NS17counting_iteratorIyNS8_11use_defaultESA_SA_EEPbZNS1_13binary_searchIS3_S5_PySB_SC_NS1_16binary_search_opENS8_6detail16wrapped_functionINS0_4lessIvEEbEEEE10hipError_tPvRmT1_T2_T3_mmT4_T5_P12ihipStream_tbEUlRKyE_EESL_SP_SQ_mSR_SU_bEUlT_E_NS1_11comp_targetILNS1_3genE10ELNS1_11target_archE1200ELNS1_3gpuE4ELNS1_3repE0EEENS1_30default_config_static_selectorELNS0_4arch9wavefront6targetE1EEEvSO_
                                        ; -- End function
	.section	.AMDGPU.csdata,"",@progbits
; Kernel info:
; codeLenInByte = 0
; NumSgprs: 4
; NumVgprs: 0
; NumAgprs: 0
; TotalNumVgprs: 0
; ScratchSize: 0
; MemoryBound: 0
; FloatMode: 240
; IeeeMode: 1
; LDSByteSize: 0 bytes/workgroup (compile time only)
; SGPRBlocks: 0
; VGPRBlocks: 0
; NumSGPRsForWavesPerEU: 4
; NumVGPRsForWavesPerEU: 1
; AccumOffset: 4
; Occupancy: 8
; WaveLimiterHint : 0
; COMPUTE_PGM_RSRC2:SCRATCH_EN: 0
; COMPUTE_PGM_RSRC2:USER_SGPR: 6
; COMPUTE_PGM_RSRC2:TRAP_HANDLER: 0
; COMPUTE_PGM_RSRC2:TGID_X_EN: 1
; COMPUTE_PGM_RSRC2:TGID_Y_EN: 0
; COMPUTE_PGM_RSRC2:TGID_Z_EN: 0
; COMPUTE_PGM_RSRC2:TIDIG_COMP_CNT: 0
; COMPUTE_PGM_RSRC3_GFX90A:ACCUM_OFFSET: 0
; COMPUTE_PGM_RSRC3_GFX90A:TG_SPLIT: 0
	.section	.text._ZN7rocprim17ROCPRIM_400000_NS6detail17trampoline_kernelINS0_14default_configENS1_29binary_search_config_selectorIybEEZNS1_14transform_implILb0ES3_S5_N6thrust23THRUST_200600_302600_NS17counting_iteratorIyNS8_11use_defaultESA_SA_EEPbZNS1_13binary_searchIS3_S5_PySB_SC_NS1_16binary_search_opENS8_6detail16wrapped_functionINS0_4lessIvEEbEEEE10hipError_tPvRmT1_T2_T3_mmT4_T5_P12ihipStream_tbEUlRKyE_EESL_SP_SQ_mSR_SU_bEUlT_E_NS1_11comp_targetILNS1_3genE9ELNS1_11target_archE1100ELNS1_3gpuE3ELNS1_3repE0EEENS1_30default_config_static_selectorELNS0_4arch9wavefront6targetE1EEEvSO_,"axG",@progbits,_ZN7rocprim17ROCPRIM_400000_NS6detail17trampoline_kernelINS0_14default_configENS1_29binary_search_config_selectorIybEEZNS1_14transform_implILb0ES3_S5_N6thrust23THRUST_200600_302600_NS17counting_iteratorIyNS8_11use_defaultESA_SA_EEPbZNS1_13binary_searchIS3_S5_PySB_SC_NS1_16binary_search_opENS8_6detail16wrapped_functionINS0_4lessIvEEbEEEE10hipError_tPvRmT1_T2_T3_mmT4_T5_P12ihipStream_tbEUlRKyE_EESL_SP_SQ_mSR_SU_bEUlT_E_NS1_11comp_targetILNS1_3genE9ELNS1_11target_archE1100ELNS1_3gpuE3ELNS1_3repE0EEENS1_30default_config_static_selectorELNS0_4arch9wavefront6targetE1EEEvSO_,comdat
	.protected	_ZN7rocprim17ROCPRIM_400000_NS6detail17trampoline_kernelINS0_14default_configENS1_29binary_search_config_selectorIybEEZNS1_14transform_implILb0ES3_S5_N6thrust23THRUST_200600_302600_NS17counting_iteratorIyNS8_11use_defaultESA_SA_EEPbZNS1_13binary_searchIS3_S5_PySB_SC_NS1_16binary_search_opENS8_6detail16wrapped_functionINS0_4lessIvEEbEEEE10hipError_tPvRmT1_T2_T3_mmT4_T5_P12ihipStream_tbEUlRKyE_EESL_SP_SQ_mSR_SU_bEUlT_E_NS1_11comp_targetILNS1_3genE9ELNS1_11target_archE1100ELNS1_3gpuE3ELNS1_3repE0EEENS1_30default_config_static_selectorELNS0_4arch9wavefront6targetE1EEEvSO_ ; -- Begin function _ZN7rocprim17ROCPRIM_400000_NS6detail17trampoline_kernelINS0_14default_configENS1_29binary_search_config_selectorIybEEZNS1_14transform_implILb0ES3_S5_N6thrust23THRUST_200600_302600_NS17counting_iteratorIyNS8_11use_defaultESA_SA_EEPbZNS1_13binary_searchIS3_S5_PySB_SC_NS1_16binary_search_opENS8_6detail16wrapped_functionINS0_4lessIvEEbEEEE10hipError_tPvRmT1_T2_T3_mmT4_T5_P12ihipStream_tbEUlRKyE_EESL_SP_SQ_mSR_SU_bEUlT_E_NS1_11comp_targetILNS1_3genE9ELNS1_11target_archE1100ELNS1_3gpuE3ELNS1_3repE0EEENS1_30default_config_static_selectorELNS0_4arch9wavefront6targetE1EEEvSO_
	.globl	_ZN7rocprim17ROCPRIM_400000_NS6detail17trampoline_kernelINS0_14default_configENS1_29binary_search_config_selectorIybEEZNS1_14transform_implILb0ES3_S5_N6thrust23THRUST_200600_302600_NS17counting_iteratorIyNS8_11use_defaultESA_SA_EEPbZNS1_13binary_searchIS3_S5_PySB_SC_NS1_16binary_search_opENS8_6detail16wrapped_functionINS0_4lessIvEEbEEEE10hipError_tPvRmT1_T2_T3_mmT4_T5_P12ihipStream_tbEUlRKyE_EESL_SP_SQ_mSR_SU_bEUlT_E_NS1_11comp_targetILNS1_3genE9ELNS1_11target_archE1100ELNS1_3gpuE3ELNS1_3repE0EEENS1_30default_config_static_selectorELNS0_4arch9wavefront6targetE1EEEvSO_
	.p2align	8
	.type	_ZN7rocprim17ROCPRIM_400000_NS6detail17trampoline_kernelINS0_14default_configENS1_29binary_search_config_selectorIybEEZNS1_14transform_implILb0ES3_S5_N6thrust23THRUST_200600_302600_NS17counting_iteratorIyNS8_11use_defaultESA_SA_EEPbZNS1_13binary_searchIS3_S5_PySB_SC_NS1_16binary_search_opENS8_6detail16wrapped_functionINS0_4lessIvEEbEEEE10hipError_tPvRmT1_T2_T3_mmT4_T5_P12ihipStream_tbEUlRKyE_EESL_SP_SQ_mSR_SU_bEUlT_E_NS1_11comp_targetILNS1_3genE9ELNS1_11target_archE1100ELNS1_3gpuE3ELNS1_3repE0EEENS1_30default_config_static_selectorELNS0_4arch9wavefront6targetE1EEEvSO_,@function
_ZN7rocprim17ROCPRIM_400000_NS6detail17trampoline_kernelINS0_14default_configENS1_29binary_search_config_selectorIybEEZNS1_14transform_implILb0ES3_S5_N6thrust23THRUST_200600_302600_NS17counting_iteratorIyNS8_11use_defaultESA_SA_EEPbZNS1_13binary_searchIS3_S5_PySB_SC_NS1_16binary_search_opENS8_6detail16wrapped_functionINS0_4lessIvEEbEEEE10hipError_tPvRmT1_T2_T3_mmT4_T5_P12ihipStream_tbEUlRKyE_EESL_SP_SQ_mSR_SU_bEUlT_E_NS1_11comp_targetILNS1_3genE9ELNS1_11target_archE1100ELNS1_3gpuE3ELNS1_3repE0EEENS1_30default_config_static_selectorELNS0_4arch9wavefront6targetE1EEEvSO_: ; @_ZN7rocprim17ROCPRIM_400000_NS6detail17trampoline_kernelINS0_14default_configENS1_29binary_search_config_selectorIybEEZNS1_14transform_implILb0ES3_S5_N6thrust23THRUST_200600_302600_NS17counting_iteratorIyNS8_11use_defaultESA_SA_EEPbZNS1_13binary_searchIS3_S5_PySB_SC_NS1_16binary_search_opENS8_6detail16wrapped_functionINS0_4lessIvEEbEEEE10hipError_tPvRmT1_T2_T3_mmT4_T5_P12ihipStream_tbEUlRKyE_EESL_SP_SQ_mSR_SU_bEUlT_E_NS1_11comp_targetILNS1_3genE9ELNS1_11target_archE1100ELNS1_3gpuE3ELNS1_3repE0EEENS1_30default_config_static_selectorELNS0_4arch9wavefront6targetE1EEEvSO_
; %bb.0:
	.section	.rodata,"a",@progbits
	.p2align	6, 0x0
	.amdhsa_kernel _ZN7rocprim17ROCPRIM_400000_NS6detail17trampoline_kernelINS0_14default_configENS1_29binary_search_config_selectorIybEEZNS1_14transform_implILb0ES3_S5_N6thrust23THRUST_200600_302600_NS17counting_iteratorIyNS8_11use_defaultESA_SA_EEPbZNS1_13binary_searchIS3_S5_PySB_SC_NS1_16binary_search_opENS8_6detail16wrapped_functionINS0_4lessIvEEbEEEE10hipError_tPvRmT1_T2_T3_mmT4_T5_P12ihipStream_tbEUlRKyE_EESL_SP_SQ_mSR_SU_bEUlT_E_NS1_11comp_targetILNS1_3genE9ELNS1_11target_archE1100ELNS1_3gpuE3ELNS1_3repE0EEENS1_30default_config_static_selectorELNS0_4arch9wavefront6targetE1EEEvSO_
		.amdhsa_group_segment_fixed_size 0
		.amdhsa_private_segment_fixed_size 0
		.amdhsa_kernarg_size 56
		.amdhsa_user_sgpr_count 6
		.amdhsa_user_sgpr_private_segment_buffer 1
		.amdhsa_user_sgpr_dispatch_ptr 0
		.amdhsa_user_sgpr_queue_ptr 0
		.amdhsa_user_sgpr_kernarg_segment_ptr 1
		.amdhsa_user_sgpr_dispatch_id 0
		.amdhsa_user_sgpr_flat_scratch_init 0
		.amdhsa_user_sgpr_kernarg_preload_length 0
		.amdhsa_user_sgpr_kernarg_preload_offset 0
		.amdhsa_user_sgpr_private_segment_size 0
		.amdhsa_uses_dynamic_stack 0
		.amdhsa_system_sgpr_private_segment_wavefront_offset 0
		.amdhsa_system_sgpr_workgroup_id_x 1
		.amdhsa_system_sgpr_workgroup_id_y 0
		.amdhsa_system_sgpr_workgroup_id_z 0
		.amdhsa_system_sgpr_workgroup_info 0
		.amdhsa_system_vgpr_workitem_id 0
		.amdhsa_next_free_vgpr 1
		.amdhsa_next_free_sgpr 0
		.amdhsa_accum_offset 4
		.amdhsa_reserve_vcc 0
		.amdhsa_reserve_flat_scratch 0
		.amdhsa_float_round_mode_32 0
		.amdhsa_float_round_mode_16_64 0
		.amdhsa_float_denorm_mode_32 3
		.amdhsa_float_denorm_mode_16_64 3
		.amdhsa_dx10_clamp 1
		.amdhsa_ieee_mode 1
		.amdhsa_fp16_overflow 0
		.amdhsa_tg_split 0
		.amdhsa_exception_fp_ieee_invalid_op 0
		.amdhsa_exception_fp_denorm_src 0
		.amdhsa_exception_fp_ieee_div_zero 0
		.amdhsa_exception_fp_ieee_overflow 0
		.amdhsa_exception_fp_ieee_underflow 0
		.amdhsa_exception_fp_ieee_inexact 0
		.amdhsa_exception_int_div_zero 0
	.end_amdhsa_kernel
	.section	.text._ZN7rocprim17ROCPRIM_400000_NS6detail17trampoline_kernelINS0_14default_configENS1_29binary_search_config_selectorIybEEZNS1_14transform_implILb0ES3_S5_N6thrust23THRUST_200600_302600_NS17counting_iteratorIyNS8_11use_defaultESA_SA_EEPbZNS1_13binary_searchIS3_S5_PySB_SC_NS1_16binary_search_opENS8_6detail16wrapped_functionINS0_4lessIvEEbEEEE10hipError_tPvRmT1_T2_T3_mmT4_T5_P12ihipStream_tbEUlRKyE_EESL_SP_SQ_mSR_SU_bEUlT_E_NS1_11comp_targetILNS1_3genE9ELNS1_11target_archE1100ELNS1_3gpuE3ELNS1_3repE0EEENS1_30default_config_static_selectorELNS0_4arch9wavefront6targetE1EEEvSO_,"axG",@progbits,_ZN7rocprim17ROCPRIM_400000_NS6detail17trampoline_kernelINS0_14default_configENS1_29binary_search_config_selectorIybEEZNS1_14transform_implILb0ES3_S5_N6thrust23THRUST_200600_302600_NS17counting_iteratorIyNS8_11use_defaultESA_SA_EEPbZNS1_13binary_searchIS3_S5_PySB_SC_NS1_16binary_search_opENS8_6detail16wrapped_functionINS0_4lessIvEEbEEEE10hipError_tPvRmT1_T2_T3_mmT4_T5_P12ihipStream_tbEUlRKyE_EESL_SP_SQ_mSR_SU_bEUlT_E_NS1_11comp_targetILNS1_3genE9ELNS1_11target_archE1100ELNS1_3gpuE3ELNS1_3repE0EEENS1_30default_config_static_selectorELNS0_4arch9wavefront6targetE1EEEvSO_,comdat
.Lfunc_end197:
	.size	_ZN7rocprim17ROCPRIM_400000_NS6detail17trampoline_kernelINS0_14default_configENS1_29binary_search_config_selectorIybEEZNS1_14transform_implILb0ES3_S5_N6thrust23THRUST_200600_302600_NS17counting_iteratorIyNS8_11use_defaultESA_SA_EEPbZNS1_13binary_searchIS3_S5_PySB_SC_NS1_16binary_search_opENS8_6detail16wrapped_functionINS0_4lessIvEEbEEEE10hipError_tPvRmT1_T2_T3_mmT4_T5_P12ihipStream_tbEUlRKyE_EESL_SP_SQ_mSR_SU_bEUlT_E_NS1_11comp_targetILNS1_3genE9ELNS1_11target_archE1100ELNS1_3gpuE3ELNS1_3repE0EEENS1_30default_config_static_selectorELNS0_4arch9wavefront6targetE1EEEvSO_, .Lfunc_end197-_ZN7rocprim17ROCPRIM_400000_NS6detail17trampoline_kernelINS0_14default_configENS1_29binary_search_config_selectorIybEEZNS1_14transform_implILb0ES3_S5_N6thrust23THRUST_200600_302600_NS17counting_iteratorIyNS8_11use_defaultESA_SA_EEPbZNS1_13binary_searchIS3_S5_PySB_SC_NS1_16binary_search_opENS8_6detail16wrapped_functionINS0_4lessIvEEbEEEE10hipError_tPvRmT1_T2_T3_mmT4_T5_P12ihipStream_tbEUlRKyE_EESL_SP_SQ_mSR_SU_bEUlT_E_NS1_11comp_targetILNS1_3genE9ELNS1_11target_archE1100ELNS1_3gpuE3ELNS1_3repE0EEENS1_30default_config_static_selectorELNS0_4arch9wavefront6targetE1EEEvSO_
                                        ; -- End function
	.section	.AMDGPU.csdata,"",@progbits
; Kernel info:
; codeLenInByte = 0
; NumSgprs: 4
; NumVgprs: 0
; NumAgprs: 0
; TotalNumVgprs: 0
; ScratchSize: 0
; MemoryBound: 0
; FloatMode: 240
; IeeeMode: 1
; LDSByteSize: 0 bytes/workgroup (compile time only)
; SGPRBlocks: 0
; VGPRBlocks: 0
; NumSGPRsForWavesPerEU: 4
; NumVGPRsForWavesPerEU: 1
; AccumOffset: 4
; Occupancy: 8
; WaveLimiterHint : 0
; COMPUTE_PGM_RSRC2:SCRATCH_EN: 0
; COMPUTE_PGM_RSRC2:USER_SGPR: 6
; COMPUTE_PGM_RSRC2:TRAP_HANDLER: 0
; COMPUTE_PGM_RSRC2:TGID_X_EN: 1
; COMPUTE_PGM_RSRC2:TGID_Y_EN: 0
; COMPUTE_PGM_RSRC2:TGID_Z_EN: 0
; COMPUTE_PGM_RSRC2:TIDIG_COMP_CNT: 0
; COMPUTE_PGM_RSRC3_GFX90A:ACCUM_OFFSET: 0
; COMPUTE_PGM_RSRC3_GFX90A:TG_SPLIT: 0
	.section	.text._ZN7rocprim17ROCPRIM_400000_NS6detail17trampoline_kernelINS0_14default_configENS1_29binary_search_config_selectorIybEEZNS1_14transform_implILb0ES3_S5_N6thrust23THRUST_200600_302600_NS17counting_iteratorIyNS8_11use_defaultESA_SA_EEPbZNS1_13binary_searchIS3_S5_PySB_SC_NS1_16binary_search_opENS8_6detail16wrapped_functionINS0_4lessIvEEbEEEE10hipError_tPvRmT1_T2_T3_mmT4_T5_P12ihipStream_tbEUlRKyE_EESL_SP_SQ_mSR_SU_bEUlT_E_NS1_11comp_targetILNS1_3genE8ELNS1_11target_archE1030ELNS1_3gpuE2ELNS1_3repE0EEENS1_30default_config_static_selectorELNS0_4arch9wavefront6targetE1EEEvSO_,"axG",@progbits,_ZN7rocprim17ROCPRIM_400000_NS6detail17trampoline_kernelINS0_14default_configENS1_29binary_search_config_selectorIybEEZNS1_14transform_implILb0ES3_S5_N6thrust23THRUST_200600_302600_NS17counting_iteratorIyNS8_11use_defaultESA_SA_EEPbZNS1_13binary_searchIS3_S5_PySB_SC_NS1_16binary_search_opENS8_6detail16wrapped_functionINS0_4lessIvEEbEEEE10hipError_tPvRmT1_T2_T3_mmT4_T5_P12ihipStream_tbEUlRKyE_EESL_SP_SQ_mSR_SU_bEUlT_E_NS1_11comp_targetILNS1_3genE8ELNS1_11target_archE1030ELNS1_3gpuE2ELNS1_3repE0EEENS1_30default_config_static_selectorELNS0_4arch9wavefront6targetE1EEEvSO_,comdat
	.protected	_ZN7rocprim17ROCPRIM_400000_NS6detail17trampoline_kernelINS0_14default_configENS1_29binary_search_config_selectorIybEEZNS1_14transform_implILb0ES3_S5_N6thrust23THRUST_200600_302600_NS17counting_iteratorIyNS8_11use_defaultESA_SA_EEPbZNS1_13binary_searchIS3_S5_PySB_SC_NS1_16binary_search_opENS8_6detail16wrapped_functionINS0_4lessIvEEbEEEE10hipError_tPvRmT1_T2_T3_mmT4_T5_P12ihipStream_tbEUlRKyE_EESL_SP_SQ_mSR_SU_bEUlT_E_NS1_11comp_targetILNS1_3genE8ELNS1_11target_archE1030ELNS1_3gpuE2ELNS1_3repE0EEENS1_30default_config_static_selectorELNS0_4arch9wavefront6targetE1EEEvSO_ ; -- Begin function _ZN7rocprim17ROCPRIM_400000_NS6detail17trampoline_kernelINS0_14default_configENS1_29binary_search_config_selectorIybEEZNS1_14transform_implILb0ES3_S5_N6thrust23THRUST_200600_302600_NS17counting_iteratorIyNS8_11use_defaultESA_SA_EEPbZNS1_13binary_searchIS3_S5_PySB_SC_NS1_16binary_search_opENS8_6detail16wrapped_functionINS0_4lessIvEEbEEEE10hipError_tPvRmT1_T2_T3_mmT4_T5_P12ihipStream_tbEUlRKyE_EESL_SP_SQ_mSR_SU_bEUlT_E_NS1_11comp_targetILNS1_3genE8ELNS1_11target_archE1030ELNS1_3gpuE2ELNS1_3repE0EEENS1_30default_config_static_selectorELNS0_4arch9wavefront6targetE1EEEvSO_
	.globl	_ZN7rocprim17ROCPRIM_400000_NS6detail17trampoline_kernelINS0_14default_configENS1_29binary_search_config_selectorIybEEZNS1_14transform_implILb0ES3_S5_N6thrust23THRUST_200600_302600_NS17counting_iteratorIyNS8_11use_defaultESA_SA_EEPbZNS1_13binary_searchIS3_S5_PySB_SC_NS1_16binary_search_opENS8_6detail16wrapped_functionINS0_4lessIvEEbEEEE10hipError_tPvRmT1_T2_T3_mmT4_T5_P12ihipStream_tbEUlRKyE_EESL_SP_SQ_mSR_SU_bEUlT_E_NS1_11comp_targetILNS1_3genE8ELNS1_11target_archE1030ELNS1_3gpuE2ELNS1_3repE0EEENS1_30default_config_static_selectorELNS0_4arch9wavefront6targetE1EEEvSO_
	.p2align	8
	.type	_ZN7rocprim17ROCPRIM_400000_NS6detail17trampoline_kernelINS0_14default_configENS1_29binary_search_config_selectorIybEEZNS1_14transform_implILb0ES3_S5_N6thrust23THRUST_200600_302600_NS17counting_iteratorIyNS8_11use_defaultESA_SA_EEPbZNS1_13binary_searchIS3_S5_PySB_SC_NS1_16binary_search_opENS8_6detail16wrapped_functionINS0_4lessIvEEbEEEE10hipError_tPvRmT1_T2_T3_mmT4_T5_P12ihipStream_tbEUlRKyE_EESL_SP_SQ_mSR_SU_bEUlT_E_NS1_11comp_targetILNS1_3genE8ELNS1_11target_archE1030ELNS1_3gpuE2ELNS1_3repE0EEENS1_30default_config_static_selectorELNS0_4arch9wavefront6targetE1EEEvSO_,@function
_ZN7rocprim17ROCPRIM_400000_NS6detail17trampoline_kernelINS0_14default_configENS1_29binary_search_config_selectorIybEEZNS1_14transform_implILb0ES3_S5_N6thrust23THRUST_200600_302600_NS17counting_iteratorIyNS8_11use_defaultESA_SA_EEPbZNS1_13binary_searchIS3_S5_PySB_SC_NS1_16binary_search_opENS8_6detail16wrapped_functionINS0_4lessIvEEbEEEE10hipError_tPvRmT1_T2_T3_mmT4_T5_P12ihipStream_tbEUlRKyE_EESL_SP_SQ_mSR_SU_bEUlT_E_NS1_11comp_targetILNS1_3genE8ELNS1_11target_archE1030ELNS1_3gpuE2ELNS1_3repE0EEENS1_30default_config_static_selectorELNS0_4arch9wavefront6targetE1EEEvSO_: ; @_ZN7rocprim17ROCPRIM_400000_NS6detail17trampoline_kernelINS0_14default_configENS1_29binary_search_config_selectorIybEEZNS1_14transform_implILb0ES3_S5_N6thrust23THRUST_200600_302600_NS17counting_iteratorIyNS8_11use_defaultESA_SA_EEPbZNS1_13binary_searchIS3_S5_PySB_SC_NS1_16binary_search_opENS8_6detail16wrapped_functionINS0_4lessIvEEbEEEE10hipError_tPvRmT1_T2_T3_mmT4_T5_P12ihipStream_tbEUlRKyE_EESL_SP_SQ_mSR_SU_bEUlT_E_NS1_11comp_targetILNS1_3genE8ELNS1_11target_archE1030ELNS1_3gpuE2ELNS1_3repE0EEENS1_30default_config_static_selectorELNS0_4arch9wavefront6targetE1EEEvSO_
; %bb.0:
	.section	.rodata,"a",@progbits
	.p2align	6, 0x0
	.amdhsa_kernel _ZN7rocprim17ROCPRIM_400000_NS6detail17trampoline_kernelINS0_14default_configENS1_29binary_search_config_selectorIybEEZNS1_14transform_implILb0ES3_S5_N6thrust23THRUST_200600_302600_NS17counting_iteratorIyNS8_11use_defaultESA_SA_EEPbZNS1_13binary_searchIS3_S5_PySB_SC_NS1_16binary_search_opENS8_6detail16wrapped_functionINS0_4lessIvEEbEEEE10hipError_tPvRmT1_T2_T3_mmT4_T5_P12ihipStream_tbEUlRKyE_EESL_SP_SQ_mSR_SU_bEUlT_E_NS1_11comp_targetILNS1_3genE8ELNS1_11target_archE1030ELNS1_3gpuE2ELNS1_3repE0EEENS1_30default_config_static_selectorELNS0_4arch9wavefront6targetE1EEEvSO_
		.amdhsa_group_segment_fixed_size 0
		.amdhsa_private_segment_fixed_size 0
		.amdhsa_kernarg_size 56
		.amdhsa_user_sgpr_count 6
		.amdhsa_user_sgpr_private_segment_buffer 1
		.amdhsa_user_sgpr_dispatch_ptr 0
		.amdhsa_user_sgpr_queue_ptr 0
		.amdhsa_user_sgpr_kernarg_segment_ptr 1
		.amdhsa_user_sgpr_dispatch_id 0
		.amdhsa_user_sgpr_flat_scratch_init 0
		.amdhsa_user_sgpr_kernarg_preload_length 0
		.amdhsa_user_sgpr_kernarg_preload_offset 0
		.amdhsa_user_sgpr_private_segment_size 0
		.amdhsa_uses_dynamic_stack 0
		.amdhsa_system_sgpr_private_segment_wavefront_offset 0
		.amdhsa_system_sgpr_workgroup_id_x 1
		.amdhsa_system_sgpr_workgroup_id_y 0
		.amdhsa_system_sgpr_workgroup_id_z 0
		.amdhsa_system_sgpr_workgroup_info 0
		.amdhsa_system_vgpr_workitem_id 0
		.amdhsa_next_free_vgpr 1
		.amdhsa_next_free_sgpr 0
		.amdhsa_accum_offset 4
		.amdhsa_reserve_vcc 0
		.amdhsa_reserve_flat_scratch 0
		.amdhsa_float_round_mode_32 0
		.amdhsa_float_round_mode_16_64 0
		.amdhsa_float_denorm_mode_32 3
		.amdhsa_float_denorm_mode_16_64 3
		.amdhsa_dx10_clamp 1
		.amdhsa_ieee_mode 1
		.amdhsa_fp16_overflow 0
		.amdhsa_tg_split 0
		.amdhsa_exception_fp_ieee_invalid_op 0
		.amdhsa_exception_fp_denorm_src 0
		.amdhsa_exception_fp_ieee_div_zero 0
		.amdhsa_exception_fp_ieee_overflow 0
		.amdhsa_exception_fp_ieee_underflow 0
		.amdhsa_exception_fp_ieee_inexact 0
		.amdhsa_exception_int_div_zero 0
	.end_amdhsa_kernel
	.section	.text._ZN7rocprim17ROCPRIM_400000_NS6detail17trampoline_kernelINS0_14default_configENS1_29binary_search_config_selectorIybEEZNS1_14transform_implILb0ES3_S5_N6thrust23THRUST_200600_302600_NS17counting_iteratorIyNS8_11use_defaultESA_SA_EEPbZNS1_13binary_searchIS3_S5_PySB_SC_NS1_16binary_search_opENS8_6detail16wrapped_functionINS0_4lessIvEEbEEEE10hipError_tPvRmT1_T2_T3_mmT4_T5_P12ihipStream_tbEUlRKyE_EESL_SP_SQ_mSR_SU_bEUlT_E_NS1_11comp_targetILNS1_3genE8ELNS1_11target_archE1030ELNS1_3gpuE2ELNS1_3repE0EEENS1_30default_config_static_selectorELNS0_4arch9wavefront6targetE1EEEvSO_,"axG",@progbits,_ZN7rocprim17ROCPRIM_400000_NS6detail17trampoline_kernelINS0_14default_configENS1_29binary_search_config_selectorIybEEZNS1_14transform_implILb0ES3_S5_N6thrust23THRUST_200600_302600_NS17counting_iteratorIyNS8_11use_defaultESA_SA_EEPbZNS1_13binary_searchIS3_S5_PySB_SC_NS1_16binary_search_opENS8_6detail16wrapped_functionINS0_4lessIvEEbEEEE10hipError_tPvRmT1_T2_T3_mmT4_T5_P12ihipStream_tbEUlRKyE_EESL_SP_SQ_mSR_SU_bEUlT_E_NS1_11comp_targetILNS1_3genE8ELNS1_11target_archE1030ELNS1_3gpuE2ELNS1_3repE0EEENS1_30default_config_static_selectorELNS0_4arch9wavefront6targetE1EEEvSO_,comdat
.Lfunc_end198:
	.size	_ZN7rocprim17ROCPRIM_400000_NS6detail17trampoline_kernelINS0_14default_configENS1_29binary_search_config_selectorIybEEZNS1_14transform_implILb0ES3_S5_N6thrust23THRUST_200600_302600_NS17counting_iteratorIyNS8_11use_defaultESA_SA_EEPbZNS1_13binary_searchIS3_S5_PySB_SC_NS1_16binary_search_opENS8_6detail16wrapped_functionINS0_4lessIvEEbEEEE10hipError_tPvRmT1_T2_T3_mmT4_T5_P12ihipStream_tbEUlRKyE_EESL_SP_SQ_mSR_SU_bEUlT_E_NS1_11comp_targetILNS1_3genE8ELNS1_11target_archE1030ELNS1_3gpuE2ELNS1_3repE0EEENS1_30default_config_static_selectorELNS0_4arch9wavefront6targetE1EEEvSO_, .Lfunc_end198-_ZN7rocprim17ROCPRIM_400000_NS6detail17trampoline_kernelINS0_14default_configENS1_29binary_search_config_selectorIybEEZNS1_14transform_implILb0ES3_S5_N6thrust23THRUST_200600_302600_NS17counting_iteratorIyNS8_11use_defaultESA_SA_EEPbZNS1_13binary_searchIS3_S5_PySB_SC_NS1_16binary_search_opENS8_6detail16wrapped_functionINS0_4lessIvEEbEEEE10hipError_tPvRmT1_T2_T3_mmT4_T5_P12ihipStream_tbEUlRKyE_EESL_SP_SQ_mSR_SU_bEUlT_E_NS1_11comp_targetILNS1_3genE8ELNS1_11target_archE1030ELNS1_3gpuE2ELNS1_3repE0EEENS1_30default_config_static_selectorELNS0_4arch9wavefront6targetE1EEEvSO_
                                        ; -- End function
	.section	.AMDGPU.csdata,"",@progbits
; Kernel info:
; codeLenInByte = 0
; NumSgprs: 4
; NumVgprs: 0
; NumAgprs: 0
; TotalNumVgprs: 0
; ScratchSize: 0
; MemoryBound: 0
; FloatMode: 240
; IeeeMode: 1
; LDSByteSize: 0 bytes/workgroup (compile time only)
; SGPRBlocks: 0
; VGPRBlocks: 0
; NumSGPRsForWavesPerEU: 4
; NumVGPRsForWavesPerEU: 1
; AccumOffset: 4
; Occupancy: 8
; WaveLimiterHint : 0
; COMPUTE_PGM_RSRC2:SCRATCH_EN: 0
; COMPUTE_PGM_RSRC2:USER_SGPR: 6
; COMPUTE_PGM_RSRC2:TRAP_HANDLER: 0
; COMPUTE_PGM_RSRC2:TGID_X_EN: 1
; COMPUTE_PGM_RSRC2:TGID_Y_EN: 0
; COMPUTE_PGM_RSRC2:TGID_Z_EN: 0
; COMPUTE_PGM_RSRC2:TIDIG_COMP_CNT: 0
; COMPUTE_PGM_RSRC3_GFX90A:ACCUM_OFFSET: 0
; COMPUTE_PGM_RSRC3_GFX90A:TG_SPLIT: 0
	.section	.text._Z20binary_search_kernelIjEvmPT_Pb,"axG",@progbits,_Z20binary_search_kernelIjEvmPT_Pb,comdat
	.protected	_Z20binary_search_kernelIjEvmPT_Pb ; -- Begin function _Z20binary_search_kernelIjEvmPT_Pb
	.globl	_Z20binary_search_kernelIjEvmPT_Pb
	.p2align	8
	.type	_Z20binary_search_kernelIjEvmPT_Pb,@function
_Z20binary_search_kernelIjEvmPT_Pb:     ; @_Z20binary_search_kernelIjEvmPT_Pb
; %bb.0:
	s_load_dwordx4 s[8:11], s[4:5], 0x0
	s_load_dwordx2 s[2:3], s[4:5], 0x10
	s_mov_b64 s[0:1], 0
	s_waitcnt lgkmcnt(0)
	s_cmp_eq_u64 s[8:9], 0
	s_cbranch_scc1 .LBB199_2
; %bb.1:
	s_load_dword s4, s[10:11], 0x0
	s_waitcnt lgkmcnt(0)
	s_cmp_eq_u32 s4, 0
	s_cselect_b64 s[6:7], -1, 0
	s_branch .LBB199_3
.LBB199_2:
	s_mov_b64 s[6:7], 0
.LBB199_3:
	s_lshl_b64 s[4:5], s[8:9], 2
	s_ashr_i64 s[4:5], s[4:5], 2
	v_cmp_lt_i64_e64 s[12:13], s[4:5], 1
	v_mov_b32_e32 v0, 0
	v_cndmask_b32_e64 v1, 0, 1, s[6:7]
	s_and_b64 vcc, exec, s[12:13]
	global_store_byte v0, v1, s[2:3]
	s_cbranch_vccnz .LBB199_6
; %bb.4:
	s_mov_b64 s[6:7], s[4:5]
.LBB199_5:                              ; =>This Inner Loop Header: Depth=1
	s_sub_u32 s12, s6, s0
	s_subb_u32 s13, s7, s1
	s_lshr_b32 s14, s13, 31
	s_add_u32 s12, s12, s14
	s_addc_u32 s13, s13, 0
	s_ashr_i64 s[12:13], s[12:13], 1
	s_add_u32 s12, s12, s0
	s_addc_u32 s13, s13, s1
	s_lshl_b64 s[14:15], s[12:13], 2
	s_add_u32 s14, s10, s14
	s_addc_u32 s15, s11, s15
	s_load_dword s14, s[14:15], 0x0
	s_add_u32 s15, s12, 1
	s_addc_u32 s16, s13, 0
	s_waitcnt lgkmcnt(0)
	s_cmp_eq_u32 s14, 0
	s_cselect_b32 s7, s7, s13
	s_cselect_b32 s6, s6, s12
	;; [unrolled: 1-line block ×4, first 2 shown]
	v_pk_mov_b32 v[0:1], s[6:7], s[6:7] op_sel:[0,1]
	v_cmp_lt_i64_e32 vcc, s[0:1], v[0:1]
	s_cbranch_vccnz .LBB199_5
.LBB199_6:
	v_cmp_gt_i64_e64 s[12:13], s[4:5], 0
	s_mov_b64 s[6:7], 0
	s_cmp_eq_u64 s[0:1], s[8:9]
	s_mov_b64 s[14:15], 0
	s_cbranch_scc1 .LBB199_8
; %bb.7:
	s_lshl_b64 s[0:1], s[0:1], 2
	s_add_u32 s0, s10, s0
	s_addc_u32 s1, s11, s1
	s_load_dword s0, s[0:1], 0x0
	s_waitcnt lgkmcnt(0)
	s_cmp_lt_u32 s0, 2
	s_cselect_b64 s[14:15], -1, 0
.LBB199_8:
	v_cndmask_b32_e64 v2, 0, 1, s[12:13]
	v_cndmask_b32_e64 v0, 0, 1, s[14:15]
	v_mov_b32_e32 v1, 0
	v_cmp_ne_u32_e64 s[0:1], 1, v2
	s_andn2_b64 vcc, exec, s[12:13]
	global_store_byte v1, v0, s[2:3] offset:1
	s_cbranch_vccnz .LBB199_11
; %bb.9:
	s_mov_b64 s[12:13], s[4:5]
.LBB199_10:                             ; =>This Inner Loop Header: Depth=1
	s_sub_u32 s14, s12, s6
	s_subb_u32 s15, s13, s7
	s_lshr_b32 s16, s15, 31
	s_add_u32 s14, s14, s16
	s_addc_u32 s15, s15, 0
	s_ashr_i64 s[14:15], s[14:15], 1
	s_add_u32 s14, s14, s6
	s_addc_u32 s15, s15, s7
	s_lshl_b64 s[16:17], s[14:15], 2
	s_add_u32 s16, s10, s16
	s_addc_u32 s17, s11, s17
	s_load_dword s16, s[16:17], 0x0
	s_add_u32 s17, s14, 1
	s_addc_u32 s18, s15, 0
	s_waitcnt lgkmcnt(0)
	s_cmp_lt_u32 s16, 2
	s_cselect_b32 s13, s13, s15
	s_cselect_b32 s12, s12, s14
	s_cselect_b32 s7, s18, s7
	s_cselect_b32 s6, s17, s6
	v_pk_mov_b32 v[0:1], s[12:13], s[12:13] op_sel:[0,1]
	v_cmp_lt_i64_e32 vcc, s[6:7], v[0:1]
	s_cbranch_vccnz .LBB199_10
.LBB199_11:
	s_mov_b64 s[12:13], 0
	s_cmp_eq_u64 s[6:7], s[8:9]
	s_mov_b64 s[14:15], 0
	s_cbranch_scc1 .LBB199_13
; %bb.12:
	s_lshl_b64 s[6:7], s[6:7], 2
	s_add_u32 s6, s10, s6
	s_addc_u32 s7, s11, s7
	s_load_dword s6, s[6:7], 0x0
	s_waitcnt lgkmcnt(0)
	s_cmp_lt_u32 s6, 3
	s_cselect_b64 s[14:15], -1, 0
.LBB199_13:
	v_cndmask_b32_e64 v0, 0, 1, s[14:15]
	v_mov_b32_e32 v1, 0
	s_and_b64 vcc, exec, s[0:1]
	global_store_byte v1, v0, s[2:3] offset:2
	s_cbranch_vccnz .LBB199_16
; %bb.14:
	s_mov_b64 s[6:7], s[4:5]
.LBB199_15:                             ; =>This Inner Loop Header: Depth=1
	s_sub_u32 s14, s6, s12
	s_subb_u32 s15, s7, s13
	s_lshr_b32 s16, s15, 31
	s_add_u32 s14, s14, s16
	s_addc_u32 s15, s15, 0
	s_ashr_i64 s[14:15], s[14:15], 1
	s_add_u32 s14, s14, s12
	s_addc_u32 s15, s15, s13
	s_lshl_b64 s[16:17], s[14:15], 2
	s_add_u32 s16, s10, s16
	s_addc_u32 s17, s11, s17
	s_load_dword s16, s[16:17], 0x0
	s_add_u32 s17, s14, 1
	s_addc_u32 s18, s15, 0
	s_waitcnt lgkmcnt(0)
	s_cmp_lt_u32 s16, 3
	s_cselect_b32 s7, s7, s15
	s_cselect_b32 s6, s6, s14
	s_cselect_b32 s13, s18, s13
	s_cselect_b32 s12, s17, s12
	v_pk_mov_b32 v[0:1], s[6:7], s[6:7] op_sel:[0,1]
	v_cmp_lt_i64_e32 vcc, s[12:13], v[0:1]
	s_cbranch_vccnz .LBB199_15
.LBB199_16:
	s_mov_b64 s[6:7], 0
	s_cmp_eq_u64 s[12:13], s[8:9]
	s_mov_b64 s[14:15], 0
	s_cbranch_scc1 .LBB199_18
; %bb.17:
	s_lshl_b64 s[12:13], s[12:13], 2
	s_add_u32 s12, s10, s12
	s_addc_u32 s13, s11, s13
	s_load_dword s12, s[12:13], 0x0
	s_waitcnt lgkmcnt(0)
	s_cmp_lt_u32 s12, 4
	s_cselect_b64 s[14:15], -1, 0
.LBB199_18:
	v_cndmask_b32_e64 v0, 0, 1, s[14:15]
	v_mov_b32_e32 v1, 0
	s_and_b64 vcc, exec, s[0:1]
	;; [unrolled: 45-line block ×7, first 2 shown]
	global_store_byte v1, v0, s[2:3] offset:8
	s_cbranch_vccnz .LBB199_45
.LBB199_44:                             ; =>This Inner Loop Header: Depth=1
	s_sub_u32 s0, s4, s6
	s_subb_u32 s1, s5, s7
	s_lshr_b32 s12, s1, 31
	s_add_u32 s0, s0, s12
	s_addc_u32 s1, s1, 0
	s_ashr_i64 s[0:1], s[0:1], 1
	s_add_u32 s0, s0, s6
	s_addc_u32 s1, s1, s7
	s_lshl_b64 s[12:13], s[0:1], 2
	s_add_u32 s12, s10, s12
	s_addc_u32 s13, s11, s13
	s_load_dword s12, s[12:13], 0x0
	s_add_u32 s13, s0, 1
	s_addc_u32 s14, s1, 0
	s_waitcnt lgkmcnt(0)
	s_cmp_lt_u32 s12, 9
	s_cselect_b32 s5, s5, s1
	s_cselect_b32 s4, s4, s0
	;; [unrolled: 1-line block ×4, first 2 shown]
	v_pk_mov_b32 v[0:1], s[4:5], s[4:5] op_sel:[0,1]
	v_cmp_lt_i64_e32 vcc, s[6:7], v[0:1]
	s_cbranch_vccnz .LBB199_44
.LBB199_45:
	s_cmp_eq_u64 s[6:7], s[8:9]
	s_mov_b64 s[0:1], 0
	s_cbranch_scc1 .LBB199_47
; %bb.46:
	s_lshl_b64 s[0:1], s[6:7], 2
	s_add_u32 s0, s10, s0
	s_addc_u32 s1, s11, s1
	s_load_dword s0, s[0:1], 0x0
	s_waitcnt lgkmcnt(0)
	s_cmp_lt_u32 s0, 10
	s_cselect_b64 s[0:1], -1, 0
.LBB199_47:
	v_mov_b32_e32 v0, 0
	v_cndmask_b32_e64 v1, 0, 1, s[0:1]
	global_store_byte v0, v1, s[2:3] offset:9
	s_endpgm
	.section	.rodata,"a",@progbits
	.p2align	6, 0x0
	.amdhsa_kernel _Z20binary_search_kernelIjEvmPT_Pb
		.amdhsa_group_segment_fixed_size 0
		.amdhsa_private_segment_fixed_size 0
		.amdhsa_kernarg_size 24
		.amdhsa_user_sgpr_count 6
		.amdhsa_user_sgpr_private_segment_buffer 1
		.amdhsa_user_sgpr_dispatch_ptr 0
		.amdhsa_user_sgpr_queue_ptr 0
		.amdhsa_user_sgpr_kernarg_segment_ptr 1
		.amdhsa_user_sgpr_dispatch_id 0
		.amdhsa_user_sgpr_flat_scratch_init 0
		.amdhsa_user_sgpr_kernarg_preload_length 0
		.amdhsa_user_sgpr_kernarg_preload_offset 0
		.amdhsa_user_sgpr_private_segment_size 0
		.amdhsa_uses_dynamic_stack 0
		.amdhsa_system_sgpr_private_segment_wavefront_offset 0
		.amdhsa_system_sgpr_workgroup_id_x 1
		.amdhsa_system_sgpr_workgroup_id_y 0
		.amdhsa_system_sgpr_workgroup_id_z 0
		.amdhsa_system_sgpr_workgroup_info 0
		.amdhsa_system_vgpr_workitem_id 0
		.amdhsa_next_free_vgpr 3
		.amdhsa_next_free_sgpr 19
		.amdhsa_accum_offset 4
		.amdhsa_reserve_vcc 1
		.amdhsa_reserve_flat_scratch 0
		.amdhsa_float_round_mode_32 0
		.amdhsa_float_round_mode_16_64 0
		.amdhsa_float_denorm_mode_32 3
		.amdhsa_float_denorm_mode_16_64 3
		.amdhsa_dx10_clamp 1
		.amdhsa_ieee_mode 1
		.amdhsa_fp16_overflow 0
		.amdhsa_tg_split 0
		.amdhsa_exception_fp_ieee_invalid_op 0
		.amdhsa_exception_fp_denorm_src 0
		.amdhsa_exception_fp_ieee_div_zero 0
		.amdhsa_exception_fp_ieee_overflow 0
		.amdhsa_exception_fp_ieee_underflow 0
		.amdhsa_exception_fp_ieee_inexact 0
		.amdhsa_exception_int_div_zero 0
	.end_amdhsa_kernel
	.section	.text._Z20binary_search_kernelIjEvmPT_Pb,"axG",@progbits,_Z20binary_search_kernelIjEvmPT_Pb,comdat
.Lfunc_end199:
	.size	_Z20binary_search_kernelIjEvmPT_Pb, .Lfunc_end199-_Z20binary_search_kernelIjEvmPT_Pb
                                        ; -- End function
	.section	.AMDGPU.csdata,"",@progbits
; Kernel info:
; codeLenInByte = 1736
; NumSgprs: 23
; NumVgprs: 3
; NumAgprs: 0
; TotalNumVgprs: 3
; ScratchSize: 0
; MemoryBound: 0
; FloatMode: 240
; IeeeMode: 1
; LDSByteSize: 0 bytes/workgroup (compile time only)
; SGPRBlocks: 2
; VGPRBlocks: 0
; NumSGPRsForWavesPerEU: 23
; NumVGPRsForWavesPerEU: 3
; AccumOffset: 4
; Occupancy: 8
; WaveLimiterHint : 0
; COMPUTE_PGM_RSRC2:SCRATCH_EN: 0
; COMPUTE_PGM_RSRC2:USER_SGPR: 6
; COMPUTE_PGM_RSRC2:TRAP_HANDLER: 0
; COMPUTE_PGM_RSRC2:TGID_X_EN: 1
; COMPUTE_PGM_RSRC2:TGID_Y_EN: 0
; COMPUTE_PGM_RSRC2:TGID_Z_EN: 0
; COMPUTE_PGM_RSRC2:TIDIG_COMP_CNT: 0
; COMPUTE_PGM_RSRC3_GFX90A:ACCUM_OFFSET: 0
; COMPUTE_PGM_RSRC3_GFX90A:TG_SPLIT: 0
	.section	.text._ZN7rocprim17ROCPRIM_400000_NS6detail17trampoline_kernelINS0_14default_configENS1_29binary_search_config_selectorIjbEEZNS1_14transform_implILb0ES3_S5_N6thrust23THRUST_200600_302600_NS17counting_iteratorIjNS8_11use_defaultESA_SA_EEPbZNS1_13binary_searchIS3_S5_PjSB_SC_NS1_16binary_search_opENS8_6detail16wrapped_functionINS0_4lessIvEEbEEEE10hipError_tPvRmT1_T2_T3_mmT4_T5_P12ihipStream_tbEUlRKjE_EESL_SP_SQ_mSR_SU_bEUlT_E_NS1_11comp_targetILNS1_3genE0ELNS1_11target_archE4294967295ELNS1_3gpuE0ELNS1_3repE0EEENS1_30default_config_static_selectorELNS0_4arch9wavefront6targetE1EEEvSO_,"axG",@progbits,_ZN7rocprim17ROCPRIM_400000_NS6detail17trampoline_kernelINS0_14default_configENS1_29binary_search_config_selectorIjbEEZNS1_14transform_implILb0ES3_S5_N6thrust23THRUST_200600_302600_NS17counting_iteratorIjNS8_11use_defaultESA_SA_EEPbZNS1_13binary_searchIS3_S5_PjSB_SC_NS1_16binary_search_opENS8_6detail16wrapped_functionINS0_4lessIvEEbEEEE10hipError_tPvRmT1_T2_T3_mmT4_T5_P12ihipStream_tbEUlRKjE_EESL_SP_SQ_mSR_SU_bEUlT_E_NS1_11comp_targetILNS1_3genE0ELNS1_11target_archE4294967295ELNS1_3gpuE0ELNS1_3repE0EEENS1_30default_config_static_selectorELNS0_4arch9wavefront6targetE1EEEvSO_,comdat
	.protected	_ZN7rocprim17ROCPRIM_400000_NS6detail17trampoline_kernelINS0_14default_configENS1_29binary_search_config_selectorIjbEEZNS1_14transform_implILb0ES3_S5_N6thrust23THRUST_200600_302600_NS17counting_iteratorIjNS8_11use_defaultESA_SA_EEPbZNS1_13binary_searchIS3_S5_PjSB_SC_NS1_16binary_search_opENS8_6detail16wrapped_functionINS0_4lessIvEEbEEEE10hipError_tPvRmT1_T2_T3_mmT4_T5_P12ihipStream_tbEUlRKjE_EESL_SP_SQ_mSR_SU_bEUlT_E_NS1_11comp_targetILNS1_3genE0ELNS1_11target_archE4294967295ELNS1_3gpuE0ELNS1_3repE0EEENS1_30default_config_static_selectorELNS0_4arch9wavefront6targetE1EEEvSO_ ; -- Begin function _ZN7rocprim17ROCPRIM_400000_NS6detail17trampoline_kernelINS0_14default_configENS1_29binary_search_config_selectorIjbEEZNS1_14transform_implILb0ES3_S5_N6thrust23THRUST_200600_302600_NS17counting_iteratorIjNS8_11use_defaultESA_SA_EEPbZNS1_13binary_searchIS3_S5_PjSB_SC_NS1_16binary_search_opENS8_6detail16wrapped_functionINS0_4lessIvEEbEEEE10hipError_tPvRmT1_T2_T3_mmT4_T5_P12ihipStream_tbEUlRKjE_EESL_SP_SQ_mSR_SU_bEUlT_E_NS1_11comp_targetILNS1_3genE0ELNS1_11target_archE4294967295ELNS1_3gpuE0ELNS1_3repE0EEENS1_30default_config_static_selectorELNS0_4arch9wavefront6targetE1EEEvSO_
	.globl	_ZN7rocprim17ROCPRIM_400000_NS6detail17trampoline_kernelINS0_14default_configENS1_29binary_search_config_selectorIjbEEZNS1_14transform_implILb0ES3_S5_N6thrust23THRUST_200600_302600_NS17counting_iteratorIjNS8_11use_defaultESA_SA_EEPbZNS1_13binary_searchIS3_S5_PjSB_SC_NS1_16binary_search_opENS8_6detail16wrapped_functionINS0_4lessIvEEbEEEE10hipError_tPvRmT1_T2_T3_mmT4_T5_P12ihipStream_tbEUlRKjE_EESL_SP_SQ_mSR_SU_bEUlT_E_NS1_11comp_targetILNS1_3genE0ELNS1_11target_archE4294967295ELNS1_3gpuE0ELNS1_3repE0EEENS1_30default_config_static_selectorELNS0_4arch9wavefront6targetE1EEEvSO_
	.p2align	8
	.type	_ZN7rocprim17ROCPRIM_400000_NS6detail17trampoline_kernelINS0_14default_configENS1_29binary_search_config_selectorIjbEEZNS1_14transform_implILb0ES3_S5_N6thrust23THRUST_200600_302600_NS17counting_iteratorIjNS8_11use_defaultESA_SA_EEPbZNS1_13binary_searchIS3_S5_PjSB_SC_NS1_16binary_search_opENS8_6detail16wrapped_functionINS0_4lessIvEEbEEEE10hipError_tPvRmT1_T2_T3_mmT4_T5_P12ihipStream_tbEUlRKjE_EESL_SP_SQ_mSR_SU_bEUlT_E_NS1_11comp_targetILNS1_3genE0ELNS1_11target_archE4294967295ELNS1_3gpuE0ELNS1_3repE0EEENS1_30default_config_static_selectorELNS0_4arch9wavefront6targetE1EEEvSO_,@function
_ZN7rocprim17ROCPRIM_400000_NS6detail17trampoline_kernelINS0_14default_configENS1_29binary_search_config_selectorIjbEEZNS1_14transform_implILb0ES3_S5_N6thrust23THRUST_200600_302600_NS17counting_iteratorIjNS8_11use_defaultESA_SA_EEPbZNS1_13binary_searchIS3_S5_PjSB_SC_NS1_16binary_search_opENS8_6detail16wrapped_functionINS0_4lessIvEEbEEEE10hipError_tPvRmT1_T2_T3_mmT4_T5_P12ihipStream_tbEUlRKjE_EESL_SP_SQ_mSR_SU_bEUlT_E_NS1_11comp_targetILNS1_3genE0ELNS1_11target_archE4294967295ELNS1_3gpuE0ELNS1_3repE0EEENS1_30default_config_static_selectorELNS0_4arch9wavefront6targetE1EEEvSO_: ; @_ZN7rocprim17ROCPRIM_400000_NS6detail17trampoline_kernelINS0_14default_configENS1_29binary_search_config_selectorIjbEEZNS1_14transform_implILb0ES3_S5_N6thrust23THRUST_200600_302600_NS17counting_iteratorIjNS8_11use_defaultESA_SA_EEPbZNS1_13binary_searchIS3_S5_PjSB_SC_NS1_16binary_search_opENS8_6detail16wrapped_functionINS0_4lessIvEEbEEEE10hipError_tPvRmT1_T2_T3_mmT4_T5_P12ihipStream_tbEUlRKjE_EESL_SP_SQ_mSR_SU_bEUlT_E_NS1_11comp_targetILNS1_3genE0ELNS1_11target_archE4294967295ELNS1_3gpuE0ELNS1_3repE0EEENS1_30default_config_static_selectorELNS0_4arch9wavefront6targetE1EEEvSO_
; %bb.0:
	.section	.rodata,"a",@progbits
	.p2align	6, 0x0
	.amdhsa_kernel _ZN7rocprim17ROCPRIM_400000_NS6detail17trampoline_kernelINS0_14default_configENS1_29binary_search_config_selectorIjbEEZNS1_14transform_implILb0ES3_S5_N6thrust23THRUST_200600_302600_NS17counting_iteratorIjNS8_11use_defaultESA_SA_EEPbZNS1_13binary_searchIS3_S5_PjSB_SC_NS1_16binary_search_opENS8_6detail16wrapped_functionINS0_4lessIvEEbEEEE10hipError_tPvRmT1_T2_T3_mmT4_T5_P12ihipStream_tbEUlRKjE_EESL_SP_SQ_mSR_SU_bEUlT_E_NS1_11comp_targetILNS1_3genE0ELNS1_11target_archE4294967295ELNS1_3gpuE0ELNS1_3repE0EEENS1_30default_config_static_selectorELNS0_4arch9wavefront6targetE1EEEvSO_
		.amdhsa_group_segment_fixed_size 0
		.amdhsa_private_segment_fixed_size 0
		.amdhsa_kernarg_size 56
		.amdhsa_user_sgpr_count 6
		.amdhsa_user_sgpr_private_segment_buffer 1
		.amdhsa_user_sgpr_dispatch_ptr 0
		.amdhsa_user_sgpr_queue_ptr 0
		.amdhsa_user_sgpr_kernarg_segment_ptr 1
		.amdhsa_user_sgpr_dispatch_id 0
		.amdhsa_user_sgpr_flat_scratch_init 0
		.amdhsa_user_sgpr_kernarg_preload_length 0
		.amdhsa_user_sgpr_kernarg_preload_offset 0
		.amdhsa_user_sgpr_private_segment_size 0
		.amdhsa_uses_dynamic_stack 0
		.amdhsa_system_sgpr_private_segment_wavefront_offset 0
		.amdhsa_system_sgpr_workgroup_id_x 1
		.amdhsa_system_sgpr_workgroup_id_y 0
		.amdhsa_system_sgpr_workgroup_id_z 0
		.amdhsa_system_sgpr_workgroup_info 0
		.amdhsa_system_vgpr_workitem_id 0
		.amdhsa_next_free_vgpr 1
		.amdhsa_next_free_sgpr 0
		.amdhsa_accum_offset 4
		.amdhsa_reserve_vcc 0
		.amdhsa_reserve_flat_scratch 0
		.amdhsa_float_round_mode_32 0
		.amdhsa_float_round_mode_16_64 0
		.amdhsa_float_denorm_mode_32 3
		.amdhsa_float_denorm_mode_16_64 3
		.amdhsa_dx10_clamp 1
		.amdhsa_ieee_mode 1
		.amdhsa_fp16_overflow 0
		.amdhsa_tg_split 0
		.amdhsa_exception_fp_ieee_invalid_op 0
		.amdhsa_exception_fp_denorm_src 0
		.amdhsa_exception_fp_ieee_div_zero 0
		.amdhsa_exception_fp_ieee_overflow 0
		.amdhsa_exception_fp_ieee_underflow 0
		.amdhsa_exception_fp_ieee_inexact 0
		.amdhsa_exception_int_div_zero 0
	.end_amdhsa_kernel
	.section	.text._ZN7rocprim17ROCPRIM_400000_NS6detail17trampoline_kernelINS0_14default_configENS1_29binary_search_config_selectorIjbEEZNS1_14transform_implILb0ES3_S5_N6thrust23THRUST_200600_302600_NS17counting_iteratorIjNS8_11use_defaultESA_SA_EEPbZNS1_13binary_searchIS3_S5_PjSB_SC_NS1_16binary_search_opENS8_6detail16wrapped_functionINS0_4lessIvEEbEEEE10hipError_tPvRmT1_T2_T3_mmT4_T5_P12ihipStream_tbEUlRKjE_EESL_SP_SQ_mSR_SU_bEUlT_E_NS1_11comp_targetILNS1_3genE0ELNS1_11target_archE4294967295ELNS1_3gpuE0ELNS1_3repE0EEENS1_30default_config_static_selectorELNS0_4arch9wavefront6targetE1EEEvSO_,"axG",@progbits,_ZN7rocprim17ROCPRIM_400000_NS6detail17trampoline_kernelINS0_14default_configENS1_29binary_search_config_selectorIjbEEZNS1_14transform_implILb0ES3_S5_N6thrust23THRUST_200600_302600_NS17counting_iteratorIjNS8_11use_defaultESA_SA_EEPbZNS1_13binary_searchIS3_S5_PjSB_SC_NS1_16binary_search_opENS8_6detail16wrapped_functionINS0_4lessIvEEbEEEE10hipError_tPvRmT1_T2_T3_mmT4_T5_P12ihipStream_tbEUlRKjE_EESL_SP_SQ_mSR_SU_bEUlT_E_NS1_11comp_targetILNS1_3genE0ELNS1_11target_archE4294967295ELNS1_3gpuE0ELNS1_3repE0EEENS1_30default_config_static_selectorELNS0_4arch9wavefront6targetE1EEEvSO_,comdat
.Lfunc_end200:
	.size	_ZN7rocprim17ROCPRIM_400000_NS6detail17trampoline_kernelINS0_14default_configENS1_29binary_search_config_selectorIjbEEZNS1_14transform_implILb0ES3_S5_N6thrust23THRUST_200600_302600_NS17counting_iteratorIjNS8_11use_defaultESA_SA_EEPbZNS1_13binary_searchIS3_S5_PjSB_SC_NS1_16binary_search_opENS8_6detail16wrapped_functionINS0_4lessIvEEbEEEE10hipError_tPvRmT1_T2_T3_mmT4_T5_P12ihipStream_tbEUlRKjE_EESL_SP_SQ_mSR_SU_bEUlT_E_NS1_11comp_targetILNS1_3genE0ELNS1_11target_archE4294967295ELNS1_3gpuE0ELNS1_3repE0EEENS1_30default_config_static_selectorELNS0_4arch9wavefront6targetE1EEEvSO_, .Lfunc_end200-_ZN7rocprim17ROCPRIM_400000_NS6detail17trampoline_kernelINS0_14default_configENS1_29binary_search_config_selectorIjbEEZNS1_14transform_implILb0ES3_S5_N6thrust23THRUST_200600_302600_NS17counting_iteratorIjNS8_11use_defaultESA_SA_EEPbZNS1_13binary_searchIS3_S5_PjSB_SC_NS1_16binary_search_opENS8_6detail16wrapped_functionINS0_4lessIvEEbEEEE10hipError_tPvRmT1_T2_T3_mmT4_T5_P12ihipStream_tbEUlRKjE_EESL_SP_SQ_mSR_SU_bEUlT_E_NS1_11comp_targetILNS1_3genE0ELNS1_11target_archE4294967295ELNS1_3gpuE0ELNS1_3repE0EEENS1_30default_config_static_selectorELNS0_4arch9wavefront6targetE1EEEvSO_
                                        ; -- End function
	.section	.AMDGPU.csdata,"",@progbits
; Kernel info:
; codeLenInByte = 0
; NumSgprs: 4
; NumVgprs: 0
; NumAgprs: 0
; TotalNumVgprs: 0
; ScratchSize: 0
; MemoryBound: 0
; FloatMode: 240
; IeeeMode: 1
; LDSByteSize: 0 bytes/workgroup (compile time only)
; SGPRBlocks: 0
; VGPRBlocks: 0
; NumSGPRsForWavesPerEU: 4
; NumVGPRsForWavesPerEU: 1
; AccumOffset: 4
; Occupancy: 8
; WaveLimiterHint : 0
; COMPUTE_PGM_RSRC2:SCRATCH_EN: 0
; COMPUTE_PGM_RSRC2:USER_SGPR: 6
; COMPUTE_PGM_RSRC2:TRAP_HANDLER: 0
; COMPUTE_PGM_RSRC2:TGID_X_EN: 1
; COMPUTE_PGM_RSRC2:TGID_Y_EN: 0
; COMPUTE_PGM_RSRC2:TGID_Z_EN: 0
; COMPUTE_PGM_RSRC2:TIDIG_COMP_CNT: 0
; COMPUTE_PGM_RSRC3_GFX90A:ACCUM_OFFSET: 0
; COMPUTE_PGM_RSRC3_GFX90A:TG_SPLIT: 0
	.section	.text._ZN7rocprim17ROCPRIM_400000_NS6detail17trampoline_kernelINS0_14default_configENS1_29binary_search_config_selectorIjbEEZNS1_14transform_implILb0ES3_S5_N6thrust23THRUST_200600_302600_NS17counting_iteratorIjNS8_11use_defaultESA_SA_EEPbZNS1_13binary_searchIS3_S5_PjSB_SC_NS1_16binary_search_opENS8_6detail16wrapped_functionINS0_4lessIvEEbEEEE10hipError_tPvRmT1_T2_T3_mmT4_T5_P12ihipStream_tbEUlRKjE_EESL_SP_SQ_mSR_SU_bEUlT_E_NS1_11comp_targetILNS1_3genE5ELNS1_11target_archE942ELNS1_3gpuE9ELNS1_3repE0EEENS1_30default_config_static_selectorELNS0_4arch9wavefront6targetE1EEEvSO_,"axG",@progbits,_ZN7rocprim17ROCPRIM_400000_NS6detail17trampoline_kernelINS0_14default_configENS1_29binary_search_config_selectorIjbEEZNS1_14transform_implILb0ES3_S5_N6thrust23THRUST_200600_302600_NS17counting_iteratorIjNS8_11use_defaultESA_SA_EEPbZNS1_13binary_searchIS3_S5_PjSB_SC_NS1_16binary_search_opENS8_6detail16wrapped_functionINS0_4lessIvEEbEEEE10hipError_tPvRmT1_T2_T3_mmT4_T5_P12ihipStream_tbEUlRKjE_EESL_SP_SQ_mSR_SU_bEUlT_E_NS1_11comp_targetILNS1_3genE5ELNS1_11target_archE942ELNS1_3gpuE9ELNS1_3repE0EEENS1_30default_config_static_selectorELNS0_4arch9wavefront6targetE1EEEvSO_,comdat
	.protected	_ZN7rocprim17ROCPRIM_400000_NS6detail17trampoline_kernelINS0_14default_configENS1_29binary_search_config_selectorIjbEEZNS1_14transform_implILb0ES3_S5_N6thrust23THRUST_200600_302600_NS17counting_iteratorIjNS8_11use_defaultESA_SA_EEPbZNS1_13binary_searchIS3_S5_PjSB_SC_NS1_16binary_search_opENS8_6detail16wrapped_functionINS0_4lessIvEEbEEEE10hipError_tPvRmT1_T2_T3_mmT4_T5_P12ihipStream_tbEUlRKjE_EESL_SP_SQ_mSR_SU_bEUlT_E_NS1_11comp_targetILNS1_3genE5ELNS1_11target_archE942ELNS1_3gpuE9ELNS1_3repE0EEENS1_30default_config_static_selectorELNS0_4arch9wavefront6targetE1EEEvSO_ ; -- Begin function _ZN7rocprim17ROCPRIM_400000_NS6detail17trampoline_kernelINS0_14default_configENS1_29binary_search_config_selectorIjbEEZNS1_14transform_implILb0ES3_S5_N6thrust23THRUST_200600_302600_NS17counting_iteratorIjNS8_11use_defaultESA_SA_EEPbZNS1_13binary_searchIS3_S5_PjSB_SC_NS1_16binary_search_opENS8_6detail16wrapped_functionINS0_4lessIvEEbEEEE10hipError_tPvRmT1_T2_T3_mmT4_T5_P12ihipStream_tbEUlRKjE_EESL_SP_SQ_mSR_SU_bEUlT_E_NS1_11comp_targetILNS1_3genE5ELNS1_11target_archE942ELNS1_3gpuE9ELNS1_3repE0EEENS1_30default_config_static_selectorELNS0_4arch9wavefront6targetE1EEEvSO_
	.globl	_ZN7rocprim17ROCPRIM_400000_NS6detail17trampoline_kernelINS0_14default_configENS1_29binary_search_config_selectorIjbEEZNS1_14transform_implILb0ES3_S5_N6thrust23THRUST_200600_302600_NS17counting_iteratorIjNS8_11use_defaultESA_SA_EEPbZNS1_13binary_searchIS3_S5_PjSB_SC_NS1_16binary_search_opENS8_6detail16wrapped_functionINS0_4lessIvEEbEEEE10hipError_tPvRmT1_T2_T3_mmT4_T5_P12ihipStream_tbEUlRKjE_EESL_SP_SQ_mSR_SU_bEUlT_E_NS1_11comp_targetILNS1_3genE5ELNS1_11target_archE942ELNS1_3gpuE9ELNS1_3repE0EEENS1_30default_config_static_selectorELNS0_4arch9wavefront6targetE1EEEvSO_
	.p2align	8
	.type	_ZN7rocprim17ROCPRIM_400000_NS6detail17trampoline_kernelINS0_14default_configENS1_29binary_search_config_selectorIjbEEZNS1_14transform_implILb0ES3_S5_N6thrust23THRUST_200600_302600_NS17counting_iteratorIjNS8_11use_defaultESA_SA_EEPbZNS1_13binary_searchIS3_S5_PjSB_SC_NS1_16binary_search_opENS8_6detail16wrapped_functionINS0_4lessIvEEbEEEE10hipError_tPvRmT1_T2_T3_mmT4_T5_P12ihipStream_tbEUlRKjE_EESL_SP_SQ_mSR_SU_bEUlT_E_NS1_11comp_targetILNS1_3genE5ELNS1_11target_archE942ELNS1_3gpuE9ELNS1_3repE0EEENS1_30default_config_static_selectorELNS0_4arch9wavefront6targetE1EEEvSO_,@function
_ZN7rocprim17ROCPRIM_400000_NS6detail17trampoline_kernelINS0_14default_configENS1_29binary_search_config_selectorIjbEEZNS1_14transform_implILb0ES3_S5_N6thrust23THRUST_200600_302600_NS17counting_iteratorIjNS8_11use_defaultESA_SA_EEPbZNS1_13binary_searchIS3_S5_PjSB_SC_NS1_16binary_search_opENS8_6detail16wrapped_functionINS0_4lessIvEEbEEEE10hipError_tPvRmT1_T2_T3_mmT4_T5_P12ihipStream_tbEUlRKjE_EESL_SP_SQ_mSR_SU_bEUlT_E_NS1_11comp_targetILNS1_3genE5ELNS1_11target_archE942ELNS1_3gpuE9ELNS1_3repE0EEENS1_30default_config_static_selectorELNS0_4arch9wavefront6targetE1EEEvSO_: ; @_ZN7rocprim17ROCPRIM_400000_NS6detail17trampoline_kernelINS0_14default_configENS1_29binary_search_config_selectorIjbEEZNS1_14transform_implILb0ES3_S5_N6thrust23THRUST_200600_302600_NS17counting_iteratorIjNS8_11use_defaultESA_SA_EEPbZNS1_13binary_searchIS3_S5_PjSB_SC_NS1_16binary_search_opENS8_6detail16wrapped_functionINS0_4lessIvEEbEEEE10hipError_tPvRmT1_T2_T3_mmT4_T5_P12ihipStream_tbEUlRKjE_EESL_SP_SQ_mSR_SU_bEUlT_E_NS1_11comp_targetILNS1_3genE5ELNS1_11target_archE942ELNS1_3gpuE9ELNS1_3repE0EEENS1_30default_config_static_selectorELNS0_4arch9wavefront6targetE1EEEvSO_
; %bb.0:
	.section	.rodata,"a",@progbits
	.p2align	6, 0x0
	.amdhsa_kernel _ZN7rocprim17ROCPRIM_400000_NS6detail17trampoline_kernelINS0_14default_configENS1_29binary_search_config_selectorIjbEEZNS1_14transform_implILb0ES3_S5_N6thrust23THRUST_200600_302600_NS17counting_iteratorIjNS8_11use_defaultESA_SA_EEPbZNS1_13binary_searchIS3_S5_PjSB_SC_NS1_16binary_search_opENS8_6detail16wrapped_functionINS0_4lessIvEEbEEEE10hipError_tPvRmT1_T2_T3_mmT4_T5_P12ihipStream_tbEUlRKjE_EESL_SP_SQ_mSR_SU_bEUlT_E_NS1_11comp_targetILNS1_3genE5ELNS1_11target_archE942ELNS1_3gpuE9ELNS1_3repE0EEENS1_30default_config_static_selectorELNS0_4arch9wavefront6targetE1EEEvSO_
		.amdhsa_group_segment_fixed_size 0
		.amdhsa_private_segment_fixed_size 0
		.amdhsa_kernarg_size 56
		.amdhsa_user_sgpr_count 6
		.amdhsa_user_sgpr_private_segment_buffer 1
		.amdhsa_user_sgpr_dispatch_ptr 0
		.amdhsa_user_sgpr_queue_ptr 0
		.amdhsa_user_sgpr_kernarg_segment_ptr 1
		.amdhsa_user_sgpr_dispatch_id 0
		.amdhsa_user_sgpr_flat_scratch_init 0
		.amdhsa_user_sgpr_kernarg_preload_length 0
		.amdhsa_user_sgpr_kernarg_preload_offset 0
		.amdhsa_user_sgpr_private_segment_size 0
		.amdhsa_uses_dynamic_stack 0
		.amdhsa_system_sgpr_private_segment_wavefront_offset 0
		.amdhsa_system_sgpr_workgroup_id_x 1
		.amdhsa_system_sgpr_workgroup_id_y 0
		.amdhsa_system_sgpr_workgroup_id_z 0
		.amdhsa_system_sgpr_workgroup_info 0
		.amdhsa_system_vgpr_workitem_id 0
		.amdhsa_next_free_vgpr 1
		.amdhsa_next_free_sgpr 0
		.amdhsa_accum_offset 4
		.amdhsa_reserve_vcc 0
		.amdhsa_reserve_flat_scratch 0
		.amdhsa_float_round_mode_32 0
		.amdhsa_float_round_mode_16_64 0
		.amdhsa_float_denorm_mode_32 3
		.amdhsa_float_denorm_mode_16_64 3
		.amdhsa_dx10_clamp 1
		.amdhsa_ieee_mode 1
		.amdhsa_fp16_overflow 0
		.amdhsa_tg_split 0
		.amdhsa_exception_fp_ieee_invalid_op 0
		.amdhsa_exception_fp_denorm_src 0
		.amdhsa_exception_fp_ieee_div_zero 0
		.amdhsa_exception_fp_ieee_overflow 0
		.amdhsa_exception_fp_ieee_underflow 0
		.amdhsa_exception_fp_ieee_inexact 0
		.amdhsa_exception_int_div_zero 0
	.end_amdhsa_kernel
	.section	.text._ZN7rocprim17ROCPRIM_400000_NS6detail17trampoline_kernelINS0_14default_configENS1_29binary_search_config_selectorIjbEEZNS1_14transform_implILb0ES3_S5_N6thrust23THRUST_200600_302600_NS17counting_iteratorIjNS8_11use_defaultESA_SA_EEPbZNS1_13binary_searchIS3_S5_PjSB_SC_NS1_16binary_search_opENS8_6detail16wrapped_functionINS0_4lessIvEEbEEEE10hipError_tPvRmT1_T2_T3_mmT4_T5_P12ihipStream_tbEUlRKjE_EESL_SP_SQ_mSR_SU_bEUlT_E_NS1_11comp_targetILNS1_3genE5ELNS1_11target_archE942ELNS1_3gpuE9ELNS1_3repE0EEENS1_30default_config_static_selectorELNS0_4arch9wavefront6targetE1EEEvSO_,"axG",@progbits,_ZN7rocprim17ROCPRIM_400000_NS6detail17trampoline_kernelINS0_14default_configENS1_29binary_search_config_selectorIjbEEZNS1_14transform_implILb0ES3_S5_N6thrust23THRUST_200600_302600_NS17counting_iteratorIjNS8_11use_defaultESA_SA_EEPbZNS1_13binary_searchIS3_S5_PjSB_SC_NS1_16binary_search_opENS8_6detail16wrapped_functionINS0_4lessIvEEbEEEE10hipError_tPvRmT1_T2_T3_mmT4_T5_P12ihipStream_tbEUlRKjE_EESL_SP_SQ_mSR_SU_bEUlT_E_NS1_11comp_targetILNS1_3genE5ELNS1_11target_archE942ELNS1_3gpuE9ELNS1_3repE0EEENS1_30default_config_static_selectorELNS0_4arch9wavefront6targetE1EEEvSO_,comdat
.Lfunc_end201:
	.size	_ZN7rocprim17ROCPRIM_400000_NS6detail17trampoline_kernelINS0_14default_configENS1_29binary_search_config_selectorIjbEEZNS1_14transform_implILb0ES3_S5_N6thrust23THRUST_200600_302600_NS17counting_iteratorIjNS8_11use_defaultESA_SA_EEPbZNS1_13binary_searchIS3_S5_PjSB_SC_NS1_16binary_search_opENS8_6detail16wrapped_functionINS0_4lessIvEEbEEEE10hipError_tPvRmT1_T2_T3_mmT4_T5_P12ihipStream_tbEUlRKjE_EESL_SP_SQ_mSR_SU_bEUlT_E_NS1_11comp_targetILNS1_3genE5ELNS1_11target_archE942ELNS1_3gpuE9ELNS1_3repE0EEENS1_30default_config_static_selectorELNS0_4arch9wavefront6targetE1EEEvSO_, .Lfunc_end201-_ZN7rocprim17ROCPRIM_400000_NS6detail17trampoline_kernelINS0_14default_configENS1_29binary_search_config_selectorIjbEEZNS1_14transform_implILb0ES3_S5_N6thrust23THRUST_200600_302600_NS17counting_iteratorIjNS8_11use_defaultESA_SA_EEPbZNS1_13binary_searchIS3_S5_PjSB_SC_NS1_16binary_search_opENS8_6detail16wrapped_functionINS0_4lessIvEEbEEEE10hipError_tPvRmT1_T2_T3_mmT4_T5_P12ihipStream_tbEUlRKjE_EESL_SP_SQ_mSR_SU_bEUlT_E_NS1_11comp_targetILNS1_3genE5ELNS1_11target_archE942ELNS1_3gpuE9ELNS1_3repE0EEENS1_30default_config_static_selectorELNS0_4arch9wavefront6targetE1EEEvSO_
                                        ; -- End function
	.section	.AMDGPU.csdata,"",@progbits
; Kernel info:
; codeLenInByte = 0
; NumSgprs: 4
; NumVgprs: 0
; NumAgprs: 0
; TotalNumVgprs: 0
; ScratchSize: 0
; MemoryBound: 0
; FloatMode: 240
; IeeeMode: 1
; LDSByteSize: 0 bytes/workgroup (compile time only)
; SGPRBlocks: 0
; VGPRBlocks: 0
; NumSGPRsForWavesPerEU: 4
; NumVGPRsForWavesPerEU: 1
; AccumOffset: 4
; Occupancy: 8
; WaveLimiterHint : 0
; COMPUTE_PGM_RSRC2:SCRATCH_EN: 0
; COMPUTE_PGM_RSRC2:USER_SGPR: 6
; COMPUTE_PGM_RSRC2:TRAP_HANDLER: 0
; COMPUTE_PGM_RSRC2:TGID_X_EN: 1
; COMPUTE_PGM_RSRC2:TGID_Y_EN: 0
; COMPUTE_PGM_RSRC2:TGID_Z_EN: 0
; COMPUTE_PGM_RSRC2:TIDIG_COMP_CNT: 0
; COMPUTE_PGM_RSRC3_GFX90A:ACCUM_OFFSET: 0
; COMPUTE_PGM_RSRC3_GFX90A:TG_SPLIT: 0
	.section	.text._ZN7rocprim17ROCPRIM_400000_NS6detail17trampoline_kernelINS0_14default_configENS1_29binary_search_config_selectorIjbEEZNS1_14transform_implILb0ES3_S5_N6thrust23THRUST_200600_302600_NS17counting_iteratorIjNS8_11use_defaultESA_SA_EEPbZNS1_13binary_searchIS3_S5_PjSB_SC_NS1_16binary_search_opENS8_6detail16wrapped_functionINS0_4lessIvEEbEEEE10hipError_tPvRmT1_T2_T3_mmT4_T5_P12ihipStream_tbEUlRKjE_EESL_SP_SQ_mSR_SU_bEUlT_E_NS1_11comp_targetILNS1_3genE4ELNS1_11target_archE910ELNS1_3gpuE8ELNS1_3repE0EEENS1_30default_config_static_selectorELNS0_4arch9wavefront6targetE1EEEvSO_,"axG",@progbits,_ZN7rocprim17ROCPRIM_400000_NS6detail17trampoline_kernelINS0_14default_configENS1_29binary_search_config_selectorIjbEEZNS1_14transform_implILb0ES3_S5_N6thrust23THRUST_200600_302600_NS17counting_iteratorIjNS8_11use_defaultESA_SA_EEPbZNS1_13binary_searchIS3_S5_PjSB_SC_NS1_16binary_search_opENS8_6detail16wrapped_functionINS0_4lessIvEEbEEEE10hipError_tPvRmT1_T2_T3_mmT4_T5_P12ihipStream_tbEUlRKjE_EESL_SP_SQ_mSR_SU_bEUlT_E_NS1_11comp_targetILNS1_3genE4ELNS1_11target_archE910ELNS1_3gpuE8ELNS1_3repE0EEENS1_30default_config_static_selectorELNS0_4arch9wavefront6targetE1EEEvSO_,comdat
	.protected	_ZN7rocprim17ROCPRIM_400000_NS6detail17trampoline_kernelINS0_14default_configENS1_29binary_search_config_selectorIjbEEZNS1_14transform_implILb0ES3_S5_N6thrust23THRUST_200600_302600_NS17counting_iteratorIjNS8_11use_defaultESA_SA_EEPbZNS1_13binary_searchIS3_S5_PjSB_SC_NS1_16binary_search_opENS8_6detail16wrapped_functionINS0_4lessIvEEbEEEE10hipError_tPvRmT1_T2_T3_mmT4_T5_P12ihipStream_tbEUlRKjE_EESL_SP_SQ_mSR_SU_bEUlT_E_NS1_11comp_targetILNS1_3genE4ELNS1_11target_archE910ELNS1_3gpuE8ELNS1_3repE0EEENS1_30default_config_static_selectorELNS0_4arch9wavefront6targetE1EEEvSO_ ; -- Begin function _ZN7rocprim17ROCPRIM_400000_NS6detail17trampoline_kernelINS0_14default_configENS1_29binary_search_config_selectorIjbEEZNS1_14transform_implILb0ES3_S5_N6thrust23THRUST_200600_302600_NS17counting_iteratorIjNS8_11use_defaultESA_SA_EEPbZNS1_13binary_searchIS3_S5_PjSB_SC_NS1_16binary_search_opENS8_6detail16wrapped_functionINS0_4lessIvEEbEEEE10hipError_tPvRmT1_T2_T3_mmT4_T5_P12ihipStream_tbEUlRKjE_EESL_SP_SQ_mSR_SU_bEUlT_E_NS1_11comp_targetILNS1_3genE4ELNS1_11target_archE910ELNS1_3gpuE8ELNS1_3repE0EEENS1_30default_config_static_selectorELNS0_4arch9wavefront6targetE1EEEvSO_
	.globl	_ZN7rocprim17ROCPRIM_400000_NS6detail17trampoline_kernelINS0_14default_configENS1_29binary_search_config_selectorIjbEEZNS1_14transform_implILb0ES3_S5_N6thrust23THRUST_200600_302600_NS17counting_iteratorIjNS8_11use_defaultESA_SA_EEPbZNS1_13binary_searchIS3_S5_PjSB_SC_NS1_16binary_search_opENS8_6detail16wrapped_functionINS0_4lessIvEEbEEEE10hipError_tPvRmT1_T2_T3_mmT4_T5_P12ihipStream_tbEUlRKjE_EESL_SP_SQ_mSR_SU_bEUlT_E_NS1_11comp_targetILNS1_3genE4ELNS1_11target_archE910ELNS1_3gpuE8ELNS1_3repE0EEENS1_30default_config_static_selectorELNS0_4arch9wavefront6targetE1EEEvSO_
	.p2align	8
	.type	_ZN7rocprim17ROCPRIM_400000_NS6detail17trampoline_kernelINS0_14default_configENS1_29binary_search_config_selectorIjbEEZNS1_14transform_implILb0ES3_S5_N6thrust23THRUST_200600_302600_NS17counting_iteratorIjNS8_11use_defaultESA_SA_EEPbZNS1_13binary_searchIS3_S5_PjSB_SC_NS1_16binary_search_opENS8_6detail16wrapped_functionINS0_4lessIvEEbEEEE10hipError_tPvRmT1_T2_T3_mmT4_T5_P12ihipStream_tbEUlRKjE_EESL_SP_SQ_mSR_SU_bEUlT_E_NS1_11comp_targetILNS1_3genE4ELNS1_11target_archE910ELNS1_3gpuE8ELNS1_3repE0EEENS1_30default_config_static_selectorELNS0_4arch9wavefront6targetE1EEEvSO_,@function
_ZN7rocprim17ROCPRIM_400000_NS6detail17trampoline_kernelINS0_14default_configENS1_29binary_search_config_selectorIjbEEZNS1_14transform_implILb0ES3_S5_N6thrust23THRUST_200600_302600_NS17counting_iteratorIjNS8_11use_defaultESA_SA_EEPbZNS1_13binary_searchIS3_S5_PjSB_SC_NS1_16binary_search_opENS8_6detail16wrapped_functionINS0_4lessIvEEbEEEE10hipError_tPvRmT1_T2_T3_mmT4_T5_P12ihipStream_tbEUlRKjE_EESL_SP_SQ_mSR_SU_bEUlT_E_NS1_11comp_targetILNS1_3genE4ELNS1_11target_archE910ELNS1_3gpuE8ELNS1_3repE0EEENS1_30default_config_static_selectorELNS0_4arch9wavefront6targetE1EEEvSO_: ; @_ZN7rocprim17ROCPRIM_400000_NS6detail17trampoline_kernelINS0_14default_configENS1_29binary_search_config_selectorIjbEEZNS1_14transform_implILb0ES3_S5_N6thrust23THRUST_200600_302600_NS17counting_iteratorIjNS8_11use_defaultESA_SA_EEPbZNS1_13binary_searchIS3_S5_PjSB_SC_NS1_16binary_search_opENS8_6detail16wrapped_functionINS0_4lessIvEEbEEEE10hipError_tPvRmT1_T2_T3_mmT4_T5_P12ihipStream_tbEUlRKjE_EESL_SP_SQ_mSR_SU_bEUlT_E_NS1_11comp_targetILNS1_3genE4ELNS1_11target_archE910ELNS1_3gpuE8ELNS1_3repE0EEENS1_30default_config_static_selectorELNS0_4arch9wavefront6targetE1EEEvSO_
; %bb.0:
	s_load_dword s17, s[4:5], 0x0
	s_load_dwordx2 s[8:9], s[4:5], 0x8
	s_load_dword s7, s[4:5], 0x38
	s_load_dwordx4 s[0:3], s[4:5], 0x18
	s_load_dwordx2 s[10:11], s[4:5], 0x28
	s_lshl_b32 s16, s6, 8
	s_waitcnt lgkmcnt(0)
	s_add_i32 s17, s17, s8
	s_add_i32 s7, s7, -1
	s_cmp_lg_u32 s6, s7
	s_cbranch_scc0 .LBB202_8
; %bb.1:
	s_add_i32 s6, s17, s16
	v_add_u32_e32 v1, s6, v0
	s_mov_b64 s[6:7], 0
	s_cmp_eq_u64 s[10:11], 0
	v_pk_mov_b32 v[2:3], 0, 0
	s_cbranch_scc1 .LBB202_5
; %bb.2:
	v_pk_mov_b32 v[2:3], 0, 0
	v_pk_mov_b32 v[4:5], s[10:11], s[10:11] op_sel:[0,1]
	v_mov_b32_e32 v6, s3
.LBB202_3:                              ; =>This Inner Loop Header: Depth=1
	v_sub_co_u32_e32 v8, vcc, v4, v2
	v_subb_co_u32_e32 v9, vcc, v5, v3, vcc
	v_lshrrev_b64 v[10:11], 1, v[8:9]
	v_add_co_u32_e32 v7, vcc, v10, v2
	v_lshrrev_b64 v[8:9], 6, v[8:9]
	v_addc_co_u32_e32 v10, vcc, v11, v3, vcc
	v_add_co_u32_e32 v8, vcc, v7, v8
	v_addc_co_u32_e32 v9, vcc, v10, v9, vcc
	v_lshlrev_b64 v[10:11], 2, v[8:9]
	v_add_co_u32_e32 v10, vcc, s2, v10
	v_addc_co_u32_e32 v11, vcc, v6, v11, vcc
	global_load_dword v7, v[10:11], off
	v_add_co_u32_e32 v10, vcc, 1, v8
	v_addc_co_u32_e32 v11, vcc, 0, v9, vcc
	s_waitcnt vmcnt(0)
	v_cmp_lt_u32_e32 vcc, v7, v1
	v_cndmask_b32_e32 v5, v9, v5, vcc
	v_cndmask_b32_e32 v4, v8, v4, vcc
	;; [unrolled: 1-line block ×4, first 2 shown]
	v_cmp_ge_u64_e32 vcc, v[2:3], v[4:5]
	s_or_b64 s[6:7], vcc, s[6:7]
	s_andn2_b64 exec, exec, s[6:7]
	s_cbranch_execnz .LBB202_3
; %bb.4:
	s_or_b64 exec, exec, s[6:7]
.LBB202_5:
	v_cmp_ne_u64_e32 vcc, s[10:11], v[2:3]
	s_mov_b64 s[12:13], 0
	s_mov_b64 s[14:15], 0
	s_and_saveexec_b64 s[6:7], vcc
	s_cbranch_execz .LBB202_7
; %bb.6:
	v_lshlrev_b64 v[2:3], 2, v[2:3]
	v_mov_b32_e32 v4, s3
	v_add_co_u32_e32 v2, vcc, s2, v2
	v_addc_co_u32_e32 v3, vcc, v4, v3, vcc
	global_load_dword v2, v[2:3], off
	s_waitcnt vmcnt(0)
	v_cmp_le_u32_e32 vcc, v2, v1
	s_and_b64 s[14:15], vcc, exec
.LBB202_7:
	s_or_b64 exec, exec, s[6:7]
	v_cndmask_b32_e64 v1, 0, 1, s[14:15]
	s_mov_b64 s[6:7], -1
	s_and_b64 vcc, exec, s[12:13]
	s_cbranch_vccnz .LBB202_9
	s_branch .LBB202_18
.LBB202_8:
	s_mov_b64 s[6:7], 0
                                        ; implicit-def: $vgpr1
	s_cbranch_execz .LBB202_18
.LBB202_9:
	s_load_dword s4, s[4:5], 0x10
                                        ; implicit-def: $vgpr1
	s_waitcnt lgkmcnt(0)
	s_sub_i32 s4, s4, s16
	v_cmp_gt_u32_e64 s[6:7], s4, v0
	s_and_saveexec_b64 s[4:5], s[6:7]
	s_cbranch_execz .LBB202_17
; %bb.10:
	s_add_i32 s17, s17, s16
	v_add_u32_e32 v1, s17, v0
	s_mov_b64 s[12:13], 0
	s_cmp_eq_u64 s[10:11], 0
	v_pk_mov_b32 v[2:3], 0, 0
	s_cbranch_scc1 .LBB202_14
; %bb.11:
	v_pk_mov_b32 v[2:3], 0, 0
	v_pk_mov_b32 v[4:5], s[10:11], s[10:11] op_sel:[0,1]
	v_mov_b32_e32 v6, s3
.LBB202_12:                             ; =>This Inner Loop Header: Depth=1
	v_sub_co_u32_e32 v8, vcc, v4, v2
	v_subb_co_u32_e32 v9, vcc, v5, v3, vcc
	v_lshrrev_b64 v[10:11], 1, v[8:9]
	v_add_co_u32_e32 v7, vcc, v10, v2
	v_lshrrev_b64 v[8:9], 6, v[8:9]
	v_addc_co_u32_e32 v10, vcc, v11, v3, vcc
	v_add_co_u32_e32 v8, vcc, v7, v8
	v_addc_co_u32_e32 v9, vcc, v10, v9, vcc
	v_lshlrev_b64 v[10:11], 2, v[8:9]
	v_add_co_u32_e32 v10, vcc, s2, v10
	v_addc_co_u32_e32 v11, vcc, v6, v11, vcc
	global_load_dword v7, v[10:11], off
	v_add_co_u32_e32 v10, vcc, 1, v8
	v_addc_co_u32_e32 v11, vcc, 0, v9, vcc
	s_waitcnt vmcnt(0)
	v_cmp_lt_u32_e32 vcc, v7, v1
	v_cndmask_b32_e32 v5, v9, v5, vcc
	v_cndmask_b32_e32 v4, v8, v4, vcc
	;; [unrolled: 1-line block ×4, first 2 shown]
	v_cmp_ge_u64_e32 vcc, v[2:3], v[4:5]
	s_or_b64 s[12:13], vcc, s[12:13]
	s_andn2_b64 exec, exec, s[12:13]
	s_cbranch_execnz .LBB202_12
; %bb.13:
	s_or_b64 exec, exec, s[12:13]
.LBB202_14:
	v_cmp_ne_u64_e32 vcc, s[10:11], v[2:3]
	s_mov_b64 s[12:13], 0
	s_and_saveexec_b64 s[10:11], vcc
	s_cbranch_execz .LBB202_16
; %bb.15:
	v_lshlrev_b64 v[2:3], 2, v[2:3]
	v_mov_b32_e32 v4, s3
	v_add_co_u32_e32 v2, vcc, s2, v2
	v_addc_co_u32_e32 v3, vcc, v4, v3, vcc
	global_load_dword v2, v[2:3], off
	s_waitcnt vmcnt(0)
	v_cmp_le_u32_e32 vcc, v2, v1
	s_and_b64 s[12:13], vcc, exec
.LBB202_16:
	s_or_b64 exec, exec, s[10:11]
	v_cndmask_b32_e64 v1, 0, 1, s[12:13]
.LBB202_17:
	s_or_b64 exec, exec, s[4:5]
.LBB202_18:
	s_and_saveexec_b64 s[2:3], s[6:7]
	s_cbranch_execz .LBB202_20
; %bb.19:
	s_add_u32 s0, s0, s8
	s_addc_u32 s1, s1, s9
	s_add_u32 s0, s0, s16
	s_addc_u32 s1, s1, 0
	global_store_byte v0, v1, s[0:1]
.LBB202_20:
	s_endpgm
	.section	.rodata,"a",@progbits
	.p2align	6, 0x0
	.amdhsa_kernel _ZN7rocprim17ROCPRIM_400000_NS6detail17trampoline_kernelINS0_14default_configENS1_29binary_search_config_selectorIjbEEZNS1_14transform_implILb0ES3_S5_N6thrust23THRUST_200600_302600_NS17counting_iteratorIjNS8_11use_defaultESA_SA_EEPbZNS1_13binary_searchIS3_S5_PjSB_SC_NS1_16binary_search_opENS8_6detail16wrapped_functionINS0_4lessIvEEbEEEE10hipError_tPvRmT1_T2_T3_mmT4_T5_P12ihipStream_tbEUlRKjE_EESL_SP_SQ_mSR_SU_bEUlT_E_NS1_11comp_targetILNS1_3genE4ELNS1_11target_archE910ELNS1_3gpuE8ELNS1_3repE0EEENS1_30default_config_static_selectorELNS0_4arch9wavefront6targetE1EEEvSO_
		.amdhsa_group_segment_fixed_size 0
		.amdhsa_private_segment_fixed_size 0
		.amdhsa_kernarg_size 312
		.amdhsa_user_sgpr_count 6
		.amdhsa_user_sgpr_private_segment_buffer 1
		.amdhsa_user_sgpr_dispatch_ptr 0
		.amdhsa_user_sgpr_queue_ptr 0
		.amdhsa_user_sgpr_kernarg_segment_ptr 1
		.amdhsa_user_sgpr_dispatch_id 0
		.amdhsa_user_sgpr_flat_scratch_init 0
		.amdhsa_user_sgpr_kernarg_preload_length 0
		.amdhsa_user_sgpr_kernarg_preload_offset 0
		.amdhsa_user_sgpr_private_segment_size 0
		.amdhsa_uses_dynamic_stack 0
		.amdhsa_system_sgpr_private_segment_wavefront_offset 0
		.amdhsa_system_sgpr_workgroup_id_x 1
		.amdhsa_system_sgpr_workgroup_id_y 0
		.amdhsa_system_sgpr_workgroup_id_z 0
		.amdhsa_system_sgpr_workgroup_info 0
		.amdhsa_system_vgpr_workitem_id 0
		.amdhsa_next_free_vgpr 12
		.amdhsa_next_free_sgpr 18
		.amdhsa_accum_offset 12
		.amdhsa_reserve_vcc 1
		.amdhsa_reserve_flat_scratch 0
		.amdhsa_float_round_mode_32 0
		.amdhsa_float_round_mode_16_64 0
		.amdhsa_float_denorm_mode_32 3
		.amdhsa_float_denorm_mode_16_64 3
		.amdhsa_dx10_clamp 1
		.amdhsa_ieee_mode 1
		.amdhsa_fp16_overflow 0
		.amdhsa_tg_split 0
		.amdhsa_exception_fp_ieee_invalid_op 0
		.amdhsa_exception_fp_denorm_src 0
		.amdhsa_exception_fp_ieee_div_zero 0
		.amdhsa_exception_fp_ieee_overflow 0
		.amdhsa_exception_fp_ieee_underflow 0
		.amdhsa_exception_fp_ieee_inexact 0
		.amdhsa_exception_int_div_zero 0
	.end_amdhsa_kernel
	.section	.text._ZN7rocprim17ROCPRIM_400000_NS6detail17trampoline_kernelINS0_14default_configENS1_29binary_search_config_selectorIjbEEZNS1_14transform_implILb0ES3_S5_N6thrust23THRUST_200600_302600_NS17counting_iteratorIjNS8_11use_defaultESA_SA_EEPbZNS1_13binary_searchIS3_S5_PjSB_SC_NS1_16binary_search_opENS8_6detail16wrapped_functionINS0_4lessIvEEbEEEE10hipError_tPvRmT1_T2_T3_mmT4_T5_P12ihipStream_tbEUlRKjE_EESL_SP_SQ_mSR_SU_bEUlT_E_NS1_11comp_targetILNS1_3genE4ELNS1_11target_archE910ELNS1_3gpuE8ELNS1_3repE0EEENS1_30default_config_static_selectorELNS0_4arch9wavefront6targetE1EEEvSO_,"axG",@progbits,_ZN7rocprim17ROCPRIM_400000_NS6detail17trampoline_kernelINS0_14default_configENS1_29binary_search_config_selectorIjbEEZNS1_14transform_implILb0ES3_S5_N6thrust23THRUST_200600_302600_NS17counting_iteratorIjNS8_11use_defaultESA_SA_EEPbZNS1_13binary_searchIS3_S5_PjSB_SC_NS1_16binary_search_opENS8_6detail16wrapped_functionINS0_4lessIvEEbEEEE10hipError_tPvRmT1_T2_T3_mmT4_T5_P12ihipStream_tbEUlRKjE_EESL_SP_SQ_mSR_SU_bEUlT_E_NS1_11comp_targetILNS1_3genE4ELNS1_11target_archE910ELNS1_3gpuE8ELNS1_3repE0EEENS1_30default_config_static_selectorELNS0_4arch9wavefront6targetE1EEEvSO_,comdat
.Lfunc_end202:
	.size	_ZN7rocprim17ROCPRIM_400000_NS6detail17trampoline_kernelINS0_14default_configENS1_29binary_search_config_selectorIjbEEZNS1_14transform_implILb0ES3_S5_N6thrust23THRUST_200600_302600_NS17counting_iteratorIjNS8_11use_defaultESA_SA_EEPbZNS1_13binary_searchIS3_S5_PjSB_SC_NS1_16binary_search_opENS8_6detail16wrapped_functionINS0_4lessIvEEbEEEE10hipError_tPvRmT1_T2_T3_mmT4_T5_P12ihipStream_tbEUlRKjE_EESL_SP_SQ_mSR_SU_bEUlT_E_NS1_11comp_targetILNS1_3genE4ELNS1_11target_archE910ELNS1_3gpuE8ELNS1_3repE0EEENS1_30default_config_static_selectorELNS0_4arch9wavefront6targetE1EEEvSO_, .Lfunc_end202-_ZN7rocprim17ROCPRIM_400000_NS6detail17trampoline_kernelINS0_14default_configENS1_29binary_search_config_selectorIjbEEZNS1_14transform_implILb0ES3_S5_N6thrust23THRUST_200600_302600_NS17counting_iteratorIjNS8_11use_defaultESA_SA_EEPbZNS1_13binary_searchIS3_S5_PjSB_SC_NS1_16binary_search_opENS8_6detail16wrapped_functionINS0_4lessIvEEbEEEE10hipError_tPvRmT1_T2_T3_mmT4_T5_P12ihipStream_tbEUlRKjE_EESL_SP_SQ_mSR_SU_bEUlT_E_NS1_11comp_targetILNS1_3genE4ELNS1_11target_archE910ELNS1_3gpuE8ELNS1_3repE0EEENS1_30default_config_static_selectorELNS0_4arch9wavefront6targetE1EEEvSO_
                                        ; -- End function
	.section	.AMDGPU.csdata,"",@progbits
; Kernel info:
; codeLenInByte = 628
; NumSgprs: 22
; NumVgprs: 12
; NumAgprs: 0
; TotalNumVgprs: 12
; ScratchSize: 0
; MemoryBound: 0
; FloatMode: 240
; IeeeMode: 1
; LDSByteSize: 0 bytes/workgroup (compile time only)
; SGPRBlocks: 2
; VGPRBlocks: 1
; NumSGPRsForWavesPerEU: 22
; NumVGPRsForWavesPerEU: 12
; AccumOffset: 12
; Occupancy: 8
; WaveLimiterHint : 0
; COMPUTE_PGM_RSRC2:SCRATCH_EN: 0
; COMPUTE_PGM_RSRC2:USER_SGPR: 6
; COMPUTE_PGM_RSRC2:TRAP_HANDLER: 0
; COMPUTE_PGM_RSRC2:TGID_X_EN: 1
; COMPUTE_PGM_RSRC2:TGID_Y_EN: 0
; COMPUTE_PGM_RSRC2:TGID_Z_EN: 0
; COMPUTE_PGM_RSRC2:TIDIG_COMP_CNT: 0
; COMPUTE_PGM_RSRC3_GFX90A:ACCUM_OFFSET: 2
; COMPUTE_PGM_RSRC3_GFX90A:TG_SPLIT: 0
	.section	.text._ZN7rocprim17ROCPRIM_400000_NS6detail17trampoline_kernelINS0_14default_configENS1_29binary_search_config_selectorIjbEEZNS1_14transform_implILb0ES3_S5_N6thrust23THRUST_200600_302600_NS17counting_iteratorIjNS8_11use_defaultESA_SA_EEPbZNS1_13binary_searchIS3_S5_PjSB_SC_NS1_16binary_search_opENS8_6detail16wrapped_functionINS0_4lessIvEEbEEEE10hipError_tPvRmT1_T2_T3_mmT4_T5_P12ihipStream_tbEUlRKjE_EESL_SP_SQ_mSR_SU_bEUlT_E_NS1_11comp_targetILNS1_3genE3ELNS1_11target_archE908ELNS1_3gpuE7ELNS1_3repE0EEENS1_30default_config_static_selectorELNS0_4arch9wavefront6targetE1EEEvSO_,"axG",@progbits,_ZN7rocprim17ROCPRIM_400000_NS6detail17trampoline_kernelINS0_14default_configENS1_29binary_search_config_selectorIjbEEZNS1_14transform_implILb0ES3_S5_N6thrust23THRUST_200600_302600_NS17counting_iteratorIjNS8_11use_defaultESA_SA_EEPbZNS1_13binary_searchIS3_S5_PjSB_SC_NS1_16binary_search_opENS8_6detail16wrapped_functionINS0_4lessIvEEbEEEE10hipError_tPvRmT1_T2_T3_mmT4_T5_P12ihipStream_tbEUlRKjE_EESL_SP_SQ_mSR_SU_bEUlT_E_NS1_11comp_targetILNS1_3genE3ELNS1_11target_archE908ELNS1_3gpuE7ELNS1_3repE0EEENS1_30default_config_static_selectorELNS0_4arch9wavefront6targetE1EEEvSO_,comdat
	.protected	_ZN7rocprim17ROCPRIM_400000_NS6detail17trampoline_kernelINS0_14default_configENS1_29binary_search_config_selectorIjbEEZNS1_14transform_implILb0ES3_S5_N6thrust23THRUST_200600_302600_NS17counting_iteratorIjNS8_11use_defaultESA_SA_EEPbZNS1_13binary_searchIS3_S5_PjSB_SC_NS1_16binary_search_opENS8_6detail16wrapped_functionINS0_4lessIvEEbEEEE10hipError_tPvRmT1_T2_T3_mmT4_T5_P12ihipStream_tbEUlRKjE_EESL_SP_SQ_mSR_SU_bEUlT_E_NS1_11comp_targetILNS1_3genE3ELNS1_11target_archE908ELNS1_3gpuE7ELNS1_3repE0EEENS1_30default_config_static_selectorELNS0_4arch9wavefront6targetE1EEEvSO_ ; -- Begin function _ZN7rocprim17ROCPRIM_400000_NS6detail17trampoline_kernelINS0_14default_configENS1_29binary_search_config_selectorIjbEEZNS1_14transform_implILb0ES3_S5_N6thrust23THRUST_200600_302600_NS17counting_iteratorIjNS8_11use_defaultESA_SA_EEPbZNS1_13binary_searchIS3_S5_PjSB_SC_NS1_16binary_search_opENS8_6detail16wrapped_functionINS0_4lessIvEEbEEEE10hipError_tPvRmT1_T2_T3_mmT4_T5_P12ihipStream_tbEUlRKjE_EESL_SP_SQ_mSR_SU_bEUlT_E_NS1_11comp_targetILNS1_3genE3ELNS1_11target_archE908ELNS1_3gpuE7ELNS1_3repE0EEENS1_30default_config_static_selectorELNS0_4arch9wavefront6targetE1EEEvSO_
	.globl	_ZN7rocprim17ROCPRIM_400000_NS6detail17trampoline_kernelINS0_14default_configENS1_29binary_search_config_selectorIjbEEZNS1_14transform_implILb0ES3_S5_N6thrust23THRUST_200600_302600_NS17counting_iteratorIjNS8_11use_defaultESA_SA_EEPbZNS1_13binary_searchIS3_S5_PjSB_SC_NS1_16binary_search_opENS8_6detail16wrapped_functionINS0_4lessIvEEbEEEE10hipError_tPvRmT1_T2_T3_mmT4_T5_P12ihipStream_tbEUlRKjE_EESL_SP_SQ_mSR_SU_bEUlT_E_NS1_11comp_targetILNS1_3genE3ELNS1_11target_archE908ELNS1_3gpuE7ELNS1_3repE0EEENS1_30default_config_static_selectorELNS0_4arch9wavefront6targetE1EEEvSO_
	.p2align	8
	.type	_ZN7rocprim17ROCPRIM_400000_NS6detail17trampoline_kernelINS0_14default_configENS1_29binary_search_config_selectorIjbEEZNS1_14transform_implILb0ES3_S5_N6thrust23THRUST_200600_302600_NS17counting_iteratorIjNS8_11use_defaultESA_SA_EEPbZNS1_13binary_searchIS3_S5_PjSB_SC_NS1_16binary_search_opENS8_6detail16wrapped_functionINS0_4lessIvEEbEEEE10hipError_tPvRmT1_T2_T3_mmT4_T5_P12ihipStream_tbEUlRKjE_EESL_SP_SQ_mSR_SU_bEUlT_E_NS1_11comp_targetILNS1_3genE3ELNS1_11target_archE908ELNS1_3gpuE7ELNS1_3repE0EEENS1_30default_config_static_selectorELNS0_4arch9wavefront6targetE1EEEvSO_,@function
_ZN7rocprim17ROCPRIM_400000_NS6detail17trampoline_kernelINS0_14default_configENS1_29binary_search_config_selectorIjbEEZNS1_14transform_implILb0ES3_S5_N6thrust23THRUST_200600_302600_NS17counting_iteratorIjNS8_11use_defaultESA_SA_EEPbZNS1_13binary_searchIS3_S5_PjSB_SC_NS1_16binary_search_opENS8_6detail16wrapped_functionINS0_4lessIvEEbEEEE10hipError_tPvRmT1_T2_T3_mmT4_T5_P12ihipStream_tbEUlRKjE_EESL_SP_SQ_mSR_SU_bEUlT_E_NS1_11comp_targetILNS1_3genE3ELNS1_11target_archE908ELNS1_3gpuE7ELNS1_3repE0EEENS1_30default_config_static_selectorELNS0_4arch9wavefront6targetE1EEEvSO_: ; @_ZN7rocprim17ROCPRIM_400000_NS6detail17trampoline_kernelINS0_14default_configENS1_29binary_search_config_selectorIjbEEZNS1_14transform_implILb0ES3_S5_N6thrust23THRUST_200600_302600_NS17counting_iteratorIjNS8_11use_defaultESA_SA_EEPbZNS1_13binary_searchIS3_S5_PjSB_SC_NS1_16binary_search_opENS8_6detail16wrapped_functionINS0_4lessIvEEbEEEE10hipError_tPvRmT1_T2_T3_mmT4_T5_P12ihipStream_tbEUlRKjE_EESL_SP_SQ_mSR_SU_bEUlT_E_NS1_11comp_targetILNS1_3genE3ELNS1_11target_archE908ELNS1_3gpuE7ELNS1_3repE0EEENS1_30default_config_static_selectorELNS0_4arch9wavefront6targetE1EEEvSO_
; %bb.0:
	.section	.rodata,"a",@progbits
	.p2align	6, 0x0
	.amdhsa_kernel _ZN7rocprim17ROCPRIM_400000_NS6detail17trampoline_kernelINS0_14default_configENS1_29binary_search_config_selectorIjbEEZNS1_14transform_implILb0ES3_S5_N6thrust23THRUST_200600_302600_NS17counting_iteratorIjNS8_11use_defaultESA_SA_EEPbZNS1_13binary_searchIS3_S5_PjSB_SC_NS1_16binary_search_opENS8_6detail16wrapped_functionINS0_4lessIvEEbEEEE10hipError_tPvRmT1_T2_T3_mmT4_T5_P12ihipStream_tbEUlRKjE_EESL_SP_SQ_mSR_SU_bEUlT_E_NS1_11comp_targetILNS1_3genE3ELNS1_11target_archE908ELNS1_3gpuE7ELNS1_3repE0EEENS1_30default_config_static_selectorELNS0_4arch9wavefront6targetE1EEEvSO_
		.amdhsa_group_segment_fixed_size 0
		.amdhsa_private_segment_fixed_size 0
		.amdhsa_kernarg_size 56
		.amdhsa_user_sgpr_count 6
		.amdhsa_user_sgpr_private_segment_buffer 1
		.amdhsa_user_sgpr_dispatch_ptr 0
		.amdhsa_user_sgpr_queue_ptr 0
		.amdhsa_user_sgpr_kernarg_segment_ptr 1
		.amdhsa_user_sgpr_dispatch_id 0
		.amdhsa_user_sgpr_flat_scratch_init 0
		.amdhsa_user_sgpr_kernarg_preload_length 0
		.amdhsa_user_sgpr_kernarg_preload_offset 0
		.amdhsa_user_sgpr_private_segment_size 0
		.amdhsa_uses_dynamic_stack 0
		.amdhsa_system_sgpr_private_segment_wavefront_offset 0
		.amdhsa_system_sgpr_workgroup_id_x 1
		.amdhsa_system_sgpr_workgroup_id_y 0
		.amdhsa_system_sgpr_workgroup_id_z 0
		.amdhsa_system_sgpr_workgroup_info 0
		.amdhsa_system_vgpr_workitem_id 0
		.amdhsa_next_free_vgpr 1
		.amdhsa_next_free_sgpr 0
		.amdhsa_accum_offset 4
		.amdhsa_reserve_vcc 0
		.amdhsa_reserve_flat_scratch 0
		.amdhsa_float_round_mode_32 0
		.amdhsa_float_round_mode_16_64 0
		.amdhsa_float_denorm_mode_32 3
		.amdhsa_float_denorm_mode_16_64 3
		.amdhsa_dx10_clamp 1
		.amdhsa_ieee_mode 1
		.amdhsa_fp16_overflow 0
		.amdhsa_tg_split 0
		.amdhsa_exception_fp_ieee_invalid_op 0
		.amdhsa_exception_fp_denorm_src 0
		.amdhsa_exception_fp_ieee_div_zero 0
		.amdhsa_exception_fp_ieee_overflow 0
		.amdhsa_exception_fp_ieee_underflow 0
		.amdhsa_exception_fp_ieee_inexact 0
		.amdhsa_exception_int_div_zero 0
	.end_amdhsa_kernel
	.section	.text._ZN7rocprim17ROCPRIM_400000_NS6detail17trampoline_kernelINS0_14default_configENS1_29binary_search_config_selectorIjbEEZNS1_14transform_implILb0ES3_S5_N6thrust23THRUST_200600_302600_NS17counting_iteratorIjNS8_11use_defaultESA_SA_EEPbZNS1_13binary_searchIS3_S5_PjSB_SC_NS1_16binary_search_opENS8_6detail16wrapped_functionINS0_4lessIvEEbEEEE10hipError_tPvRmT1_T2_T3_mmT4_T5_P12ihipStream_tbEUlRKjE_EESL_SP_SQ_mSR_SU_bEUlT_E_NS1_11comp_targetILNS1_3genE3ELNS1_11target_archE908ELNS1_3gpuE7ELNS1_3repE0EEENS1_30default_config_static_selectorELNS0_4arch9wavefront6targetE1EEEvSO_,"axG",@progbits,_ZN7rocprim17ROCPRIM_400000_NS6detail17trampoline_kernelINS0_14default_configENS1_29binary_search_config_selectorIjbEEZNS1_14transform_implILb0ES3_S5_N6thrust23THRUST_200600_302600_NS17counting_iteratorIjNS8_11use_defaultESA_SA_EEPbZNS1_13binary_searchIS3_S5_PjSB_SC_NS1_16binary_search_opENS8_6detail16wrapped_functionINS0_4lessIvEEbEEEE10hipError_tPvRmT1_T2_T3_mmT4_T5_P12ihipStream_tbEUlRKjE_EESL_SP_SQ_mSR_SU_bEUlT_E_NS1_11comp_targetILNS1_3genE3ELNS1_11target_archE908ELNS1_3gpuE7ELNS1_3repE0EEENS1_30default_config_static_selectorELNS0_4arch9wavefront6targetE1EEEvSO_,comdat
.Lfunc_end203:
	.size	_ZN7rocprim17ROCPRIM_400000_NS6detail17trampoline_kernelINS0_14default_configENS1_29binary_search_config_selectorIjbEEZNS1_14transform_implILb0ES3_S5_N6thrust23THRUST_200600_302600_NS17counting_iteratorIjNS8_11use_defaultESA_SA_EEPbZNS1_13binary_searchIS3_S5_PjSB_SC_NS1_16binary_search_opENS8_6detail16wrapped_functionINS0_4lessIvEEbEEEE10hipError_tPvRmT1_T2_T3_mmT4_T5_P12ihipStream_tbEUlRKjE_EESL_SP_SQ_mSR_SU_bEUlT_E_NS1_11comp_targetILNS1_3genE3ELNS1_11target_archE908ELNS1_3gpuE7ELNS1_3repE0EEENS1_30default_config_static_selectorELNS0_4arch9wavefront6targetE1EEEvSO_, .Lfunc_end203-_ZN7rocprim17ROCPRIM_400000_NS6detail17trampoline_kernelINS0_14default_configENS1_29binary_search_config_selectorIjbEEZNS1_14transform_implILb0ES3_S5_N6thrust23THRUST_200600_302600_NS17counting_iteratorIjNS8_11use_defaultESA_SA_EEPbZNS1_13binary_searchIS3_S5_PjSB_SC_NS1_16binary_search_opENS8_6detail16wrapped_functionINS0_4lessIvEEbEEEE10hipError_tPvRmT1_T2_T3_mmT4_T5_P12ihipStream_tbEUlRKjE_EESL_SP_SQ_mSR_SU_bEUlT_E_NS1_11comp_targetILNS1_3genE3ELNS1_11target_archE908ELNS1_3gpuE7ELNS1_3repE0EEENS1_30default_config_static_selectorELNS0_4arch9wavefront6targetE1EEEvSO_
                                        ; -- End function
	.section	.AMDGPU.csdata,"",@progbits
; Kernel info:
; codeLenInByte = 0
; NumSgprs: 4
; NumVgprs: 0
; NumAgprs: 0
; TotalNumVgprs: 0
; ScratchSize: 0
; MemoryBound: 0
; FloatMode: 240
; IeeeMode: 1
; LDSByteSize: 0 bytes/workgroup (compile time only)
; SGPRBlocks: 0
; VGPRBlocks: 0
; NumSGPRsForWavesPerEU: 4
; NumVGPRsForWavesPerEU: 1
; AccumOffset: 4
; Occupancy: 8
; WaveLimiterHint : 0
; COMPUTE_PGM_RSRC2:SCRATCH_EN: 0
; COMPUTE_PGM_RSRC2:USER_SGPR: 6
; COMPUTE_PGM_RSRC2:TRAP_HANDLER: 0
; COMPUTE_PGM_RSRC2:TGID_X_EN: 1
; COMPUTE_PGM_RSRC2:TGID_Y_EN: 0
; COMPUTE_PGM_RSRC2:TGID_Z_EN: 0
; COMPUTE_PGM_RSRC2:TIDIG_COMP_CNT: 0
; COMPUTE_PGM_RSRC3_GFX90A:ACCUM_OFFSET: 0
; COMPUTE_PGM_RSRC3_GFX90A:TG_SPLIT: 0
	.section	.text._ZN7rocprim17ROCPRIM_400000_NS6detail17trampoline_kernelINS0_14default_configENS1_29binary_search_config_selectorIjbEEZNS1_14transform_implILb0ES3_S5_N6thrust23THRUST_200600_302600_NS17counting_iteratorIjNS8_11use_defaultESA_SA_EEPbZNS1_13binary_searchIS3_S5_PjSB_SC_NS1_16binary_search_opENS8_6detail16wrapped_functionINS0_4lessIvEEbEEEE10hipError_tPvRmT1_T2_T3_mmT4_T5_P12ihipStream_tbEUlRKjE_EESL_SP_SQ_mSR_SU_bEUlT_E_NS1_11comp_targetILNS1_3genE2ELNS1_11target_archE906ELNS1_3gpuE6ELNS1_3repE0EEENS1_30default_config_static_selectorELNS0_4arch9wavefront6targetE1EEEvSO_,"axG",@progbits,_ZN7rocprim17ROCPRIM_400000_NS6detail17trampoline_kernelINS0_14default_configENS1_29binary_search_config_selectorIjbEEZNS1_14transform_implILb0ES3_S5_N6thrust23THRUST_200600_302600_NS17counting_iteratorIjNS8_11use_defaultESA_SA_EEPbZNS1_13binary_searchIS3_S5_PjSB_SC_NS1_16binary_search_opENS8_6detail16wrapped_functionINS0_4lessIvEEbEEEE10hipError_tPvRmT1_T2_T3_mmT4_T5_P12ihipStream_tbEUlRKjE_EESL_SP_SQ_mSR_SU_bEUlT_E_NS1_11comp_targetILNS1_3genE2ELNS1_11target_archE906ELNS1_3gpuE6ELNS1_3repE0EEENS1_30default_config_static_selectorELNS0_4arch9wavefront6targetE1EEEvSO_,comdat
	.protected	_ZN7rocprim17ROCPRIM_400000_NS6detail17trampoline_kernelINS0_14default_configENS1_29binary_search_config_selectorIjbEEZNS1_14transform_implILb0ES3_S5_N6thrust23THRUST_200600_302600_NS17counting_iteratorIjNS8_11use_defaultESA_SA_EEPbZNS1_13binary_searchIS3_S5_PjSB_SC_NS1_16binary_search_opENS8_6detail16wrapped_functionINS0_4lessIvEEbEEEE10hipError_tPvRmT1_T2_T3_mmT4_T5_P12ihipStream_tbEUlRKjE_EESL_SP_SQ_mSR_SU_bEUlT_E_NS1_11comp_targetILNS1_3genE2ELNS1_11target_archE906ELNS1_3gpuE6ELNS1_3repE0EEENS1_30default_config_static_selectorELNS0_4arch9wavefront6targetE1EEEvSO_ ; -- Begin function _ZN7rocprim17ROCPRIM_400000_NS6detail17trampoline_kernelINS0_14default_configENS1_29binary_search_config_selectorIjbEEZNS1_14transform_implILb0ES3_S5_N6thrust23THRUST_200600_302600_NS17counting_iteratorIjNS8_11use_defaultESA_SA_EEPbZNS1_13binary_searchIS3_S5_PjSB_SC_NS1_16binary_search_opENS8_6detail16wrapped_functionINS0_4lessIvEEbEEEE10hipError_tPvRmT1_T2_T3_mmT4_T5_P12ihipStream_tbEUlRKjE_EESL_SP_SQ_mSR_SU_bEUlT_E_NS1_11comp_targetILNS1_3genE2ELNS1_11target_archE906ELNS1_3gpuE6ELNS1_3repE0EEENS1_30default_config_static_selectorELNS0_4arch9wavefront6targetE1EEEvSO_
	.globl	_ZN7rocprim17ROCPRIM_400000_NS6detail17trampoline_kernelINS0_14default_configENS1_29binary_search_config_selectorIjbEEZNS1_14transform_implILb0ES3_S5_N6thrust23THRUST_200600_302600_NS17counting_iteratorIjNS8_11use_defaultESA_SA_EEPbZNS1_13binary_searchIS3_S5_PjSB_SC_NS1_16binary_search_opENS8_6detail16wrapped_functionINS0_4lessIvEEbEEEE10hipError_tPvRmT1_T2_T3_mmT4_T5_P12ihipStream_tbEUlRKjE_EESL_SP_SQ_mSR_SU_bEUlT_E_NS1_11comp_targetILNS1_3genE2ELNS1_11target_archE906ELNS1_3gpuE6ELNS1_3repE0EEENS1_30default_config_static_selectorELNS0_4arch9wavefront6targetE1EEEvSO_
	.p2align	8
	.type	_ZN7rocprim17ROCPRIM_400000_NS6detail17trampoline_kernelINS0_14default_configENS1_29binary_search_config_selectorIjbEEZNS1_14transform_implILb0ES3_S5_N6thrust23THRUST_200600_302600_NS17counting_iteratorIjNS8_11use_defaultESA_SA_EEPbZNS1_13binary_searchIS3_S5_PjSB_SC_NS1_16binary_search_opENS8_6detail16wrapped_functionINS0_4lessIvEEbEEEE10hipError_tPvRmT1_T2_T3_mmT4_T5_P12ihipStream_tbEUlRKjE_EESL_SP_SQ_mSR_SU_bEUlT_E_NS1_11comp_targetILNS1_3genE2ELNS1_11target_archE906ELNS1_3gpuE6ELNS1_3repE0EEENS1_30default_config_static_selectorELNS0_4arch9wavefront6targetE1EEEvSO_,@function
_ZN7rocprim17ROCPRIM_400000_NS6detail17trampoline_kernelINS0_14default_configENS1_29binary_search_config_selectorIjbEEZNS1_14transform_implILb0ES3_S5_N6thrust23THRUST_200600_302600_NS17counting_iteratorIjNS8_11use_defaultESA_SA_EEPbZNS1_13binary_searchIS3_S5_PjSB_SC_NS1_16binary_search_opENS8_6detail16wrapped_functionINS0_4lessIvEEbEEEE10hipError_tPvRmT1_T2_T3_mmT4_T5_P12ihipStream_tbEUlRKjE_EESL_SP_SQ_mSR_SU_bEUlT_E_NS1_11comp_targetILNS1_3genE2ELNS1_11target_archE906ELNS1_3gpuE6ELNS1_3repE0EEENS1_30default_config_static_selectorELNS0_4arch9wavefront6targetE1EEEvSO_: ; @_ZN7rocprim17ROCPRIM_400000_NS6detail17trampoline_kernelINS0_14default_configENS1_29binary_search_config_selectorIjbEEZNS1_14transform_implILb0ES3_S5_N6thrust23THRUST_200600_302600_NS17counting_iteratorIjNS8_11use_defaultESA_SA_EEPbZNS1_13binary_searchIS3_S5_PjSB_SC_NS1_16binary_search_opENS8_6detail16wrapped_functionINS0_4lessIvEEbEEEE10hipError_tPvRmT1_T2_T3_mmT4_T5_P12ihipStream_tbEUlRKjE_EESL_SP_SQ_mSR_SU_bEUlT_E_NS1_11comp_targetILNS1_3genE2ELNS1_11target_archE906ELNS1_3gpuE6ELNS1_3repE0EEENS1_30default_config_static_selectorELNS0_4arch9wavefront6targetE1EEEvSO_
; %bb.0:
	.section	.rodata,"a",@progbits
	.p2align	6, 0x0
	.amdhsa_kernel _ZN7rocprim17ROCPRIM_400000_NS6detail17trampoline_kernelINS0_14default_configENS1_29binary_search_config_selectorIjbEEZNS1_14transform_implILb0ES3_S5_N6thrust23THRUST_200600_302600_NS17counting_iteratorIjNS8_11use_defaultESA_SA_EEPbZNS1_13binary_searchIS3_S5_PjSB_SC_NS1_16binary_search_opENS8_6detail16wrapped_functionINS0_4lessIvEEbEEEE10hipError_tPvRmT1_T2_T3_mmT4_T5_P12ihipStream_tbEUlRKjE_EESL_SP_SQ_mSR_SU_bEUlT_E_NS1_11comp_targetILNS1_3genE2ELNS1_11target_archE906ELNS1_3gpuE6ELNS1_3repE0EEENS1_30default_config_static_selectorELNS0_4arch9wavefront6targetE1EEEvSO_
		.amdhsa_group_segment_fixed_size 0
		.amdhsa_private_segment_fixed_size 0
		.amdhsa_kernarg_size 56
		.amdhsa_user_sgpr_count 6
		.amdhsa_user_sgpr_private_segment_buffer 1
		.amdhsa_user_sgpr_dispatch_ptr 0
		.amdhsa_user_sgpr_queue_ptr 0
		.amdhsa_user_sgpr_kernarg_segment_ptr 1
		.amdhsa_user_sgpr_dispatch_id 0
		.amdhsa_user_sgpr_flat_scratch_init 0
		.amdhsa_user_sgpr_kernarg_preload_length 0
		.amdhsa_user_sgpr_kernarg_preload_offset 0
		.amdhsa_user_sgpr_private_segment_size 0
		.amdhsa_uses_dynamic_stack 0
		.amdhsa_system_sgpr_private_segment_wavefront_offset 0
		.amdhsa_system_sgpr_workgroup_id_x 1
		.amdhsa_system_sgpr_workgroup_id_y 0
		.amdhsa_system_sgpr_workgroup_id_z 0
		.amdhsa_system_sgpr_workgroup_info 0
		.amdhsa_system_vgpr_workitem_id 0
		.amdhsa_next_free_vgpr 1
		.amdhsa_next_free_sgpr 0
		.amdhsa_accum_offset 4
		.amdhsa_reserve_vcc 0
		.amdhsa_reserve_flat_scratch 0
		.amdhsa_float_round_mode_32 0
		.amdhsa_float_round_mode_16_64 0
		.amdhsa_float_denorm_mode_32 3
		.amdhsa_float_denorm_mode_16_64 3
		.amdhsa_dx10_clamp 1
		.amdhsa_ieee_mode 1
		.amdhsa_fp16_overflow 0
		.amdhsa_tg_split 0
		.amdhsa_exception_fp_ieee_invalid_op 0
		.amdhsa_exception_fp_denorm_src 0
		.amdhsa_exception_fp_ieee_div_zero 0
		.amdhsa_exception_fp_ieee_overflow 0
		.amdhsa_exception_fp_ieee_underflow 0
		.amdhsa_exception_fp_ieee_inexact 0
		.amdhsa_exception_int_div_zero 0
	.end_amdhsa_kernel
	.section	.text._ZN7rocprim17ROCPRIM_400000_NS6detail17trampoline_kernelINS0_14default_configENS1_29binary_search_config_selectorIjbEEZNS1_14transform_implILb0ES3_S5_N6thrust23THRUST_200600_302600_NS17counting_iteratorIjNS8_11use_defaultESA_SA_EEPbZNS1_13binary_searchIS3_S5_PjSB_SC_NS1_16binary_search_opENS8_6detail16wrapped_functionINS0_4lessIvEEbEEEE10hipError_tPvRmT1_T2_T3_mmT4_T5_P12ihipStream_tbEUlRKjE_EESL_SP_SQ_mSR_SU_bEUlT_E_NS1_11comp_targetILNS1_3genE2ELNS1_11target_archE906ELNS1_3gpuE6ELNS1_3repE0EEENS1_30default_config_static_selectorELNS0_4arch9wavefront6targetE1EEEvSO_,"axG",@progbits,_ZN7rocprim17ROCPRIM_400000_NS6detail17trampoline_kernelINS0_14default_configENS1_29binary_search_config_selectorIjbEEZNS1_14transform_implILb0ES3_S5_N6thrust23THRUST_200600_302600_NS17counting_iteratorIjNS8_11use_defaultESA_SA_EEPbZNS1_13binary_searchIS3_S5_PjSB_SC_NS1_16binary_search_opENS8_6detail16wrapped_functionINS0_4lessIvEEbEEEE10hipError_tPvRmT1_T2_T3_mmT4_T5_P12ihipStream_tbEUlRKjE_EESL_SP_SQ_mSR_SU_bEUlT_E_NS1_11comp_targetILNS1_3genE2ELNS1_11target_archE906ELNS1_3gpuE6ELNS1_3repE0EEENS1_30default_config_static_selectorELNS0_4arch9wavefront6targetE1EEEvSO_,comdat
.Lfunc_end204:
	.size	_ZN7rocprim17ROCPRIM_400000_NS6detail17trampoline_kernelINS0_14default_configENS1_29binary_search_config_selectorIjbEEZNS1_14transform_implILb0ES3_S5_N6thrust23THRUST_200600_302600_NS17counting_iteratorIjNS8_11use_defaultESA_SA_EEPbZNS1_13binary_searchIS3_S5_PjSB_SC_NS1_16binary_search_opENS8_6detail16wrapped_functionINS0_4lessIvEEbEEEE10hipError_tPvRmT1_T2_T3_mmT4_T5_P12ihipStream_tbEUlRKjE_EESL_SP_SQ_mSR_SU_bEUlT_E_NS1_11comp_targetILNS1_3genE2ELNS1_11target_archE906ELNS1_3gpuE6ELNS1_3repE0EEENS1_30default_config_static_selectorELNS0_4arch9wavefront6targetE1EEEvSO_, .Lfunc_end204-_ZN7rocprim17ROCPRIM_400000_NS6detail17trampoline_kernelINS0_14default_configENS1_29binary_search_config_selectorIjbEEZNS1_14transform_implILb0ES3_S5_N6thrust23THRUST_200600_302600_NS17counting_iteratorIjNS8_11use_defaultESA_SA_EEPbZNS1_13binary_searchIS3_S5_PjSB_SC_NS1_16binary_search_opENS8_6detail16wrapped_functionINS0_4lessIvEEbEEEE10hipError_tPvRmT1_T2_T3_mmT4_T5_P12ihipStream_tbEUlRKjE_EESL_SP_SQ_mSR_SU_bEUlT_E_NS1_11comp_targetILNS1_3genE2ELNS1_11target_archE906ELNS1_3gpuE6ELNS1_3repE0EEENS1_30default_config_static_selectorELNS0_4arch9wavefront6targetE1EEEvSO_
                                        ; -- End function
	.section	.AMDGPU.csdata,"",@progbits
; Kernel info:
; codeLenInByte = 0
; NumSgprs: 4
; NumVgprs: 0
; NumAgprs: 0
; TotalNumVgprs: 0
; ScratchSize: 0
; MemoryBound: 0
; FloatMode: 240
; IeeeMode: 1
; LDSByteSize: 0 bytes/workgroup (compile time only)
; SGPRBlocks: 0
; VGPRBlocks: 0
; NumSGPRsForWavesPerEU: 4
; NumVGPRsForWavesPerEU: 1
; AccumOffset: 4
; Occupancy: 8
; WaveLimiterHint : 0
; COMPUTE_PGM_RSRC2:SCRATCH_EN: 0
; COMPUTE_PGM_RSRC2:USER_SGPR: 6
; COMPUTE_PGM_RSRC2:TRAP_HANDLER: 0
; COMPUTE_PGM_RSRC2:TGID_X_EN: 1
; COMPUTE_PGM_RSRC2:TGID_Y_EN: 0
; COMPUTE_PGM_RSRC2:TGID_Z_EN: 0
; COMPUTE_PGM_RSRC2:TIDIG_COMP_CNT: 0
; COMPUTE_PGM_RSRC3_GFX90A:ACCUM_OFFSET: 0
; COMPUTE_PGM_RSRC3_GFX90A:TG_SPLIT: 0
	.section	.text._ZN7rocprim17ROCPRIM_400000_NS6detail17trampoline_kernelINS0_14default_configENS1_29binary_search_config_selectorIjbEEZNS1_14transform_implILb0ES3_S5_N6thrust23THRUST_200600_302600_NS17counting_iteratorIjNS8_11use_defaultESA_SA_EEPbZNS1_13binary_searchIS3_S5_PjSB_SC_NS1_16binary_search_opENS8_6detail16wrapped_functionINS0_4lessIvEEbEEEE10hipError_tPvRmT1_T2_T3_mmT4_T5_P12ihipStream_tbEUlRKjE_EESL_SP_SQ_mSR_SU_bEUlT_E_NS1_11comp_targetILNS1_3genE10ELNS1_11target_archE1201ELNS1_3gpuE5ELNS1_3repE0EEENS1_30default_config_static_selectorELNS0_4arch9wavefront6targetE1EEEvSO_,"axG",@progbits,_ZN7rocprim17ROCPRIM_400000_NS6detail17trampoline_kernelINS0_14default_configENS1_29binary_search_config_selectorIjbEEZNS1_14transform_implILb0ES3_S5_N6thrust23THRUST_200600_302600_NS17counting_iteratorIjNS8_11use_defaultESA_SA_EEPbZNS1_13binary_searchIS3_S5_PjSB_SC_NS1_16binary_search_opENS8_6detail16wrapped_functionINS0_4lessIvEEbEEEE10hipError_tPvRmT1_T2_T3_mmT4_T5_P12ihipStream_tbEUlRKjE_EESL_SP_SQ_mSR_SU_bEUlT_E_NS1_11comp_targetILNS1_3genE10ELNS1_11target_archE1201ELNS1_3gpuE5ELNS1_3repE0EEENS1_30default_config_static_selectorELNS0_4arch9wavefront6targetE1EEEvSO_,comdat
	.protected	_ZN7rocprim17ROCPRIM_400000_NS6detail17trampoline_kernelINS0_14default_configENS1_29binary_search_config_selectorIjbEEZNS1_14transform_implILb0ES3_S5_N6thrust23THRUST_200600_302600_NS17counting_iteratorIjNS8_11use_defaultESA_SA_EEPbZNS1_13binary_searchIS3_S5_PjSB_SC_NS1_16binary_search_opENS8_6detail16wrapped_functionINS0_4lessIvEEbEEEE10hipError_tPvRmT1_T2_T3_mmT4_T5_P12ihipStream_tbEUlRKjE_EESL_SP_SQ_mSR_SU_bEUlT_E_NS1_11comp_targetILNS1_3genE10ELNS1_11target_archE1201ELNS1_3gpuE5ELNS1_3repE0EEENS1_30default_config_static_selectorELNS0_4arch9wavefront6targetE1EEEvSO_ ; -- Begin function _ZN7rocprim17ROCPRIM_400000_NS6detail17trampoline_kernelINS0_14default_configENS1_29binary_search_config_selectorIjbEEZNS1_14transform_implILb0ES3_S5_N6thrust23THRUST_200600_302600_NS17counting_iteratorIjNS8_11use_defaultESA_SA_EEPbZNS1_13binary_searchIS3_S5_PjSB_SC_NS1_16binary_search_opENS8_6detail16wrapped_functionINS0_4lessIvEEbEEEE10hipError_tPvRmT1_T2_T3_mmT4_T5_P12ihipStream_tbEUlRKjE_EESL_SP_SQ_mSR_SU_bEUlT_E_NS1_11comp_targetILNS1_3genE10ELNS1_11target_archE1201ELNS1_3gpuE5ELNS1_3repE0EEENS1_30default_config_static_selectorELNS0_4arch9wavefront6targetE1EEEvSO_
	.globl	_ZN7rocprim17ROCPRIM_400000_NS6detail17trampoline_kernelINS0_14default_configENS1_29binary_search_config_selectorIjbEEZNS1_14transform_implILb0ES3_S5_N6thrust23THRUST_200600_302600_NS17counting_iteratorIjNS8_11use_defaultESA_SA_EEPbZNS1_13binary_searchIS3_S5_PjSB_SC_NS1_16binary_search_opENS8_6detail16wrapped_functionINS0_4lessIvEEbEEEE10hipError_tPvRmT1_T2_T3_mmT4_T5_P12ihipStream_tbEUlRKjE_EESL_SP_SQ_mSR_SU_bEUlT_E_NS1_11comp_targetILNS1_3genE10ELNS1_11target_archE1201ELNS1_3gpuE5ELNS1_3repE0EEENS1_30default_config_static_selectorELNS0_4arch9wavefront6targetE1EEEvSO_
	.p2align	8
	.type	_ZN7rocprim17ROCPRIM_400000_NS6detail17trampoline_kernelINS0_14default_configENS1_29binary_search_config_selectorIjbEEZNS1_14transform_implILb0ES3_S5_N6thrust23THRUST_200600_302600_NS17counting_iteratorIjNS8_11use_defaultESA_SA_EEPbZNS1_13binary_searchIS3_S5_PjSB_SC_NS1_16binary_search_opENS8_6detail16wrapped_functionINS0_4lessIvEEbEEEE10hipError_tPvRmT1_T2_T3_mmT4_T5_P12ihipStream_tbEUlRKjE_EESL_SP_SQ_mSR_SU_bEUlT_E_NS1_11comp_targetILNS1_3genE10ELNS1_11target_archE1201ELNS1_3gpuE5ELNS1_3repE0EEENS1_30default_config_static_selectorELNS0_4arch9wavefront6targetE1EEEvSO_,@function
_ZN7rocprim17ROCPRIM_400000_NS6detail17trampoline_kernelINS0_14default_configENS1_29binary_search_config_selectorIjbEEZNS1_14transform_implILb0ES3_S5_N6thrust23THRUST_200600_302600_NS17counting_iteratorIjNS8_11use_defaultESA_SA_EEPbZNS1_13binary_searchIS3_S5_PjSB_SC_NS1_16binary_search_opENS8_6detail16wrapped_functionINS0_4lessIvEEbEEEE10hipError_tPvRmT1_T2_T3_mmT4_T5_P12ihipStream_tbEUlRKjE_EESL_SP_SQ_mSR_SU_bEUlT_E_NS1_11comp_targetILNS1_3genE10ELNS1_11target_archE1201ELNS1_3gpuE5ELNS1_3repE0EEENS1_30default_config_static_selectorELNS0_4arch9wavefront6targetE1EEEvSO_: ; @_ZN7rocprim17ROCPRIM_400000_NS6detail17trampoline_kernelINS0_14default_configENS1_29binary_search_config_selectorIjbEEZNS1_14transform_implILb0ES3_S5_N6thrust23THRUST_200600_302600_NS17counting_iteratorIjNS8_11use_defaultESA_SA_EEPbZNS1_13binary_searchIS3_S5_PjSB_SC_NS1_16binary_search_opENS8_6detail16wrapped_functionINS0_4lessIvEEbEEEE10hipError_tPvRmT1_T2_T3_mmT4_T5_P12ihipStream_tbEUlRKjE_EESL_SP_SQ_mSR_SU_bEUlT_E_NS1_11comp_targetILNS1_3genE10ELNS1_11target_archE1201ELNS1_3gpuE5ELNS1_3repE0EEENS1_30default_config_static_selectorELNS0_4arch9wavefront6targetE1EEEvSO_
; %bb.0:
	.section	.rodata,"a",@progbits
	.p2align	6, 0x0
	.amdhsa_kernel _ZN7rocprim17ROCPRIM_400000_NS6detail17trampoline_kernelINS0_14default_configENS1_29binary_search_config_selectorIjbEEZNS1_14transform_implILb0ES3_S5_N6thrust23THRUST_200600_302600_NS17counting_iteratorIjNS8_11use_defaultESA_SA_EEPbZNS1_13binary_searchIS3_S5_PjSB_SC_NS1_16binary_search_opENS8_6detail16wrapped_functionINS0_4lessIvEEbEEEE10hipError_tPvRmT1_T2_T3_mmT4_T5_P12ihipStream_tbEUlRKjE_EESL_SP_SQ_mSR_SU_bEUlT_E_NS1_11comp_targetILNS1_3genE10ELNS1_11target_archE1201ELNS1_3gpuE5ELNS1_3repE0EEENS1_30default_config_static_selectorELNS0_4arch9wavefront6targetE1EEEvSO_
		.amdhsa_group_segment_fixed_size 0
		.amdhsa_private_segment_fixed_size 0
		.amdhsa_kernarg_size 56
		.amdhsa_user_sgpr_count 6
		.amdhsa_user_sgpr_private_segment_buffer 1
		.amdhsa_user_sgpr_dispatch_ptr 0
		.amdhsa_user_sgpr_queue_ptr 0
		.amdhsa_user_sgpr_kernarg_segment_ptr 1
		.amdhsa_user_sgpr_dispatch_id 0
		.amdhsa_user_sgpr_flat_scratch_init 0
		.amdhsa_user_sgpr_kernarg_preload_length 0
		.amdhsa_user_sgpr_kernarg_preload_offset 0
		.amdhsa_user_sgpr_private_segment_size 0
		.amdhsa_uses_dynamic_stack 0
		.amdhsa_system_sgpr_private_segment_wavefront_offset 0
		.amdhsa_system_sgpr_workgroup_id_x 1
		.amdhsa_system_sgpr_workgroup_id_y 0
		.amdhsa_system_sgpr_workgroup_id_z 0
		.amdhsa_system_sgpr_workgroup_info 0
		.amdhsa_system_vgpr_workitem_id 0
		.amdhsa_next_free_vgpr 1
		.amdhsa_next_free_sgpr 0
		.amdhsa_accum_offset 4
		.amdhsa_reserve_vcc 0
		.amdhsa_reserve_flat_scratch 0
		.amdhsa_float_round_mode_32 0
		.amdhsa_float_round_mode_16_64 0
		.amdhsa_float_denorm_mode_32 3
		.amdhsa_float_denorm_mode_16_64 3
		.amdhsa_dx10_clamp 1
		.amdhsa_ieee_mode 1
		.amdhsa_fp16_overflow 0
		.amdhsa_tg_split 0
		.amdhsa_exception_fp_ieee_invalid_op 0
		.amdhsa_exception_fp_denorm_src 0
		.amdhsa_exception_fp_ieee_div_zero 0
		.amdhsa_exception_fp_ieee_overflow 0
		.amdhsa_exception_fp_ieee_underflow 0
		.amdhsa_exception_fp_ieee_inexact 0
		.amdhsa_exception_int_div_zero 0
	.end_amdhsa_kernel
	.section	.text._ZN7rocprim17ROCPRIM_400000_NS6detail17trampoline_kernelINS0_14default_configENS1_29binary_search_config_selectorIjbEEZNS1_14transform_implILb0ES3_S5_N6thrust23THRUST_200600_302600_NS17counting_iteratorIjNS8_11use_defaultESA_SA_EEPbZNS1_13binary_searchIS3_S5_PjSB_SC_NS1_16binary_search_opENS8_6detail16wrapped_functionINS0_4lessIvEEbEEEE10hipError_tPvRmT1_T2_T3_mmT4_T5_P12ihipStream_tbEUlRKjE_EESL_SP_SQ_mSR_SU_bEUlT_E_NS1_11comp_targetILNS1_3genE10ELNS1_11target_archE1201ELNS1_3gpuE5ELNS1_3repE0EEENS1_30default_config_static_selectorELNS0_4arch9wavefront6targetE1EEEvSO_,"axG",@progbits,_ZN7rocprim17ROCPRIM_400000_NS6detail17trampoline_kernelINS0_14default_configENS1_29binary_search_config_selectorIjbEEZNS1_14transform_implILb0ES3_S5_N6thrust23THRUST_200600_302600_NS17counting_iteratorIjNS8_11use_defaultESA_SA_EEPbZNS1_13binary_searchIS3_S5_PjSB_SC_NS1_16binary_search_opENS8_6detail16wrapped_functionINS0_4lessIvEEbEEEE10hipError_tPvRmT1_T2_T3_mmT4_T5_P12ihipStream_tbEUlRKjE_EESL_SP_SQ_mSR_SU_bEUlT_E_NS1_11comp_targetILNS1_3genE10ELNS1_11target_archE1201ELNS1_3gpuE5ELNS1_3repE0EEENS1_30default_config_static_selectorELNS0_4arch9wavefront6targetE1EEEvSO_,comdat
.Lfunc_end205:
	.size	_ZN7rocprim17ROCPRIM_400000_NS6detail17trampoline_kernelINS0_14default_configENS1_29binary_search_config_selectorIjbEEZNS1_14transform_implILb0ES3_S5_N6thrust23THRUST_200600_302600_NS17counting_iteratorIjNS8_11use_defaultESA_SA_EEPbZNS1_13binary_searchIS3_S5_PjSB_SC_NS1_16binary_search_opENS8_6detail16wrapped_functionINS0_4lessIvEEbEEEE10hipError_tPvRmT1_T2_T3_mmT4_T5_P12ihipStream_tbEUlRKjE_EESL_SP_SQ_mSR_SU_bEUlT_E_NS1_11comp_targetILNS1_3genE10ELNS1_11target_archE1201ELNS1_3gpuE5ELNS1_3repE0EEENS1_30default_config_static_selectorELNS0_4arch9wavefront6targetE1EEEvSO_, .Lfunc_end205-_ZN7rocprim17ROCPRIM_400000_NS6detail17trampoline_kernelINS0_14default_configENS1_29binary_search_config_selectorIjbEEZNS1_14transform_implILb0ES3_S5_N6thrust23THRUST_200600_302600_NS17counting_iteratorIjNS8_11use_defaultESA_SA_EEPbZNS1_13binary_searchIS3_S5_PjSB_SC_NS1_16binary_search_opENS8_6detail16wrapped_functionINS0_4lessIvEEbEEEE10hipError_tPvRmT1_T2_T3_mmT4_T5_P12ihipStream_tbEUlRKjE_EESL_SP_SQ_mSR_SU_bEUlT_E_NS1_11comp_targetILNS1_3genE10ELNS1_11target_archE1201ELNS1_3gpuE5ELNS1_3repE0EEENS1_30default_config_static_selectorELNS0_4arch9wavefront6targetE1EEEvSO_
                                        ; -- End function
	.section	.AMDGPU.csdata,"",@progbits
; Kernel info:
; codeLenInByte = 0
; NumSgprs: 4
; NumVgprs: 0
; NumAgprs: 0
; TotalNumVgprs: 0
; ScratchSize: 0
; MemoryBound: 0
; FloatMode: 240
; IeeeMode: 1
; LDSByteSize: 0 bytes/workgroup (compile time only)
; SGPRBlocks: 0
; VGPRBlocks: 0
; NumSGPRsForWavesPerEU: 4
; NumVGPRsForWavesPerEU: 1
; AccumOffset: 4
; Occupancy: 8
; WaveLimiterHint : 0
; COMPUTE_PGM_RSRC2:SCRATCH_EN: 0
; COMPUTE_PGM_RSRC2:USER_SGPR: 6
; COMPUTE_PGM_RSRC2:TRAP_HANDLER: 0
; COMPUTE_PGM_RSRC2:TGID_X_EN: 1
; COMPUTE_PGM_RSRC2:TGID_Y_EN: 0
; COMPUTE_PGM_RSRC2:TGID_Z_EN: 0
; COMPUTE_PGM_RSRC2:TIDIG_COMP_CNT: 0
; COMPUTE_PGM_RSRC3_GFX90A:ACCUM_OFFSET: 0
; COMPUTE_PGM_RSRC3_GFX90A:TG_SPLIT: 0
	.section	.text._ZN7rocprim17ROCPRIM_400000_NS6detail17trampoline_kernelINS0_14default_configENS1_29binary_search_config_selectorIjbEEZNS1_14transform_implILb0ES3_S5_N6thrust23THRUST_200600_302600_NS17counting_iteratorIjNS8_11use_defaultESA_SA_EEPbZNS1_13binary_searchIS3_S5_PjSB_SC_NS1_16binary_search_opENS8_6detail16wrapped_functionINS0_4lessIvEEbEEEE10hipError_tPvRmT1_T2_T3_mmT4_T5_P12ihipStream_tbEUlRKjE_EESL_SP_SQ_mSR_SU_bEUlT_E_NS1_11comp_targetILNS1_3genE10ELNS1_11target_archE1200ELNS1_3gpuE4ELNS1_3repE0EEENS1_30default_config_static_selectorELNS0_4arch9wavefront6targetE1EEEvSO_,"axG",@progbits,_ZN7rocprim17ROCPRIM_400000_NS6detail17trampoline_kernelINS0_14default_configENS1_29binary_search_config_selectorIjbEEZNS1_14transform_implILb0ES3_S5_N6thrust23THRUST_200600_302600_NS17counting_iteratorIjNS8_11use_defaultESA_SA_EEPbZNS1_13binary_searchIS3_S5_PjSB_SC_NS1_16binary_search_opENS8_6detail16wrapped_functionINS0_4lessIvEEbEEEE10hipError_tPvRmT1_T2_T3_mmT4_T5_P12ihipStream_tbEUlRKjE_EESL_SP_SQ_mSR_SU_bEUlT_E_NS1_11comp_targetILNS1_3genE10ELNS1_11target_archE1200ELNS1_3gpuE4ELNS1_3repE0EEENS1_30default_config_static_selectorELNS0_4arch9wavefront6targetE1EEEvSO_,comdat
	.protected	_ZN7rocprim17ROCPRIM_400000_NS6detail17trampoline_kernelINS0_14default_configENS1_29binary_search_config_selectorIjbEEZNS1_14transform_implILb0ES3_S5_N6thrust23THRUST_200600_302600_NS17counting_iteratorIjNS8_11use_defaultESA_SA_EEPbZNS1_13binary_searchIS3_S5_PjSB_SC_NS1_16binary_search_opENS8_6detail16wrapped_functionINS0_4lessIvEEbEEEE10hipError_tPvRmT1_T2_T3_mmT4_T5_P12ihipStream_tbEUlRKjE_EESL_SP_SQ_mSR_SU_bEUlT_E_NS1_11comp_targetILNS1_3genE10ELNS1_11target_archE1200ELNS1_3gpuE4ELNS1_3repE0EEENS1_30default_config_static_selectorELNS0_4arch9wavefront6targetE1EEEvSO_ ; -- Begin function _ZN7rocprim17ROCPRIM_400000_NS6detail17trampoline_kernelINS0_14default_configENS1_29binary_search_config_selectorIjbEEZNS1_14transform_implILb0ES3_S5_N6thrust23THRUST_200600_302600_NS17counting_iteratorIjNS8_11use_defaultESA_SA_EEPbZNS1_13binary_searchIS3_S5_PjSB_SC_NS1_16binary_search_opENS8_6detail16wrapped_functionINS0_4lessIvEEbEEEE10hipError_tPvRmT1_T2_T3_mmT4_T5_P12ihipStream_tbEUlRKjE_EESL_SP_SQ_mSR_SU_bEUlT_E_NS1_11comp_targetILNS1_3genE10ELNS1_11target_archE1200ELNS1_3gpuE4ELNS1_3repE0EEENS1_30default_config_static_selectorELNS0_4arch9wavefront6targetE1EEEvSO_
	.globl	_ZN7rocprim17ROCPRIM_400000_NS6detail17trampoline_kernelINS0_14default_configENS1_29binary_search_config_selectorIjbEEZNS1_14transform_implILb0ES3_S5_N6thrust23THRUST_200600_302600_NS17counting_iteratorIjNS8_11use_defaultESA_SA_EEPbZNS1_13binary_searchIS3_S5_PjSB_SC_NS1_16binary_search_opENS8_6detail16wrapped_functionINS0_4lessIvEEbEEEE10hipError_tPvRmT1_T2_T3_mmT4_T5_P12ihipStream_tbEUlRKjE_EESL_SP_SQ_mSR_SU_bEUlT_E_NS1_11comp_targetILNS1_3genE10ELNS1_11target_archE1200ELNS1_3gpuE4ELNS1_3repE0EEENS1_30default_config_static_selectorELNS0_4arch9wavefront6targetE1EEEvSO_
	.p2align	8
	.type	_ZN7rocprim17ROCPRIM_400000_NS6detail17trampoline_kernelINS0_14default_configENS1_29binary_search_config_selectorIjbEEZNS1_14transform_implILb0ES3_S5_N6thrust23THRUST_200600_302600_NS17counting_iteratorIjNS8_11use_defaultESA_SA_EEPbZNS1_13binary_searchIS3_S5_PjSB_SC_NS1_16binary_search_opENS8_6detail16wrapped_functionINS0_4lessIvEEbEEEE10hipError_tPvRmT1_T2_T3_mmT4_T5_P12ihipStream_tbEUlRKjE_EESL_SP_SQ_mSR_SU_bEUlT_E_NS1_11comp_targetILNS1_3genE10ELNS1_11target_archE1200ELNS1_3gpuE4ELNS1_3repE0EEENS1_30default_config_static_selectorELNS0_4arch9wavefront6targetE1EEEvSO_,@function
_ZN7rocprim17ROCPRIM_400000_NS6detail17trampoline_kernelINS0_14default_configENS1_29binary_search_config_selectorIjbEEZNS1_14transform_implILb0ES3_S5_N6thrust23THRUST_200600_302600_NS17counting_iteratorIjNS8_11use_defaultESA_SA_EEPbZNS1_13binary_searchIS3_S5_PjSB_SC_NS1_16binary_search_opENS8_6detail16wrapped_functionINS0_4lessIvEEbEEEE10hipError_tPvRmT1_T2_T3_mmT4_T5_P12ihipStream_tbEUlRKjE_EESL_SP_SQ_mSR_SU_bEUlT_E_NS1_11comp_targetILNS1_3genE10ELNS1_11target_archE1200ELNS1_3gpuE4ELNS1_3repE0EEENS1_30default_config_static_selectorELNS0_4arch9wavefront6targetE1EEEvSO_: ; @_ZN7rocprim17ROCPRIM_400000_NS6detail17trampoline_kernelINS0_14default_configENS1_29binary_search_config_selectorIjbEEZNS1_14transform_implILb0ES3_S5_N6thrust23THRUST_200600_302600_NS17counting_iteratorIjNS8_11use_defaultESA_SA_EEPbZNS1_13binary_searchIS3_S5_PjSB_SC_NS1_16binary_search_opENS8_6detail16wrapped_functionINS0_4lessIvEEbEEEE10hipError_tPvRmT1_T2_T3_mmT4_T5_P12ihipStream_tbEUlRKjE_EESL_SP_SQ_mSR_SU_bEUlT_E_NS1_11comp_targetILNS1_3genE10ELNS1_11target_archE1200ELNS1_3gpuE4ELNS1_3repE0EEENS1_30default_config_static_selectorELNS0_4arch9wavefront6targetE1EEEvSO_
; %bb.0:
	.section	.rodata,"a",@progbits
	.p2align	6, 0x0
	.amdhsa_kernel _ZN7rocprim17ROCPRIM_400000_NS6detail17trampoline_kernelINS0_14default_configENS1_29binary_search_config_selectorIjbEEZNS1_14transform_implILb0ES3_S5_N6thrust23THRUST_200600_302600_NS17counting_iteratorIjNS8_11use_defaultESA_SA_EEPbZNS1_13binary_searchIS3_S5_PjSB_SC_NS1_16binary_search_opENS8_6detail16wrapped_functionINS0_4lessIvEEbEEEE10hipError_tPvRmT1_T2_T3_mmT4_T5_P12ihipStream_tbEUlRKjE_EESL_SP_SQ_mSR_SU_bEUlT_E_NS1_11comp_targetILNS1_3genE10ELNS1_11target_archE1200ELNS1_3gpuE4ELNS1_3repE0EEENS1_30default_config_static_selectorELNS0_4arch9wavefront6targetE1EEEvSO_
		.amdhsa_group_segment_fixed_size 0
		.amdhsa_private_segment_fixed_size 0
		.amdhsa_kernarg_size 56
		.amdhsa_user_sgpr_count 6
		.amdhsa_user_sgpr_private_segment_buffer 1
		.amdhsa_user_sgpr_dispatch_ptr 0
		.amdhsa_user_sgpr_queue_ptr 0
		.amdhsa_user_sgpr_kernarg_segment_ptr 1
		.amdhsa_user_sgpr_dispatch_id 0
		.amdhsa_user_sgpr_flat_scratch_init 0
		.amdhsa_user_sgpr_kernarg_preload_length 0
		.amdhsa_user_sgpr_kernarg_preload_offset 0
		.amdhsa_user_sgpr_private_segment_size 0
		.amdhsa_uses_dynamic_stack 0
		.amdhsa_system_sgpr_private_segment_wavefront_offset 0
		.amdhsa_system_sgpr_workgroup_id_x 1
		.amdhsa_system_sgpr_workgroup_id_y 0
		.amdhsa_system_sgpr_workgroup_id_z 0
		.amdhsa_system_sgpr_workgroup_info 0
		.amdhsa_system_vgpr_workitem_id 0
		.amdhsa_next_free_vgpr 1
		.amdhsa_next_free_sgpr 0
		.amdhsa_accum_offset 4
		.amdhsa_reserve_vcc 0
		.amdhsa_reserve_flat_scratch 0
		.amdhsa_float_round_mode_32 0
		.amdhsa_float_round_mode_16_64 0
		.amdhsa_float_denorm_mode_32 3
		.amdhsa_float_denorm_mode_16_64 3
		.amdhsa_dx10_clamp 1
		.amdhsa_ieee_mode 1
		.amdhsa_fp16_overflow 0
		.amdhsa_tg_split 0
		.amdhsa_exception_fp_ieee_invalid_op 0
		.amdhsa_exception_fp_denorm_src 0
		.amdhsa_exception_fp_ieee_div_zero 0
		.amdhsa_exception_fp_ieee_overflow 0
		.amdhsa_exception_fp_ieee_underflow 0
		.amdhsa_exception_fp_ieee_inexact 0
		.amdhsa_exception_int_div_zero 0
	.end_amdhsa_kernel
	.section	.text._ZN7rocprim17ROCPRIM_400000_NS6detail17trampoline_kernelINS0_14default_configENS1_29binary_search_config_selectorIjbEEZNS1_14transform_implILb0ES3_S5_N6thrust23THRUST_200600_302600_NS17counting_iteratorIjNS8_11use_defaultESA_SA_EEPbZNS1_13binary_searchIS3_S5_PjSB_SC_NS1_16binary_search_opENS8_6detail16wrapped_functionINS0_4lessIvEEbEEEE10hipError_tPvRmT1_T2_T3_mmT4_T5_P12ihipStream_tbEUlRKjE_EESL_SP_SQ_mSR_SU_bEUlT_E_NS1_11comp_targetILNS1_3genE10ELNS1_11target_archE1200ELNS1_3gpuE4ELNS1_3repE0EEENS1_30default_config_static_selectorELNS0_4arch9wavefront6targetE1EEEvSO_,"axG",@progbits,_ZN7rocprim17ROCPRIM_400000_NS6detail17trampoline_kernelINS0_14default_configENS1_29binary_search_config_selectorIjbEEZNS1_14transform_implILb0ES3_S5_N6thrust23THRUST_200600_302600_NS17counting_iteratorIjNS8_11use_defaultESA_SA_EEPbZNS1_13binary_searchIS3_S5_PjSB_SC_NS1_16binary_search_opENS8_6detail16wrapped_functionINS0_4lessIvEEbEEEE10hipError_tPvRmT1_T2_T3_mmT4_T5_P12ihipStream_tbEUlRKjE_EESL_SP_SQ_mSR_SU_bEUlT_E_NS1_11comp_targetILNS1_3genE10ELNS1_11target_archE1200ELNS1_3gpuE4ELNS1_3repE0EEENS1_30default_config_static_selectorELNS0_4arch9wavefront6targetE1EEEvSO_,comdat
.Lfunc_end206:
	.size	_ZN7rocprim17ROCPRIM_400000_NS6detail17trampoline_kernelINS0_14default_configENS1_29binary_search_config_selectorIjbEEZNS1_14transform_implILb0ES3_S5_N6thrust23THRUST_200600_302600_NS17counting_iteratorIjNS8_11use_defaultESA_SA_EEPbZNS1_13binary_searchIS3_S5_PjSB_SC_NS1_16binary_search_opENS8_6detail16wrapped_functionINS0_4lessIvEEbEEEE10hipError_tPvRmT1_T2_T3_mmT4_T5_P12ihipStream_tbEUlRKjE_EESL_SP_SQ_mSR_SU_bEUlT_E_NS1_11comp_targetILNS1_3genE10ELNS1_11target_archE1200ELNS1_3gpuE4ELNS1_3repE0EEENS1_30default_config_static_selectorELNS0_4arch9wavefront6targetE1EEEvSO_, .Lfunc_end206-_ZN7rocprim17ROCPRIM_400000_NS6detail17trampoline_kernelINS0_14default_configENS1_29binary_search_config_selectorIjbEEZNS1_14transform_implILb0ES3_S5_N6thrust23THRUST_200600_302600_NS17counting_iteratorIjNS8_11use_defaultESA_SA_EEPbZNS1_13binary_searchIS3_S5_PjSB_SC_NS1_16binary_search_opENS8_6detail16wrapped_functionINS0_4lessIvEEbEEEE10hipError_tPvRmT1_T2_T3_mmT4_T5_P12ihipStream_tbEUlRKjE_EESL_SP_SQ_mSR_SU_bEUlT_E_NS1_11comp_targetILNS1_3genE10ELNS1_11target_archE1200ELNS1_3gpuE4ELNS1_3repE0EEENS1_30default_config_static_selectorELNS0_4arch9wavefront6targetE1EEEvSO_
                                        ; -- End function
	.section	.AMDGPU.csdata,"",@progbits
; Kernel info:
; codeLenInByte = 0
; NumSgprs: 4
; NumVgprs: 0
; NumAgprs: 0
; TotalNumVgprs: 0
; ScratchSize: 0
; MemoryBound: 0
; FloatMode: 240
; IeeeMode: 1
; LDSByteSize: 0 bytes/workgroup (compile time only)
; SGPRBlocks: 0
; VGPRBlocks: 0
; NumSGPRsForWavesPerEU: 4
; NumVGPRsForWavesPerEU: 1
; AccumOffset: 4
; Occupancy: 8
; WaveLimiterHint : 0
; COMPUTE_PGM_RSRC2:SCRATCH_EN: 0
; COMPUTE_PGM_RSRC2:USER_SGPR: 6
; COMPUTE_PGM_RSRC2:TRAP_HANDLER: 0
; COMPUTE_PGM_RSRC2:TGID_X_EN: 1
; COMPUTE_PGM_RSRC2:TGID_Y_EN: 0
; COMPUTE_PGM_RSRC2:TGID_Z_EN: 0
; COMPUTE_PGM_RSRC2:TIDIG_COMP_CNT: 0
; COMPUTE_PGM_RSRC3_GFX90A:ACCUM_OFFSET: 0
; COMPUTE_PGM_RSRC3_GFX90A:TG_SPLIT: 0
	.section	.text._ZN7rocprim17ROCPRIM_400000_NS6detail17trampoline_kernelINS0_14default_configENS1_29binary_search_config_selectorIjbEEZNS1_14transform_implILb0ES3_S5_N6thrust23THRUST_200600_302600_NS17counting_iteratorIjNS8_11use_defaultESA_SA_EEPbZNS1_13binary_searchIS3_S5_PjSB_SC_NS1_16binary_search_opENS8_6detail16wrapped_functionINS0_4lessIvEEbEEEE10hipError_tPvRmT1_T2_T3_mmT4_T5_P12ihipStream_tbEUlRKjE_EESL_SP_SQ_mSR_SU_bEUlT_E_NS1_11comp_targetILNS1_3genE9ELNS1_11target_archE1100ELNS1_3gpuE3ELNS1_3repE0EEENS1_30default_config_static_selectorELNS0_4arch9wavefront6targetE1EEEvSO_,"axG",@progbits,_ZN7rocprim17ROCPRIM_400000_NS6detail17trampoline_kernelINS0_14default_configENS1_29binary_search_config_selectorIjbEEZNS1_14transform_implILb0ES3_S5_N6thrust23THRUST_200600_302600_NS17counting_iteratorIjNS8_11use_defaultESA_SA_EEPbZNS1_13binary_searchIS3_S5_PjSB_SC_NS1_16binary_search_opENS8_6detail16wrapped_functionINS0_4lessIvEEbEEEE10hipError_tPvRmT1_T2_T3_mmT4_T5_P12ihipStream_tbEUlRKjE_EESL_SP_SQ_mSR_SU_bEUlT_E_NS1_11comp_targetILNS1_3genE9ELNS1_11target_archE1100ELNS1_3gpuE3ELNS1_3repE0EEENS1_30default_config_static_selectorELNS0_4arch9wavefront6targetE1EEEvSO_,comdat
	.protected	_ZN7rocprim17ROCPRIM_400000_NS6detail17trampoline_kernelINS0_14default_configENS1_29binary_search_config_selectorIjbEEZNS1_14transform_implILb0ES3_S5_N6thrust23THRUST_200600_302600_NS17counting_iteratorIjNS8_11use_defaultESA_SA_EEPbZNS1_13binary_searchIS3_S5_PjSB_SC_NS1_16binary_search_opENS8_6detail16wrapped_functionINS0_4lessIvEEbEEEE10hipError_tPvRmT1_T2_T3_mmT4_T5_P12ihipStream_tbEUlRKjE_EESL_SP_SQ_mSR_SU_bEUlT_E_NS1_11comp_targetILNS1_3genE9ELNS1_11target_archE1100ELNS1_3gpuE3ELNS1_3repE0EEENS1_30default_config_static_selectorELNS0_4arch9wavefront6targetE1EEEvSO_ ; -- Begin function _ZN7rocprim17ROCPRIM_400000_NS6detail17trampoline_kernelINS0_14default_configENS1_29binary_search_config_selectorIjbEEZNS1_14transform_implILb0ES3_S5_N6thrust23THRUST_200600_302600_NS17counting_iteratorIjNS8_11use_defaultESA_SA_EEPbZNS1_13binary_searchIS3_S5_PjSB_SC_NS1_16binary_search_opENS8_6detail16wrapped_functionINS0_4lessIvEEbEEEE10hipError_tPvRmT1_T2_T3_mmT4_T5_P12ihipStream_tbEUlRKjE_EESL_SP_SQ_mSR_SU_bEUlT_E_NS1_11comp_targetILNS1_3genE9ELNS1_11target_archE1100ELNS1_3gpuE3ELNS1_3repE0EEENS1_30default_config_static_selectorELNS0_4arch9wavefront6targetE1EEEvSO_
	.globl	_ZN7rocprim17ROCPRIM_400000_NS6detail17trampoline_kernelINS0_14default_configENS1_29binary_search_config_selectorIjbEEZNS1_14transform_implILb0ES3_S5_N6thrust23THRUST_200600_302600_NS17counting_iteratorIjNS8_11use_defaultESA_SA_EEPbZNS1_13binary_searchIS3_S5_PjSB_SC_NS1_16binary_search_opENS8_6detail16wrapped_functionINS0_4lessIvEEbEEEE10hipError_tPvRmT1_T2_T3_mmT4_T5_P12ihipStream_tbEUlRKjE_EESL_SP_SQ_mSR_SU_bEUlT_E_NS1_11comp_targetILNS1_3genE9ELNS1_11target_archE1100ELNS1_3gpuE3ELNS1_3repE0EEENS1_30default_config_static_selectorELNS0_4arch9wavefront6targetE1EEEvSO_
	.p2align	8
	.type	_ZN7rocprim17ROCPRIM_400000_NS6detail17trampoline_kernelINS0_14default_configENS1_29binary_search_config_selectorIjbEEZNS1_14transform_implILb0ES3_S5_N6thrust23THRUST_200600_302600_NS17counting_iteratorIjNS8_11use_defaultESA_SA_EEPbZNS1_13binary_searchIS3_S5_PjSB_SC_NS1_16binary_search_opENS8_6detail16wrapped_functionINS0_4lessIvEEbEEEE10hipError_tPvRmT1_T2_T3_mmT4_T5_P12ihipStream_tbEUlRKjE_EESL_SP_SQ_mSR_SU_bEUlT_E_NS1_11comp_targetILNS1_3genE9ELNS1_11target_archE1100ELNS1_3gpuE3ELNS1_3repE0EEENS1_30default_config_static_selectorELNS0_4arch9wavefront6targetE1EEEvSO_,@function
_ZN7rocprim17ROCPRIM_400000_NS6detail17trampoline_kernelINS0_14default_configENS1_29binary_search_config_selectorIjbEEZNS1_14transform_implILb0ES3_S5_N6thrust23THRUST_200600_302600_NS17counting_iteratorIjNS8_11use_defaultESA_SA_EEPbZNS1_13binary_searchIS3_S5_PjSB_SC_NS1_16binary_search_opENS8_6detail16wrapped_functionINS0_4lessIvEEbEEEE10hipError_tPvRmT1_T2_T3_mmT4_T5_P12ihipStream_tbEUlRKjE_EESL_SP_SQ_mSR_SU_bEUlT_E_NS1_11comp_targetILNS1_3genE9ELNS1_11target_archE1100ELNS1_3gpuE3ELNS1_3repE0EEENS1_30default_config_static_selectorELNS0_4arch9wavefront6targetE1EEEvSO_: ; @_ZN7rocprim17ROCPRIM_400000_NS6detail17trampoline_kernelINS0_14default_configENS1_29binary_search_config_selectorIjbEEZNS1_14transform_implILb0ES3_S5_N6thrust23THRUST_200600_302600_NS17counting_iteratorIjNS8_11use_defaultESA_SA_EEPbZNS1_13binary_searchIS3_S5_PjSB_SC_NS1_16binary_search_opENS8_6detail16wrapped_functionINS0_4lessIvEEbEEEE10hipError_tPvRmT1_T2_T3_mmT4_T5_P12ihipStream_tbEUlRKjE_EESL_SP_SQ_mSR_SU_bEUlT_E_NS1_11comp_targetILNS1_3genE9ELNS1_11target_archE1100ELNS1_3gpuE3ELNS1_3repE0EEENS1_30default_config_static_selectorELNS0_4arch9wavefront6targetE1EEEvSO_
; %bb.0:
	.section	.rodata,"a",@progbits
	.p2align	6, 0x0
	.amdhsa_kernel _ZN7rocprim17ROCPRIM_400000_NS6detail17trampoline_kernelINS0_14default_configENS1_29binary_search_config_selectorIjbEEZNS1_14transform_implILb0ES3_S5_N6thrust23THRUST_200600_302600_NS17counting_iteratorIjNS8_11use_defaultESA_SA_EEPbZNS1_13binary_searchIS3_S5_PjSB_SC_NS1_16binary_search_opENS8_6detail16wrapped_functionINS0_4lessIvEEbEEEE10hipError_tPvRmT1_T2_T3_mmT4_T5_P12ihipStream_tbEUlRKjE_EESL_SP_SQ_mSR_SU_bEUlT_E_NS1_11comp_targetILNS1_3genE9ELNS1_11target_archE1100ELNS1_3gpuE3ELNS1_3repE0EEENS1_30default_config_static_selectorELNS0_4arch9wavefront6targetE1EEEvSO_
		.amdhsa_group_segment_fixed_size 0
		.amdhsa_private_segment_fixed_size 0
		.amdhsa_kernarg_size 56
		.amdhsa_user_sgpr_count 6
		.amdhsa_user_sgpr_private_segment_buffer 1
		.amdhsa_user_sgpr_dispatch_ptr 0
		.amdhsa_user_sgpr_queue_ptr 0
		.amdhsa_user_sgpr_kernarg_segment_ptr 1
		.amdhsa_user_sgpr_dispatch_id 0
		.amdhsa_user_sgpr_flat_scratch_init 0
		.amdhsa_user_sgpr_kernarg_preload_length 0
		.amdhsa_user_sgpr_kernarg_preload_offset 0
		.amdhsa_user_sgpr_private_segment_size 0
		.amdhsa_uses_dynamic_stack 0
		.amdhsa_system_sgpr_private_segment_wavefront_offset 0
		.amdhsa_system_sgpr_workgroup_id_x 1
		.amdhsa_system_sgpr_workgroup_id_y 0
		.amdhsa_system_sgpr_workgroup_id_z 0
		.amdhsa_system_sgpr_workgroup_info 0
		.amdhsa_system_vgpr_workitem_id 0
		.amdhsa_next_free_vgpr 1
		.amdhsa_next_free_sgpr 0
		.amdhsa_accum_offset 4
		.amdhsa_reserve_vcc 0
		.amdhsa_reserve_flat_scratch 0
		.amdhsa_float_round_mode_32 0
		.amdhsa_float_round_mode_16_64 0
		.amdhsa_float_denorm_mode_32 3
		.amdhsa_float_denorm_mode_16_64 3
		.amdhsa_dx10_clamp 1
		.amdhsa_ieee_mode 1
		.amdhsa_fp16_overflow 0
		.amdhsa_tg_split 0
		.amdhsa_exception_fp_ieee_invalid_op 0
		.amdhsa_exception_fp_denorm_src 0
		.amdhsa_exception_fp_ieee_div_zero 0
		.amdhsa_exception_fp_ieee_overflow 0
		.amdhsa_exception_fp_ieee_underflow 0
		.amdhsa_exception_fp_ieee_inexact 0
		.amdhsa_exception_int_div_zero 0
	.end_amdhsa_kernel
	.section	.text._ZN7rocprim17ROCPRIM_400000_NS6detail17trampoline_kernelINS0_14default_configENS1_29binary_search_config_selectorIjbEEZNS1_14transform_implILb0ES3_S5_N6thrust23THRUST_200600_302600_NS17counting_iteratorIjNS8_11use_defaultESA_SA_EEPbZNS1_13binary_searchIS3_S5_PjSB_SC_NS1_16binary_search_opENS8_6detail16wrapped_functionINS0_4lessIvEEbEEEE10hipError_tPvRmT1_T2_T3_mmT4_T5_P12ihipStream_tbEUlRKjE_EESL_SP_SQ_mSR_SU_bEUlT_E_NS1_11comp_targetILNS1_3genE9ELNS1_11target_archE1100ELNS1_3gpuE3ELNS1_3repE0EEENS1_30default_config_static_selectorELNS0_4arch9wavefront6targetE1EEEvSO_,"axG",@progbits,_ZN7rocprim17ROCPRIM_400000_NS6detail17trampoline_kernelINS0_14default_configENS1_29binary_search_config_selectorIjbEEZNS1_14transform_implILb0ES3_S5_N6thrust23THRUST_200600_302600_NS17counting_iteratorIjNS8_11use_defaultESA_SA_EEPbZNS1_13binary_searchIS3_S5_PjSB_SC_NS1_16binary_search_opENS8_6detail16wrapped_functionINS0_4lessIvEEbEEEE10hipError_tPvRmT1_T2_T3_mmT4_T5_P12ihipStream_tbEUlRKjE_EESL_SP_SQ_mSR_SU_bEUlT_E_NS1_11comp_targetILNS1_3genE9ELNS1_11target_archE1100ELNS1_3gpuE3ELNS1_3repE0EEENS1_30default_config_static_selectorELNS0_4arch9wavefront6targetE1EEEvSO_,comdat
.Lfunc_end207:
	.size	_ZN7rocprim17ROCPRIM_400000_NS6detail17trampoline_kernelINS0_14default_configENS1_29binary_search_config_selectorIjbEEZNS1_14transform_implILb0ES3_S5_N6thrust23THRUST_200600_302600_NS17counting_iteratorIjNS8_11use_defaultESA_SA_EEPbZNS1_13binary_searchIS3_S5_PjSB_SC_NS1_16binary_search_opENS8_6detail16wrapped_functionINS0_4lessIvEEbEEEE10hipError_tPvRmT1_T2_T3_mmT4_T5_P12ihipStream_tbEUlRKjE_EESL_SP_SQ_mSR_SU_bEUlT_E_NS1_11comp_targetILNS1_3genE9ELNS1_11target_archE1100ELNS1_3gpuE3ELNS1_3repE0EEENS1_30default_config_static_selectorELNS0_4arch9wavefront6targetE1EEEvSO_, .Lfunc_end207-_ZN7rocprim17ROCPRIM_400000_NS6detail17trampoline_kernelINS0_14default_configENS1_29binary_search_config_selectorIjbEEZNS1_14transform_implILb0ES3_S5_N6thrust23THRUST_200600_302600_NS17counting_iteratorIjNS8_11use_defaultESA_SA_EEPbZNS1_13binary_searchIS3_S5_PjSB_SC_NS1_16binary_search_opENS8_6detail16wrapped_functionINS0_4lessIvEEbEEEE10hipError_tPvRmT1_T2_T3_mmT4_T5_P12ihipStream_tbEUlRKjE_EESL_SP_SQ_mSR_SU_bEUlT_E_NS1_11comp_targetILNS1_3genE9ELNS1_11target_archE1100ELNS1_3gpuE3ELNS1_3repE0EEENS1_30default_config_static_selectorELNS0_4arch9wavefront6targetE1EEEvSO_
                                        ; -- End function
	.section	.AMDGPU.csdata,"",@progbits
; Kernel info:
; codeLenInByte = 0
; NumSgprs: 4
; NumVgprs: 0
; NumAgprs: 0
; TotalNumVgprs: 0
; ScratchSize: 0
; MemoryBound: 0
; FloatMode: 240
; IeeeMode: 1
; LDSByteSize: 0 bytes/workgroup (compile time only)
; SGPRBlocks: 0
; VGPRBlocks: 0
; NumSGPRsForWavesPerEU: 4
; NumVGPRsForWavesPerEU: 1
; AccumOffset: 4
; Occupancy: 8
; WaveLimiterHint : 0
; COMPUTE_PGM_RSRC2:SCRATCH_EN: 0
; COMPUTE_PGM_RSRC2:USER_SGPR: 6
; COMPUTE_PGM_RSRC2:TRAP_HANDLER: 0
; COMPUTE_PGM_RSRC2:TGID_X_EN: 1
; COMPUTE_PGM_RSRC2:TGID_Y_EN: 0
; COMPUTE_PGM_RSRC2:TGID_Z_EN: 0
; COMPUTE_PGM_RSRC2:TIDIG_COMP_CNT: 0
; COMPUTE_PGM_RSRC3_GFX90A:ACCUM_OFFSET: 0
; COMPUTE_PGM_RSRC3_GFX90A:TG_SPLIT: 0
	.section	.text._ZN7rocprim17ROCPRIM_400000_NS6detail17trampoline_kernelINS0_14default_configENS1_29binary_search_config_selectorIjbEEZNS1_14transform_implILb0ES3_S5_N6thrust23THRUST_200600_302600_NS17counting_iteratorIjNS8_11use_defaultESA_SA_EEPbZNS1_13binary_searchIS3_S5_PjSB_SC_NS1_16binary_search_opENS8_6detail16wrapped_functionINS0_4lessIvEEbEEEE10hipError_tPvRmT1_T2_T3_mmT4_T5_P12ihipStream_tbEUlRKjE_EESL_SP_SQ_mSR_SU_bEUlT_E_NS1_11comp_targetILNS1_3genE8ELNS1_11target_archE1030ELNS1_3gpuE2ELNS1_3repE0EEENS1_30default_config_static_selectorELNS0_4arch9wavefront6targetE1EEEvSO_,"axG",@progbits,_ZN7rocprim17ROCPRIM_400000_NS6detail17trampoline_kernelINS0_14default_configENS1_29binary_search_config_selectorIjbEEZNS1_14transform_implILb0ES3_S5_N6thrust23THRUST_200600_302600_NS17counting_iteratorIjNS8_11use_defaultESA_SA_EEPbZNS1_13binary_searchIS3_S5_PjSB_SC_NS1_16binary_search_opENS8_6detail16wrapped_functionINS0_4lessIvEEbEEEE10hipError_tPvRmT1_T2_T3_mmT4_T5_P12ihipStream_tbEUlRKjE_EESL_SP_SQ_mSR_SU_bEUlT_E_NS1_11comp_targetILNS1_3genE8ELNS1_11target_archE1030ELNS1_3gpuE2ELNS1_3repE0EEENS1_30default_config_static_selectorELNS0_4arch9wavefront6targetE1EEEvSO_,comdat
	.protected	_ZN7rocprim17ROCPRIM_400000_NS6detail17trampoline_kernelINS0_14default_configENS1_29binary_search_config_selectorIjbEEZNS1_14transform_implILb0ES3_S5_N6thrust23THRUST_200600_302600_NS17counting_iteratorIjNS8_11use_defaultESA_SA_EEPbZNS1_13binary_searchIS3_S5_PjSB_SC_NS1_16binary_search_opENS8_6detail16wrapped_functionINS0_4lessIvEEbEEEE10hipError_tPvRmT1_T2_T3_mmT4_T5_P12ihipStream_tbEUlRKjE_EESL_SP_SQ_mSR_SU_bEUlT_E_NS1_11comp_targetILNS1_3genE8ELNS1_11target_archE1030ELNS1_3gpuE2ELNS1_3repE0EEENS1_30default_config_static_selectorELNS0_4arch9wavefront6targetE1EEEvSO_ ; -- Begin function _ZN7rocprim17ROCPRIM_400000_NS6detail17trampoline_kernelINS0_14default_configENS1_29binary_search_config_selectorIjbEEZNS1_14transform_implILb0ES3_S5_N6thrust23THRUST_200600_302600_NS17counting_iteratorIjNS8_11use_defaultESA_SA_EEPbZNS1_13binary_searchIS3_S5_PjSB_SC_NS1_16binary_search_opENS8_6detail16wrapped_functionINS0_4lessIvEEbEEEE10hipError_tPvRmT1_T2_T3_mmT4_T5_P12ihipStream_tbEUlRKjE_EESL_SP_SQ_mSR_SU_bEUlT_E_NS1_11comp_targetILNS1_3genE8ELNS1_11target_archE1030ELNS1_3gpuE2ELNS1_3repE0EEENS1_30default_config_static_selectorELNS0_4arch9wavefront6targetE1EEEvSO_
	.globl	_ZN7rocprim17ROCPRIM_400000_NS6detail17trampoline_kernelINS0_14default_configENS1_29binary_search_config_selectorIjbEEZNS1_14transform_implILb0ES3_S5_N6thrust23THRUST_200600_302600_NS17counting_iteratorIjNS8_11use_defaultESA_SA_EEPbZNS1_13binary_searchIS3_S5_PjSB_SC_NS1_16binary_search_opENS8_6detail16wrapped_functionINS0_4lessIvEEbEEEE10hipError_tPvRmT1_T2_T3_mmT4_T5_P12ihipStream_tbEUlRKjE_EESL_SP_SQ_mSR_SU_bEUlT_E_NS1_11comp_targetILNS1_3genE8ELNS1_11target_archE1030ELNS1_3gpuE2ELNS1_3repE0EEENS1_30default_config_static_selectorELNS0_4arch9wavefront6targetE1EEEvSO_
	.p2align	8
	.type	_ZN7rocprim17ROCPRIM_400000_NS6detail17trampoline_kernelINS0_14default_configENS1_29binary_search_config_selectorIjbEEZNS1_14transform_implILb0ES3_S5_N6thrust23THRUST_200600_302600_NS17counting_iteratorIjNS8_11use_defaultESA_SA_EEPbZNS1_13binary_searchIS3_S5_PjSB_SC_NS1_16binary_search_opENS8_6detail16wrapped_functionINS0_4lessIvEEbEEEE10hipError_tPvRmT1_T2_T3_mmT4_T5_P12ihipStream_tbEUlRKjE_EESL_SP_SQ_mSR_SU_bEUlT_E_NS1_11comp_targetILNS1_3genE8ELNS1_11target_archE1030ELNS1_3gpuE2ELNS1_3repE0EEENS1_30default_config_static_selectorELNS0_4arch9wavefront6targetE1EEEvSO_,@function
_ZN7rocprim17ROCPRIM_400000_NS6detail17trampoline_kernelINS0_14default_configENS1_29binary_search_config_selectorIjbEEZNS1_14transform_implILb0ES3_S5_N6thrust23THRUST_200600_302600_NS17counting_iteratorIjNS8_11use_defaultESA_SA_EEPbZNS1_13binary_searchIS3_S5_PjSB_SC_NS1_16binary_search_opENS8_6detail16wrapped_functionINS0_4lessIvEEbEEEE10hipError_tPvRmT1_T2_T3_mmT4_T5_P12ihipStream_tbEUlRKjE_EESL_SP_SQ_mSR_SU_bEUlT_E_NS1_11comp_targetILNS1_3genE8ELNS1_11target_archE1030ELNS1_3gpuE2ELNS1_3repE0EEENS1_30default_config_static_selectorELNS0_4arch9wavefront6targetE1EEEvSO_: ; @_ZN7rocprim17ROCPRIM_400000_NS6detail17trampoline_kernelINS0_14default_configENS1_29binary_search_config_selectorIjbEEZNS1_14transform_implILb0ES3_S5_N6thrust23THRUST_200600_302600_NS17counting_iteratorIjNS8_11use_defaultESA_SA_EEPbZNS1_13binary_searchIS3_S5_PjSB_SC_NS1_16binary_search_opENS8_6detail16wrapped_functionINS0_4lessIvEEbEEEE10hipError_tPvRmT1_T2_T3_mmT4_T5_P12ihipStream_tbEUlRKjE_EESL_SP_SQ_mSR_SU_bEUlT_E_NS1_11comp_targetILNS1_3genE8ELNS1_11target_archE1030ELNS1_3gpuE2ELNS1_3repE0EEENS1_30default_config_static_selectorELNS0_4arch9wavefront6targetE1EEEvSO_
; %bb.0:
	.section	.rodata,"a",@progbits
	.p2align	6, 0x0
	.amdhsa_kernel _ZN7rocprim17ROCPRIM_400000_NS6detail17trampoline_kernelINS0_14default_configENS1_29binary_search_config_selectorIjbEEZNS1_14transform_implILb0ES3_S5_N6thrust23THRUST_200600_302600_NS17counting_iteratorIjNS8_11use_defaultESA_SA_EEPbZNS1_13binary_searchIS3_S5_PjSB_SC_NS1_16binary_search_opENS8_6detail16wrapped_functionINS0_4lessIvEEbEEEE10hipError_tPvRmT1_T2_T3_mmT4_T5_P12ihipStream_tbEUlRKjE_EESL_SP_SQ_mSR_SU_bEUlT_E_NS1_11comp_targetILNS1_3genE8ELNS1_11target_archE1030ELNS1_3gpuE2ELNS1_3repE0EEENS1_30default_config_static_selectorELNS0_4arch9wavefront6targetE1EEEvSO_
		.amdhsa_group_segment_fixed_size 0
		.amdhsa_private_segment_fixed_size 0
		.amdhsa_kernarg_size 56
		.amdhsa_user_sgpr_count 6
		.amdhsa_user_sgpr_private_segment_buffer 1
		.amdhsa_user_sgpr_dispatch_ptr 0
		.amdhsa_user_sgpr_queue_ptr 0
		.amdhsa_user_sgpr_kernarg_segment_ptr 1
		.amdhsa_user_sgpr_dispatch_id 0
		.amdhsa_user_sgpr_flat_scratch_init 0
		.amdhsa_user_sgpr_kernarg_preload_length 0
		.amdhsa_user_sgpr_kernarg_preload_offset 0
		.amdhsa_user_sgpr_private_segment_size 0
		.amdhsa_uses_dynamic_stack 0
		.amdhsa_system_sgpr_private_segment_wavefront_offset 0
		.amdhsa_system_sgpr_workgroup_id_x 1
		.amdhsa_system_sgpr_workgroup_id_y 0
		.amdhsa_system_sgpr_workgroup_id_z 0
		.amdhsa_system_sgpr_workgroup_info 0
		.amdhsa_system_vgpr_workitem_id 0
		.amdhsa_next_free_vgpr 1
		.amdhsa_next_free_sgpr 0
		.amdhsa_accum_offset 4
		.amdhsa_reserve_vcc 0
		.amdhsa_reserve_flat_scratch 0
		.amdhsa_float_round_mode_32 0
		.amdhsa_float_round_mode_16_64 0
		.amdhsa_float_denorm_mode_32 3
		.amdhsa_float_denorm_mode_16_64 3
		.amdhsa_dx10_clamp 1
		.amdhsa_ieee_mode 1
		.amdhsa_fp16_overflow 0
		.amdhsa_tg_split 0
		.amdhsa_exception_fp_ieee_invalid_op 0
		.amdhsa_exception_fp_denorm_src 0
		.amdhsa_exception_fp_ieee_div_zero 0
		.amdhsa_exception_fp_ieee_overflow 0
		.amdhsa_exception_fp_ieee_underflow 0
		.amdhsa_exception_fp_ieee_inexact 0
		.amdhsa_exception_int_div_zero 0
	.end_amdhsa_kernel
	.section	.text._ZN7rocprim17ROCPRIM_400000_NS6detail17trampoline_kernelINS0_14default_configENS1_29binary_search_config_selectorIjbEEZNS1_14transform_implILb0ES3_S5_N6thrust23THRUST_200600_302600_NS17counting_iteratorIjNS8_11use_defaultESA_SA_EEPbZNS1_13binary_searchIS3_S5_PjSB_SC_NS1_16binary_search_opENS8_6detail16wrapped_functionINS0_4lessIvEEbEEEE10hipError_tPvRmT1_T2_T3_mmT4_T5_P12ihipStream_tbEUlRKjE_EESL_SP_SQ_mSR_SU_bEUlT_E_NS1_11comp_targetILNS1_3genE8ELNS1_11target_archE1030ELNS1_3gpuE2ELNS1_3repE0EEENS1_30default_config_static_selectorELNS0_4arch9wavefront6targetE1EEEvSO_,"axG",@progbits,_ZN7rocprim17ROCPRIM_400000_NS6detail17trampoline_kernelINS0_14default_configENS1_29binary_search_config_selectorIjbEEZNS1_14transform_implILb0ES3_S5_N6thrust23THRUST_200600_302600_NS17counting_iteratorIjNS8_11use_defaultESA_SA_EEPbZNS1_13binary_searchIS3_S5_PjSB_SC_NS1_16binary_search_opENS8_6detail16wrapped_functionINS0_4lessIvEEbEEEE10hipError_tPvRmT1_T2_T3_mmT4_T5_P12ihipStream_tbEUlRKjE_EESL_SP_SQ_mSR_SU_bEUlT_E_NS1_11comp_targetILNS1_3genE8ELNS1_11target_archE1030ELNS1_3gpuE2ELNS1_3repE0EEENS1_30default_config_static_selectorELNS0_4arch9wavefront6targetE1EEEvSO_,comdat
.Lfunc_end208:
	.size	_ZN7rocprim17ROCPRIM_400000_NS6detail17trampoline_kernelINS0_14default_configENS1_29binary_search_config_selectorIjbEEZNS1_14transform_implILb0ES3_S5_N6thrust23THRUST_200600_302600_NS17counting_iteratorIjNS8_11use_defaultESA_SA_EEPbZNS1_13binary_searchIS3_S5_PjSB_SC_NS1_16binary_search_opENS8_6detail16wrapped_functionINS0_4lessIvEEbEEEE10hipError_tPvRmT1_T2_T3_mmT4_T5_P12ihipStream_tbEUlRKjE_EESL_SP_SQ_mSR_SU_bEUlT_E_NS1_11comp_targetILNS1_3genE8ELNS1_11target_archE1030ELNS1_3gpuE2ELNS1_3repE0EEENS1_30default_config_static_selectorELNS0_4arch9wavefront6targetE1EEEvSO_, .Lfunc_end208-_ZN7rocprim17ROCPRIM_400000_NS6detail17trampoline_kernelINS0_14default_configENS1_29binary_search_config_selectorIjbEEZNS1_14transform_implILb0ES3_S5_N6thrust23THRUST_200600_302600_NS17counting_iteratorIjNS8_11use_defaultESA_SA_EEPbZNS1_13binary_searchIS3_S5_PjSB_SC_NS1_16binary_search_opENS8_6detail16wrapped_functionINS0_4lessIvEEbEEEE10hipError_tPvRmT1_T2_T3_mmT4_T5_P12ihipStream_tbEUlRKjE_EESL_SP_SQ_mSR_SU_bEUlT_E_NS1_11comp_targetILNS1_3genE8ELNS1_11target_archE1030ELNS1_3gpuE2ELNS1_3repE0EEENS1_30default_config_static_selectorELNS0_4arch9wavefront6targetE1EEEvSO_
                                        ; -- End function
	.section	.AMDGPU.csdata,"",@progbits
; Kernel info:
; codeLenInByte = 0
; NumSgprs: 4
; NumVgprs: 0
; NumAgprs: 0
; TotalNumVgprs: 0
; ScratchSize: 0
; MemoryBound: 0
; FloatMode: 240
; IeeeMode: 1
; LDSByteSize: 0 bytes/workgroup (compile time only)
; SGPRBlocks: 0
; VGPRBlocks: 0
; NumSGPRsForWavesPerEU: 4
; NumVGPRsForWavesPerEU: 1
; AccumOffset: 4
; Occupancy: 8
; WaveLimiterHint : 0
; COMPUTE_PGM_RSRC2:SCRATCH_EN: 0
; COMPUTE_PGM_RSRC2:USER_SGPR: 6
; COMPUTE_PGM_RSRC2:TRAP_HANDLER: 0
; COMPUTE_PGM_RSRC2:TGID_X_EN: 1
; COMPUTE_PGM_RSRC2:TGID_Y_EN: 0
; COMPUTE_PGM_RSRC2:TGID_Z_EN: 0
; COMPUTE_PGM_RSRC2:TIDIG_COMP_CNT: 0
; COMPUTE_PGM_RSRC3_GFX90A:ACCUM_OFFSET: 0
; COMPUTE_PGM_RSRC3_GFX90A:TG_SPLIT: 0
	.section	.text._Z20binary_search_kernelItEvmPT_Pb,"axG",@progbits,_Z20binary_search_kernelItEvmPT_Pb,comdat
	.protected	_Z20binary_search_kernelItEvmPT_Pb ; -- Begin function _Z20binary_search_kernelItEvmPT_Pb
	.globl	_Z20binary_search_kernelItEvmPT_Pb
	.p2align	8
	.type	_Z20binary_search_kernelItEvmPT_Pb,@function
_Z20binary_search_kernelItEvmPT_Pb:     ; @_Z20binary_search_kernelItEvmPT_Pb
; %bb.0:
	s_load_dwordx4 s[8:11], s[4:5], 0x0
	s_load_dwordx2 s[2:3], s[4:5], 0x10
	s_mov_b64 s[0:1], 0
	s_waitcnt lgkmcnt(0)
	s_cmp_eq_u64 s[8:9], 0
	s_cbranch_scc1 .LBB209_2
; %bb.1:
	v_mov_b32_e32 v0, 0
	global_load_ushort v0, v0, s[10:11]
	s_waitcnt vmcnt(0)
	v_cmp_eq_u16_e64 s[6:7], 0, v0
	s_branch .LBB209_3
.LBB209_2:
	s_mov_b64 s[6:7], 0
.LBB209_3:
	s_lshl_b64 s[4:5], s[8:9], 1
	s_ashr_i64 s[4:5], s[4:5], 1
	v_cmp_lt_i64_e64 s[12:13], s[4:5], 1
	v_mov_b32_e32 v0, 0
	v_cndmask_b32_e64 v1, 0, 1, s[6:7]
	s_and_b64 vcc, exec, s[12:13]
	global_store_byte v0, v1, s[2:3]
	s_cbranch_vccnz .LBB209_6
; %bb.4:
	s_mov_b64 s[6:7], s[4:5]
.LBB209_5:                              ; =>This Inner Loop Header: Depth=1
	s_sub_u32 s12, s6, s0
	s_subb_u32 s13, s7, s1
	s_lshr_b32 s14, s13, 31
	s_add_u32 s12, s12, s14
	s_addc_u32 s13, s13, 0
	s_ashr_i64 s[12:13], s[12:13], 1
	s_add_u32 s12, s12, s0
	s_addc_u32 s13, s13, s1
	s_lshl_b64 s[14:15], s[12:13], 1
	s_add_u32 s14, s10, s14
	s_addc_u32 s15, s11, s15
	global_load_ushort v1, v0, s[14:15]
	s_add_u32 s16, s12, 1
	s_addc_u32 s17, s13, 0
	s_waitcnt vmcnt(0)
	v_cmp_eq_u16_e32 vcc, 0, v1
	s_and_b64 s[14:15], vcc, exec
	s_cselect_b32 s7, s7, s13
	s_cselect_b32 s6, s6, s12
	;; [unrolled: 1-line block ×4, first 2 shown]
	v_pk_mov_b32 v[2:3], s[6:7], s[6:7] op_sel:[0,1]
	v_cmp_lt_i64_e32 vcc, s[0:1], v[2:3]
	s_cbranch_vccnz .LBB209_5
.LBB209_6:
	v_cmp_gt_i64_e64 s[12:13], s[4:5], 0
	s_mov_b64 s[6:7], 0
	s_cmp_eq_u64 s[0:1], s[8:9]
	s_mov_b64 s[14:15], 0
	s_cbranch_scc1 .LBB209_8
; %bb.7:
	s_lshl_b64 s[0:1], s[0:1], 1
	s_add_u32 s0, s10, s0
	s_addc_u32 s1, s11, s1
	v_mov_b32_e32 v0, 0
	global_load_ushort v0, v0, s[0:1]
	s_waitcnt vmcnt(0)
	v_cmp_gt_u16_e64 s[14:15], 2, v0
.LBB209_8:
	v_cndmask_b32_e64 v2, 0, 1, s[12:13]
	v_cndmask_b32_e64 v1, 0, 1, s[14:15]
	v_mov_b32_e32 v0, 0
	v_cmp_ne_u32_e64 s[0:1], 1, v2
	s_andn2_b64 vcc, exec, s[12:13]
	global_store_byte v0, v1, s[2:3] offset:1
	s_cbranch_vccnz .LBB209_11
; %bb.9:
	s_mov_b64 s[12:13], s[4:5]
.LBB209_10:                             ; =>This Inner Loop Header: Depth=1
	s_sub_u32 s14, s12, s6
	s_subb_u32 s15, s13, s7
	s_lshr_b32 s16, s15, 31
	s_add_u32 s14, s14, s16
	s_addc_u32 s15, s15, 0
	s_ashr_i64 s[14:15], s[14:15], 1
	s_add_u32 s14, s14, s6
	s_addc_u32 s15, s15, s7
	s_lshl_b64 s[16:17], s[14:15], 1
	s_add_u32 s16, s10, s16
	s_addc_u32 s17, s11, s17
	global_load_ushort v1, v0, s[16:17]
	s_add_u32 s18, s14, 1
	s_addc_u32 s19, s15, 0
	s_waitcnt vmcnt(0)
	v_cmp_gt_u16_e32 vcc, 2, v1
	s_and_b64 s[16:17], vcc, exec
	s_cselect_b32 s13, s13, s15
	s_cselect_b32 s12, s12, s14
	s_cselect_b32 s7, s19, s7
	s_cselect_b32 s6, s18, s6
	v_pk_mov_b32 v[2:3], s[12:13], s[12:13] op_sel:[0,1]
	v_cmp_lt_i64_e32 vcc, s[6:7], v[2:3]
	s_cbranch_vccnz .LBB209_10
.LBB209_11:
	s_mov_b64 s[12:13], 0
	s_cmp_eq_u64 s[6:7], s[8:9]
	s_mov_b64 s[14:15], 0
	s_cbranch_scc1 .LBB209_13
; %bb.12:
	s_lshl_b64 s[6:7], s[6:7], 1
	s_add_u32 s6, s10, s6
	s_addc_u32 s7, s11, s7
	v_mov_b32_e32 v0, 0
	global_load_ushort v0, v0, s[6:7]
	s_waitcnt vmcnt(0)
	v_cmp_gt_u16_e64 s[14:15], 3, v0
.LBB209_13:
	v_cndmask_b32_e64 v1, 0, 1, s[14:15]
	v_mov_b32_e32 v0, 0
	s_and_b64 vcc, exec, s[0:1]
	global_store_byte v0, v1, s[2:3] offset:2
	s_cbranch_vccnz .LBB209_16
; %bb.14:
	s_mov_b64 s[6:7], s[4:5]
.LBB209_15:                             ; =>This Inner Loop Header: Depth=1
	s_sub_u32 s14, s6, s12
	s_subb_u32 s15, s7, s13
	s_lshr_b32 s16, s15, 31
	s_add_u32 s14, s14, s16
	s_addc_u32 s15, s15, 0
	s_ashr_i64 s[14:15], s[14:15], 1
	s_add_u32 s14, s14, s12
	s_addc_u32 s15, s15, s13
	s_lshl_b64 s[16:17], s[14:15], 1
	s_add_u32 s16, s10, s16
	s_addc_u32 s17, s11, s17
	global_load_ushort v1, v0, s[16:17]
	s_add_u32 s18, s14, 1
	s_addc_u32 s19, s15, 0
	s_waitcnt vmcnt(0)
	v_cmp_gt_u16_e32 vcc, 3, v1
	s_and_b64 s[16:17], vcc, exec
	s_cselect_b32 s7, s7, s15
	s_cselect_b32 s6, s6, s14
	s_cselect_b32 s13, s19, s13
	s_cselect_b32 s12, s18, s12
	v_pk_mov_b32 v[2:3], s[6:7], s[6:7] op_sel:[0,1]
	v_cmp_lt_i64_e32 vcc, s[12:13], v[2:3]
	s_cbranch_vccnz .LBB209_15
.LBB209_16:
	s_mov_b64 s[6:7], 0
	s_cmp_eq_u64 s[12:13], s[8:9]
	s_mov_b64 s[14:15], 0
	s_cbranch_scc1 .LBB209_18
; %bb.17:
	s_lshl_b64 s[12:13], s[12:13], 1
	s_add_u32 s12, s10, s12
	s_addc_u32 s13, s11, s13
	v_mov_b32_e32 v0, 0
	global_load_ushort v0, v0, s[12:13]
	s_waitcnt vmcnt(0)
	v_cmp_gt_u16_e64 s[14:15], 4, v0
.LBB209_18:
	v_cndmask_b32_e64 v1, 0, 1, s[14:15]
	v_mov_b32_e32 v0, 0
	s_and_b64 vcc, exec, s[0:1]
	;; [unrolled: 46-line block ×7, first 2 shown]
	global_store_byte v0, v1, s[2:3] offset:8
	s_cbranch_vccnz .LBB209_45
.LBB209_44:                             ; =>This Inner Loop Header: Depth=1
	s_sub_u32 s0, s4, s6
	s_subb_u32 s1, s5, s7
	s_lshr_b32 s12, s1, 31
	s_add_u32 s0, s0, s12
	s_addc_u32 s1, s1, 0
	s_ashr_i64 s[0:1], s[0:1], 1
	s_add_u32 s0, s0, s6
	s_addc_u32 s1, s1, s7
	s_lshl_b64 s[12:13], s[0:1], 1
	s_add_u32 s12, s10, s12
	s_addc_u32 s13, s11, s13
	global_load_ushort v1, v0, s[12:13]
	s_add_u32 s14, s0, 1
	s_addc_u32 s15, s1, 0
	s_waitcnt vmcnt(0)
	v_cmp_gt_u16_e32 vcc, 9, v1
	s_and_b64 s[12:13], vcc, exec
	s_cselect_b32 s5, s5, s1
	s_cselect_b32 s4, s4, s0
	;; [unrolled: 1-line block ×4, first 2 shown]
	v_pk_mov_b32 v[2:3], s[4:5], s[4:5] op_sel:[0,1]
	v_cmp_lt_i64_e32 vcc, s[6:7], v[2:3]
	s_cbranch_vccnz .LBB209_44
.LBB209_45:
	s_cmp_eq_u64 s[6:7], s[8:9]
	s_mov_b64 s[0:1], 0
	s_cbranch_scc1 .LBB209_47
; %bb.46:
	s_lshl_b64 s[0:1], s[6:7], 1
	s_add_u32 s0, s10, s0
	s_addc_u32 s1, s11, s1
	v_mov_b32_e32 v0, 0
	global_load_ushort v0, v0, s[0:1]
	s_waitcnt vmcnt(0)
	v_cmp_gt_u16_e64 s[0:1], 10, v0
.LBB209_47:
	v_mov_b32_e32 v0, 0
	v_cndmask_b32_e64 v1, 0, 1, s[0:1]
	global_store_byte v0, v1, s[2:3] offset:9
	s_endpgm
	.section	.rodata,"a",@progbits
	.p2align	6, 0x0
	.amdhsa_kernel _Z20binary_search_kernelItEvmPT_Pb
		.amdhsa_group_segment_fixed_size 0
		.amdhsa_private_segment_fixed_size 0
		.amdhsa_kernarg_size 24
		.amdhsa_user_sgpr_count 6
		.amdhsa_user_sgpr_private_segment_buffer 1
		.amdhsa_user_sgpr_dispatch_ptr 0
		.amdhsa_user_sgpr_queue_ptr 0
		.amdhsa_user_sgpr_kernarg_segment_ptr 1
		.amdhsa_user_sgpr_dispatch_id 0
		.amdhsa_user_sgpr_flat_scratch_init 0
		.amdhsa_user_sgpr_kernarg_preload_length 0
		.amdhsa_user_sgpr_kernarg_preload_offset 0
		.amdhsa_user_sgpr_private_segment_size 0
		.amdhsa_uses_dynamic_stack 0
		.amdhsa_system_sgpr_private_segment_wavefront_offset 0
		.amdhsa_system_sgpr_workgroup_id_x 1
		.amdhsa_system_sgpr_workgroup_id_y 0
		.amdhsa_system_sgpr_workgroup_id_z 0
		.amdhsa_system_sgpr_workgroup_info 0
		.amdhsa_system_vgpr_workitem_id 0
		.amdhsa_next_free_vgpr 4
		.amdhsa_next_free_sgpr 20
		.amdhsa_accum_offset 4
		.amdhsa_reserve_vcc 1
		.amdhsa_reserve_flat_scratch 0
		.amdhsa_float_round_mode_32 0
		.amdhsa_float_round_mode_16_64 0
		.amdhsa_float_denorm_mode_32 3
		.amdhsa_float_denorm_mode_16_64 3
		.amdhsa_dx10_clamp 1
		.amdhsa_ieee_mode 1
		.amdhsa_fp16_overflow 0
		.amdhsa_tg_split 0
		.amdhsa_exception_fp_ieee_invalid_op 0
		.amdhsa_exception_fp_denorm_src 0
		.amdhsa_exception_fp_ieee_div_zero 0
		.amdhsa_exception_fp_ieee_overflow 0
		.amdhsa_exception_fp_ieee_underflow 0
		.amdhsa_exception_fp_ieee_inexact 0
		.amdhsa_exception_int_div_zero 0
	.end_amdhsa_kernel
	.section	.text._Z20binary_search_kernelItEvmPT_Pb,"axG",@progbits,_Z20binary_search_kernelItEvmPT_Pb,comdat
.Lfunc_end209:
	.size	_Z20binary_search_kernelItEvmPT_Pb, .Lfunc_end209-_Z20binary_search_kernelItEvmPT_Pb
                                        ; -- End function
	.section	.AMDGPU.csdata,"",@progbits
; Kernel info:
; codeLenInByte = 1812
; NumSgprs: 24
; NumVgprs: 4
; NumAgprs: 0
; TotalNumVgprs: 4
; ScratchSize: 0
; MemoryBound: 0
; FloatMode: 240
; IeeeMode: 1
; LDSByteSize: 0 bytes/workgroup (compile time only)
; SGPRBlocks: 2
; VGPRBlocks: 0
; NumSGPRsForWavesPerEU: 24
; NumVGPRsForWavesPerEU: 4
; AccumOffset: 4
; Occupancy: 8
; WaveLimiterHint : 0
; COMPUTE_PGM_RSRC2:SCRATCH_EN: 0
; COMPUTE_PGM_RSRC2:USER_SGPR: 6
; COMPUTE_PGM_RSRC2:TRAP_HANDLER: 0
; COMPUTE_PGM_RSRC2:TGID_X_EN: 1
; COMPUTE_PGM_RSRC2:TGID_Y_EN: 0
; COMPUTE_PGM_RSRC2:TGID_Z_EN: 0
; COMPUTE_PGM_RSRC2:TIDIG_COMP_CNT: 0
; COMPUTE_PGM_RSRC3_GFX90A:ACCUM_OFFSET: 0
; COMPUTE_PGM_RSRC3_GFX90A:TG_SPLIT: 0
	.section	.text._ZN7rocprim17ROCPRIM_400000_NS6detail17trampoline_kernelINS0_14default_configENS1_29binary_search_config_selectorItbEEZNS1_14transform_implILb0ES3_S5_N6thrust23THRUST_200600_302600_NS17counting_iteratorItNS8_11use_defaultESA_SA_EEPbZNS1_13binary_searchIS3_S5_PtSB_SC_NS1_16binary_search_opENS8_6detail16wrapped_functionINS0_4lessIvEEbEEEE10hipError_tPvRmT1_T2_T3_mmT4_T5_P12ihipStream_tbEUlRKtE_EESL_SP_SQ_mSR_SU_bEUlT_E_NS1_11comp_targetILNS1_3genE0ELNS1_11target_archE4294967295ELNS1_3gpuE0ELNS1_3repE0EEENS1_30default_config_static_selectorELNS0_4arch9wavefront6targetE1EEEvSO_,"axG",@progbits,_ZN7rocprim17ROCPRIM_400000_NS6detail17trampoline_kernelINS0_14default_configENS1_29binary_search_config_selectorItbEEZNS1_14transform_implILb0ES3_S5_N6thrust23THRUST_200600_302600_NS17counting_iteratorItNS8_11use_defaultESA_SA_EEPbZNS1_13binary_searchIS3_S5_PtSB_SC_NS1_16binary_search_opENS8_6detail16wrapped_functionINS0_4lessIvEEbEEEE10hipError_tPvRmT1_T2_T3_mmT4_T5_P12ihipStream_tbEUlRKtE_EESL_SP_SQ_mSR_SU_bEUlT_E_NS1_11comp_targetILNS1_3genE0ELNS1_11target_archE4294967295ELNS1_3gpuE0ELNS1_3repE0EEENS1_30default_config_static_selectorELNS0_4arch9wavefront6targetE1EEEvSO_,comdat
	.protected	_ZN7rocprim17ROCPRIM_400000_NS6detail17trampoline_kernelINS0_14default_configENS1_29binary_search_config_selectorItbEEZNS1_14transform_implILb0ES3_S5_N6thrust23THRUST_200600_302600_NS17counting_iteratorItNS8_11use_defaultESA_SA_EEPbZNS1_13binary_searchIS3_S5_PtSB_SC_NS1_16binary_search_opENS8_6detail16wrapped_functionINS0_4lessIvEEbEEEE10hipError_tPvRmT1_T2_T3_mmT4_T5_P12ihipStream_tbEUlRKtE_EESL_SP_SQ_mSR_SU_bEUlT_E_NS1_11comp_targetILNS1_3genE0ELNS1_11target_archE4294967295ELNS1_3gpuE0ELNS1_3repE0EEENS1_30default_config_static_selectorELNS0_4arch9wavefront6targetE1EEEvSO_ ; -- Begin function _ZN7rocprim17ROCPRIM_400000_NS6detail17trampoline_kernelINS0_14default_configENS1_29binary_search_config_selectorItbEEZNS1_14transform_implILb0ES3_S5_N6thrust23THRUST_200600_302600_NS17counting_iteratorItNS8_11use_defaultESA_SA_EEPbZNS1_13binary_searchIS3_S5_PtSB_SC_NS1_16binary_search_opENS8_6detail16wrapped_functionINS0_4lessIvEEbEEEE10hipError_tPvRmT1_T2_T3_mmT4_T5_P12ihipStream_tbEUlRKtE_EESL_SP_SQ_mSR_SU_bEUlT_E_NS1_11comp_targetILNS1_3genE0ELNS1_11target_archE4294967295ELNS1_3gpuE0ELNS1_3repE0EEENS1_30default_config_static_selectorELNS0_4arch9wavefront6targetE1EEEvSO_
	.globl	_ZN7rocprim17ROCPRIM_400000_NS6detail17trampoline_kernelINS0_14default_configENS1_29binary_search_config_selectorItbEEZNS1_14transform_implILb0ES3_S5_N6thrust23THRUST_200600_302600_NS17counting_iteratorItNS8_11use_defaultESA_SA_EEPbZNS1_13binary_searchIS3_S5_PtSB_SC_NS1_16binary_search_opENS8_6detail16wrapped_functionINS0_4lessIvEEbEEEE10hipError_tPvRmT1_T2_T3_mmT4_T5_P12ihipStream_tbEUlRKtE_EESL_SP_SQ_mSR_SU_bEUlT_E_NS1_11comp_targetILNS1_3genE0ELNS1_11target_archE4294967295ELNS1_3gpuE0ELNS1_3repE0EEENS1_30default_config_static_selectorELNS0_4arch9wavefront6targetE1EEEvSO_
	.p2align	8
	.type	_ZN7rocprim17ROCPRIM_400000_NS6detail17trampoline_kernelINS0_14default_configENS1_29binary_search_config_selectorItbEEZNS1_14transform_implILb0ES3_S5_N6thrust23THRUST_200600_302600_NS17counting_iteratorItNS8_11use_defaultESA_SA_EEPbZNS1_13binary_searchIS3_S5_PtSB_SC_NS1_16binary_search_opENS8_6detail16wrapped_functionINS0_4lessIvEEbEEEE10hipError_tPvRmT1_T2_T3_mmT4_T5_P12ihipStream_tbEUlRKtE_EESL_SP_SQ_mSR_SU_bEUlT_E_NS1_11comp_targetILNS1_3genE0ELNS1_11target_archE4294967295ELNS1_3gpuE0ELNS1_3repE0EEENS1_30default_config_static_selectorELNS0_4arch9wavefront6targetE1EEEvSO_,@function
_ZN7rocprim17ROCPRIM_400000_NS6detail17trampoline_kernelINS0_14default_configENS1_29binary_search_config_selectorItbEEZNS1_14transform_implILb0ES3_S5_N6thrust23THRUST_200600_302600_NS17counting_iteratorItNS8_11use_defaultESA_SA_EEPbZNS1_13binary_searchIS3_S5_PtSB_SC_NS1_16binary_search_opENS8_6detail16wrapped_functionINS0_4lessIvEEbEEEE10hipError_tPvRmT1_T2_T3_mmT4_T5_P12ihipStream_tbEUlRKtE_EESL_SP_SQ_mSR_SU_bEUlT_E_NS1_11comp_targetILNS1_3genE0ELNS1_11target_archE4294967295ELNS1_3gpuE0ELNS1_3repE0EEENS1_30default_config_static_selectorELNS0_4arch9wavefront6targetE1EEEvSO_: ; @_ZN7rocprim17ROCPRIM_400000_NS6detail17trampoline_kernelINS0_14default_configENS1_29binary_search_config_selectorItbEEZNS1_14transform_implILb0ES3_S5_N6thrust23THRUST_200600_302600_NS17counting_iteratorItNS8_11use_defaultESA_SA_EEPbZNS1_13binary_searchIS3_S5_PtSB_SC_NS1_16binary_search_opENS8_6detail16wrapped_functionINS0_4lessIvEEbEEEE10hipError_tPvRmT1_T2_T3_mmT4_T5_P12ihipStream_tbEUlRKtE_EESL_SP_SQ_mSR_SU_bEUlT_E_NS1_11comp_targetILNS1_3genE0ELNS1_11target_archE4294967295ELNS1_3gpuE0ELNS1_3repE0EEENS1_30default_config_static_selectorELNS0_4arch9wavefront6targetE1EEEvSO_
; %bb.0:
	.section	.rodata,"a",@progbits
	.p2align	6, 0x0
	.amdhsa_kernel _ZN7rocprim17ROCPRIM_400000_NS6detail17trampoline_kernelINS0_14default_configENS1_29binary_search_config_selectorItbEEZNS1_14transform_implILb0ES3_S5_N6thrust23THRUST_200600_302600_NS17counting_iteratorItNS8_11use_defaultESA_SA_EEPbZNS1_13binary_searchIS3_S5_PtSB_SC_NS1_16binary_search_opENS8_6detail16wrapped_functionINS0_4lessIvEEbEEEE10hipError_tPvRmT1_T2_T3_mmT4_T5_P12ihipStream_tbEUlRKtE_EESL_SP_SQ_mSR_SU_bEUlT_E_NS1_11comp_targetILNS1_3genE0ELNS1_11target_archE4294967295ELNS1_3gpuE0ELNS1_3repE0EEENS1_30default_config_static_selectorELNS0_4arch9wavefront6targetE1EEEvSO_
		.amdhsa_group_segment_fixed_size 0
		.amdhsa_private_segment_fixed_size 0
		.amdhsa_kernarg_size 56
		.amdhsa_user_sgpr_count 6
		.amdhsa_user_sgpr_private_segment_buffer 1
		.amdhsa_user_sgpr_dispatch_ptr 0
		.amdhsa_user_sgpr_queue_ptr 0
		.amdhsa_user_sgpr_kernarg_segment_ptr 1
		.amdhsa_user_sgpr_dispatch_id 0
		.amdhsa_user_sgpr_flat_scratch_init 0
		.amdhsa_user_sgpr_kernarg_preload_length 0
		.amdhsa_user_sgpr_kernarg_preload_offset 0
		.amdhsa_user_sgpr_private_segment_size 0
		.amdhsa_uses_dynamic_stack 0
		.amdhsa_system_sgpr_private_segment_wavefront_offset 0
		.amdhsa_system_sgpr_workgroup_id_x 1
		.amdhsa_system_sgpr_workgroup_id_y 0
		.amdhsa_system_sgpr_workgroup_id_z 0
		.amdhsa_system_sgpr_workgroup_info 0
		.amdhsa_system_vgpr_workitem_id 0
		.amdhsa_next_free_vgpr 1
		.amdhsa_next_free_sgpr 0
		.amdhsa_accum_offset 4
		.amdhsa_reserve_vcc 0
		.amdhsa_reserve_flat_scratch 0
		.amdhsa_float_round_mode_32 0
		.amdhsa_float_round_mode_16_64 0
		.amdhsa_float_denorm_mode_32 3
		.amdhsa_float_denorm_mode_16_64 3
		.amdhsa_dx10_clamp 1
		.amdhsa_ieee_mode 1
		.amdhsa_fp16_overflow 0
		.amdhsa_tg_split 0
		.amdhsa_exception_fp_ieee_invalid_op 0
		.amdhsa_exception_fp_denorm_src 0
		.amdhsa_exception_fp_ieee_div_zero 0
		.amdhsa_exception_fp_ieee_overflow 0
		.amdhsa_exception_fp_ieee_underflow 0
		.amdhsa_exception_fp_ieee_inexact 0
		.amdhsa_exception_int_div_zero 0
	.end_amdhsa_kernel
	.section	.text._ZN7rocprim17ROCPRIM_400000_NS6detail17trampoline_kernelINS0_14default_configENS1_29binary_search_config_selectorItbEEZNS1_14transform_implILb0ES3_S5_N6thrust23THRUST_200600_302600_NS17counting_iteratorItNS8_11use_defaultESA_SA_EEPbZNS1_13binary_searchIS3_S5_PtSB_SC_NS1_16binary_search_opENS8_6detail16wrapped_functionINS0_4lessIvEEbEEEE10hipError_tPvRmT1_T2_T3_mmT4_T5_P12ihipStream_tbEUlRKtE_EESL_SP_SQ_mSR_SU_bEUlT_E_NS1_11comp_targetILNS1_3genE0ELNS1_11target_archE4294967295ELNS1_3gpuE0ELNS1_3repE0EEENS1_30default_config_static_selectorELNS0_4arch9wavefront6targetE1EEEvSO_,"axG",@progbits,_ZN7rocprim17ROCPRIM_400000_NS6detail17trampoline_kernelINS0_14default_configENS1_29binary_search_config_selectorItbEEZNS1_14transform_implILb0ES3_S5_N6thrust23THRUST_200600_302600_NS17counting_iteratorItNS8_11use_defaultESA_SA_EEPbZNS1_13binary_searchIS3_S5_PtSB_SC_NS1_16binary_search_opENS8_6detail16wrapped_functionINS0_4lessIvEEbEEEE10hipError_tPvRmT1_T2_T3_mmT4_T5_P12ihipStream_tbEUlRKtE_EESL_SP_SQ_mSR_SU_bEUlT_E_NS1_11comp_targetILNS1_3genE0ELNS1_11target_archE4294967295ELNS1_3gpuE0ELNS1_3repE0EEENS1_30default_config_static_selectorELNS0_4arch9wavefront6targetE1EEEvSO_,comdat
.Lfunc_end210:
	.size	_ZN7rocprim17ROCPRIM_400000_NS6detail17trampoline_kernelINS0_14default_configENS1_29binary_search_config_selectorItbEEZNS1_14transform_implILb0ES3_S5_N6thrust23THRUST_200600_302600_NS17counting_iteratorItNS8_11use_defaultESA_SA_EEPbZNS1_13binary_searchIS3_S5_PtSB_SC_NS1_16binary_search_opENS8_6detail16wrapped_functionINS0_4lessIvEEbEEEE10hipError_tPvRmT1_T2_T3_mmT4_T5_P12ihipStream_tbEUlRKtE_EESL_SP_SQ_mSR_SU_bEUlT_E_NS1_11comp_targetILNS1_3genE0ELNS1_11target_archE4294967295ELNS1_3gpuE0ELNS1_3repE0EEENS1_30default_config_static_selectorELNS0_4arch9wavefront6targetE1EEEvSO_, .Lfunc_end210-_ZN7rocprim17ROCPRIM_400000_NS6detail17trampoline_kernelINS0_14default_configENS1_29binary_search_config_selectorItbEEZNS1_14transform_implILb0ES3_S5_N6thrust23THRUST_200600_302600_NS17counting_iteratorItNS8_11use_defaultESA_SA_EEPbZNS1_13binary_searchIS3_S5_PtSB_SC_NS1_16binary_search_opENS8_6detail16wrapped_functionINS0_4lessIvEEbEEEE10hipError_tPvRmT1_T2_T3_mmT4_T5_P12ihipStream_tbEUlRKtE_EESL_SP_SQ_mSR_SU_bEUlT_E_NS1_11comp_targetILNS1_3genE0ELNS1_11target_archE4294967295ELNS1_3gpuE0ELNS1_3repE0EEENS1_30default_config_static_selectorELNS0_4arch9wavefront6targetE1EEEvSO_
                                        ; -- End function
	.section	.AMDGPU.csdata,"",@progbits
; Kernel info:
; codeLenInByte = 0
; NumSgprs: 4
; NumVgprs: 0
; NumAgprs: 0
; TotalNumVgprs: 0
; ScratchSize: 0
; MemoryBound: 0
; FloatMode: 240
; IeeeMode: 1
; LDSByteSize: 0 bytes/workgroup (compile time only)
; SGPRBlocks: 0
; VGPRBlocks: 0
; NumSGPRsForWavesPerEU: 4
; NumVGPRsForWavesPerEU: 1
; AccumOffset: 4
; Occupancy: 8
; WaveLimiterHint : 0
; COMPUTE_PGM_RSRC2:SCRATCH_EN: 0
; COMPUTE_PGM_RSRC2:USER_SGPR: 6
; COMPUTE_PGM_RSRC2:TRAP_HANDLER: 0
; COMPUTE_PGM_RSRC2:TGID_X_EN: 1
; COMPUTE_PGM_RSRC2:TGID_Y_EN: 0
; COMPUTE_PGM_RSRC2:TGID_Z_EN: 0
; COMPUTE_PGM_RSRC2:TIDIG_COMP_CNT: 0
; COMPUTE_PGM_RSRC3_GFX90A:ACCUM_OFFSET: 0
; COMPUTE_PGM_RSRC3_GFX90A:TG_SPLIT: 0
	.section	.text._ZN7rocprim17ROCPRIM_400000_NS6detail17trampoline_kernelINS0_14default_configENS1_29binary_search_config_selectorItbEEZNS1_14transform_implILb0ES3_S5_N6thrust23THRUST_200600_302600_NS17counting_iteratorItNS8_11use_defaultESA_SA_EEPbZNS1_13binary_searchIS3_S5_PtSB_SC_NS1_16binary_search_opENS8_6detail16wrapped_functionINS0_4lessIvEEbEEEE10hipError_tPvRmT1_T2_T3_mmT4_T5_P12ihipStream_tbEUlRKtE_EESL_SP_SQ_mSR_SU_bEUlT_E_NS1_11comp_targetILNS1_3genE5ELNS1_11target_archE942ELNS1_3gpuE9ELNS1_3repE0EEENS1_30default_config_static_selectorELNS0_4arch9wavefront6targetE1EEEvSO_,"axG",@progbits,_ZN7rocprim17ROCPRIM_400000_NS6detail17trampoline_kernelINS0_14default_configENS1_29binary_search_config_selectorItbEEZNS1_14transform_implILb0ES3_S5_N6thrust23THRUST_200600_302600_NS17counting_iteratorItNS8_11use_defaultESA_SA_EEPbZNS1_13binary_searchIS3_S5_PtSB_SC_NS1_16binary_search_opENS8_6detail16wrapped_functionINS0_4lessIvEEbEEEE10hipError_tPvRmT1_T2_T3_mmT4_T5_P12ihipStream_tbEUlRKtE_EESL_SP_SQ_mSR_SU_bEUlT_E_NS1_11comp_targetILNS1_3genE5ELNS1_11target_archE942ELNS1_3gpuE9ELNS1_3repE0EEENS1_30default_config_static_selectorELNS0_4arch9wavefront6targetE1EEEvSO_,comdat
	.protected	_ZN7rocprim17ROCPRIM_400000_NS6detail17trampoline_kernelINS0_14default_configENS1_29binary_search_config_selectorItbEEZNS1_14transform_implILb0ES3_S5_N6thrust23THRUST_200600_302600_NS17counting_iteratorItNS8_11use_defaultESA_SA_EEPbZNS1_13binary_searchIS3_S5_PtSB_SC_NS1_16binary_search_opENS8_6detail16wrapped_functionINS0_4lessIvEEbEEEE10hipError_tPvRmT1_T2_T3_mmT4_T5_P12ihipStream_tbEUlRKtE_EESL_SP_SQ_mSR_SU_bEUlT_E_NS1_11comp_targetILNS1_3genE5ELNS1_11target_archE942ELNS1_3gpuE9ELNS1_3repE0EEENS1_30default_config_static_selectorELNS0_4arch9wavefront6targetE1EEEvSO_ ; -- Begin function _ZN7rocprim17ROCPRIM_400000_NS6detail17trampoline_kernelINS0_14default_configENS1_29binary_search_config_selectorItbEEZNS1_14transform_implILb0ES3_S5_N6thrust23THRUST_200600_302600_NS17counting_iteratorItNS8_11use_defaultESA_SA_EEPbZNS1_13binary_searchIS3_S5_PtSB_SC_NS1_16binary_search_opENS8_6detail16wrapped_functionINS0_4lessIvEEbEEEE10hipError_tPvRmT1_T2_T3_mmT4_T5_P12ihipStream_tbEUlRKtE_EESL_SP_SQ_mSR_SU_bEUlT_E_NS1_11comp_targetILNS1_3genE5ELNS1_11target_archE942ELNS1_3gpuE9ELNS1_3repE0EEENS1_30default_config_static_selectorELNS0_4arch9wavefront6targetE1EEEvSO_
	.globl	_ZN7rocprim17ROCPRIM_400000_NS6detail17trampoline_kernelINS0_14default_configENS1_29binary_search_config_selectorItbEEZNS1_14transform_implILb0ES3_S5_N6thrust23THRUST_200600_302600_NS17counting_iteratorItNS8_11use_defaultESA_SA_EEPbZNS1_13binary_searchIS3_S5_PtSB_SC_NS1_16binary_search_opENS8_6detail16wrapped_functionINS0_4lessIvEEbEEEE10hipError_tPvRmT1_T2_T3_mmT4_T5_P12ihipStream_tbEUlRKtE_EESL_SP_SQ_mSR_SU_bEUlT_E_NS1_11comp_targetILNS1_3genE5ELNS1_11target_archE942ELNS1_3gpuE9ELNS1_3repE0EEENS1_30default_config_static_selectorELNS0_4arch9wavefront6targetE1EEEvSO_
	.p2align	8
	.type	_ZN7rocprim17ROCPRIM_400000_NS6detail17trampoline_kernelINS0_14default_configENS1_29binary_search_config_selectorItbEEZNS1_14transform_implILb0ES3_S5_N6thrust23THRUST_200600_302600_NS17counting_iteratorItNS8_11use_defaultESA_SA_EEPbZNS1_13binary_searchIS3_S5_PtSB_SC_NS1_16binary_search_opENS8_6detail16wrapped_functionINS0_4lessIvEEbEEEE10hipError_tPvRmT1_T2_T3_mmT4_T5_P12ihipStream_tbEUlRKtE_EESL_SP_SQ_mSR_SU_bEUlT_E_NS1_11comp_targetILNS1_3genE5ELNS1_11target_archE942ELNS1_3gpuE9ELNS1_3repE0EEENS1_30default_config_static_selectorELNS0_4arch9wavefront6targetE1EEEvSO_,@function
_ZN7rocprim17ROCPRIM_400000_NS6detail17trampoline_kernelINS0_14default_configENS1_29binary_search_config_selectorItbEEZNS1_14transform_implILb0ES3_S5_N6thrust23THRUST_200600_302600_NS17counting_iteratorItNS8_11use_defaultESA_SA_EEPbZNS1_13binary_searchIS3_S5_PtSB_SC_NS1_16binary_search_opENS8_6detail16wrapped_functionINS0_4lessIvEEbEEEE10hipError_tPvRmT1_T2_T3_mmT4_T5_P12ihipStream_tbEUlRKtE_EESL_SP_SQ_mSR_SU_bEUlT_E_NS1_11comp_targetILNS1_3genE5ELNS1_11target_archE942ELNS1_3gpuE9ELNS1_3repE0EEENS1_30default_config_static_selectorELNS0_4arch9wavefront6targetE1EEEvSO_: ; @_ZN7rocprim17ROCPRIM_400000_NS6detail17trampoline_kernelINS0_14default_configENS1_29binary_search_config_selectorItbEEZNS1_14transform_implILb0ES3_S5_N6thrust23THRUST_200600_302600_NS17counting_iteratorItNS8_11use_defaultESA_SA_EEPbZNS1_13binary_searchIS3_S5_PtSB_SC_NS1_16binary_search_opENS8_6detail16wrapped_functionINS0_4lessIvEEbEEEE10hipError_tPvRmT1_T2_T3_mmT4_T5_P12ihipStream_tbEUlRKtE_EESL_SP_SQ_mSR_SU_bEUlT_E_NS1_11comp_targetILNS1_3genE5ELNS1_11target_archE942ELNS1_3gpuE9ELNS1_3repE0EEENS1_30default_config_static_selectorELNS0_4arch9wavefront6targetE1EEEvSO_
; %bb.0:
	.section	.rodata,"a",@progbits
	.p2align	6, 0x0
	.amdhsa_kernel _ZN7rocprim17ROCPRIM_400000_NS6detail17trampoline_kernelINS0_14default_configENS1_29binary_search_config_selectorItbEEZNS1_14transform_implILb0ES3_S5_N6thrust23THRUST_200600_302600_NS17counting_iteratorItNS8_11use_defaultESA_SA_EEPbZNS1_13binary_searchIS3_S5_PtSB_SC_NS1_16binary_search_opENS8_6detail16wrapped_functionINS0_4lessIvEEbEEEE10hipError_tPvRmT1_T2_T3_mmT4_T5_P12ihipStream_tbEUlRKtE_EESL_SP_SQ_mSR_SU_bEUlT_E_NS1_11comp_targetILNS1_3genE5ELNS1_11target_archE942ELNS1_3gpuE9ELNS1_3repE0EEENS1_30default_config_static_selectorELNS0_4arch9wavefront6targetE1EEEvSO_
		.amdhsa_group_segment_fixed_size 0
		.amdhsa_private_segment_fixed_size 0
		.amdhsa_kernarg_size 56
		.amdhsa_user_sgpr_count 6
		.amdhsa_user_sgpr_private_segment_buffer 1
		.amdhsa_user_sgpr_dispatch_ptr 0
		.amdhsa_user_sgpr_queue_ptr 0
		.amdhsa_user_sgpr_kernarg_segment_ptr 1
		.amdhsa_user_sgpr_dispatch_id 0
		.amdhsa_user_sgpr_flat_scratch_init 0
		.amdhsa_user_sgpr_kernarg_preload_length 0
		.amdhsa_user_sgpr_kernarg_preload_offset 0
		.amdhsa_user_sgpr_private_segment_size 0
		.amdhsa_uses_dynamic_stack 0
		.amdhsa_system_sgpr_private_segment_wavefront_offset 0
		.amdhsa_system_sgpr_workgroup_id_x 1
		.amdhsa_system_sgpr_workgroup_id_y 0
		.amdhsa_system_sgpr_workgroup_id_z 0
		.amdhsa_system_sgpr_workgroup_info 0
		.amdhsa_system_vgpr_workitem_id 0
		.amdhsa_next_free_vgpr 1
		.amdhsa_next_free_sgpr 0
		.amdhsa_accum_offset 4
		.amdhsa_reserve_vcc 0
		.amdhsa_reserve_flat_scratch 0
		.amdhsa_float_round_mode_32 0
		.amdhsa_float_round_mode_16_64 0
		.amdhsa_float_denorm_mode_32 3
		.amdhsa_float_denorm_mode_16_64 3
		.amdhsa_dx10_clamp 1
		.amdhsa_ieee_mode 1
		.amdhsa_fp16_overflow 0
		.amdhsa_tg_split 0
		.amdhsa_exception_fp_ieee_invalid_op 0
		.amdhsa_exception_fp_denorm_src 0
		.amdhsa_exception_fp_ieee_div_zero 0
		.amdhsa_exception_fp_ieee_overflow 0
		.amdhsa_exception_fp_ieee_underflow 0
		.amdhsa_exception_fp_ieee_inexact 0
		.amdhsa_exception_int_div_zero 0
	.end_amdhsa_kernel
	.section	.text._ZN7rocprim17ROCPRIM_400000_NS6detail17trampoline_kernelINS0_14default_configENS1_29binary_search_config_selectorItbEEZNS1_14transform_implILb0ES3_S5_N6thrust23THRUST_200600_302600_NS17counting_iteratorItNS8_11use_defaultESA_SA_EEPbZNS1_13binary_searchIS3_S5_PtSB_SC_NS1_16binary_search_opENS8_6detail16wrapped_functionINS0_4lessIvEEbEEEE10hipError_tPvRmT1_T2_T3_mmT4_T5_P12ihipStream_tbEUlRKtE_EESL_SP_SQ_mSR_SU_bEUlT_E_NS1_11comp_targetILNS1_3genE5ELNS1_11target_archE942ELNS1_3gpuE9ELNS1_3repE0EEENS1_30default_config_static_selectorELNS0_4arch9wavefront6targetE1EEEvSO_,"axG",@progbits,_ZN7rocprim17ROCPRIM_400000_NS6detail17trampoline_kernelINS0_14default_configENS1_29binary_search_config_selectorItbEEZNS1_14transform_implILb0ES3_S5_N6thrust23THRUST_200600_302600_NS17counting_iteratorItNS8_11use_defaultESA_SA_EEPbZNS1_13binary_searchIS3_S5_PtSB_SC_NS1_16binary_search_opENS8_6detail16wrapped_functionINS0_4lessIvEEbEEEE10hipError_tPvRmT1_T2_T3_mmT4_T5_P12ihipStream_tbEUlRKtE_EESL_SP_SQ_mSR_SU_bEUlT_E_NS1_11comp_targetILNS1_3genE5ELNS1_11target_archE942ELNS1_3gpuE9ELNS1_3repE0EEENS1_30default_config_static_selectorELNS0_4arch9wavefront6targetE1EEEvSO_,comdat
.Lfunc_end211:
	.size	_ZN7rocprim17ROCPRIM_400000_NS6detail17trampoline_kernelINS0_14default_configENS1_29binary_search_config_selectorItbEEZNS1_14transform_implILb0ES3_S5_N6thrust23THRUST_200600_302600_NS17counting_iteratorItNS8_11use_defaultESA_SA_EEPbZNS1_13binary_searchIS3_S5_PtSB_SC_NS1_16binary_search_opENS8_6detail16wrapped_functionINS0_4lessIvEEbEEEE10hipError_tPvRmT1_T2_T3_mmT4_T5_P12ihipStream_tbEUlRKtE_EESL_SP_SQ_mSR_SU_bEUlT_E_NS1_11comp_targetILNS1_3genE5ELNS1_11target_archE942ELNS1_3gpuE9ELNS1_3repE0EEENS1_30default_config_static_selectorELNS0_4arch9wavefront6targetE1EEEvSO_, .Lfunc_end211-_ZN7rocprim17ROCPRIM_400000_NS6detail17trampoline_kernelINS0_14default_configENS1_29binary_search_config_selectorItbEEZNS1_14transform_implILb0ES3_S5_N6thrust23THRUST_200600_302600_NS17counting_iteratorItNS8_11use_defaultESA_SA_EEPbZNS1_13binary_searchIS3_S5_PtSB_SC_NS1_16binary_search_opENS8_6detail16wrapped_functionINS0_4lessIvEEbEEEE10hipError_tPvRmT1_T2_T3_mmT4_T5_P12ihipStream_tbEUlRKtE_EESL_SP_SQ_mSR_SU_bEUlT_E_NS1_11comp_targetILNS1_3genE5ELNS1_11target_archE942ELNS1_3gpuE9ELNS1_3repE0EEENS1_30default_config_static_selectorELNS0_4arch9wavefront6targetE1EEEvSO_
                                        ; -- End function
	.section	.AMDGPU.csdata,"",@progbits
; Kernel info:
; codeLenInByte = 0
; NumSgprs: 4
; NumVgprs: 0
; NumAgprs: 0
; TotalNumVgprs: 0
; ScratchSize: 0
; MemoryBound: 0
; FloatMode: 240
; IeeeMode: 1
; LDSByteSize: 0 bytes/workgroup (compile time only)
; SGPRBlocks: 0
; VGPRBlocks: 0
; NumSGPRsForWavesPerEU: 4
; NumVGPRsForWavesPerEU: 1
; AccumOffset: 4
; Occupancy: 8
; WaveLimiterHint : 0
; COMPUTE_PGM_RSRC2:SCRATCH_EN: 0
; COMPUTE_PGM_RSRC2:USER_SGPR: 6
; COMPUTE_PGM_RSRC2:TRAP_HANDLER: 0
; COMPUTE_PGM_RSRC2:TGID_X_EN: 1
; COMPUTE_PGM_RSRC2:TGID_Y_EN: 0
; COMPUTE_PGM_RSRC2:TGID_Z_EN: 0
; COMPUTE_PGM_RSRC2:TIDIG_COMP_CNT: 0
; COMPUTE_PGM_RSRC3_GFX90A:ACCUM_OFFSET: 0
; COMPUTE_PGM_RSRC3_GFX90A:TG_SPLIT: 0
	.section	.text._ZN7rocprim17ROCPRIM_400000_NS6detail17trampoline_kernelINS0_14default_configENS1_29binary_search_config_selectorItbEEZNS1_14transform_implILb0ES3_S5_N6thrust23THRUST_200600_302600_NS17counting_iteratorItNS8_11use_defaultESA_SA_EEPbZNS1_13binary_searchIS3_S5_PtSB_SC_NS1_16binary_search_opENS8_6detail16wrapped_functionINS0_4lessIvEEbEEEE10hipError_tPvRmT1_T2_T3_mmT4_T5_P12ihipStream_tbEUlRKtE_EESL_SP_SQ_mSR_SU_bEUlT_E_NS1_11comp_targetILNS1_3genE4ELNS1_11target_archE910ELNS1_3gpuE8ELNS1_3repE0EEENS1_30default_config_static_selectorELNS0_4arch9wavefront6targetE1EEEvSO_,"axG",@progbits,_ZN7rocprim17ROCPRIM_400000_NS6detail17trampoline_kernelINS0_14default_configENS1_29binary_search_config_selectorItbEEZNS1_14transform_implILb0ES3_S5_N6thrust23THRUST_200600_302600_NS17counting_iteratorItNS8_11use_defaultESA_SA_EEPbZNS1_13binary_searchIS3_S5_PtSB_SC_NS1_16binary_search_opENS8_6detail16wrapped_functionINS0_4lessIvEEbEEEE10hipError_tPvRmT1_T2_T3_mmT4_T5_P12ihipStream_tbEUlRKtE_EESL_SP_SQ_mSR_SU_bEUlT_E_NS1_11comp_targetILNS1_3genE4ELNS1_11target_archE910ELNS1_3gpuE8ELNS1_3repE0EEENS1_30default_config_static_selectorELNS0_4arch9wavefront6targetE1EEEvSO_,comdat
	.protected	_ZN7rocprim17ROCPRIM_400000_NS6detail17trampoline_kernelINS0_14default_configENS1_29binary_search_config_selectorItbEEZNS1_14transform_implILb0ES3_S5_N6thrust23THRUST_200600_302600_NS17counting_iteratorItNS8_11use_defaultESA_SA_EEPbZNS1_13binary_searchIS3_S5_PtSB_SC_NS1_16binary_search_opENS8_6detail16wrapped_functionINS0_4lessIvEEbEEEE10hipError_tPvRmT1_T2_T3_mmT4_T5_P12ihipStream_tbEUlRKtE_EESL_SP_SQ_mSR_SU_bEUlT_E_NS1_11comp_targetILNS1_3genE4ELNS1_11target_archE910ELNS1_3gpuE8ELNS1_3repE0EEENS1_30default_config_static_selectorELNS0_4arch9wavefront6targetE1EEEvSO_ ; -- Begin function _ZN7rocprim17ROCPRIM_400000_NS6detail17trampoline_kernelINS0_14default_configENS1_29binary_search_config_selectorItbEEZNS1_14transform_implILb0ES3_S5_N6thrust23THRUST_200600_302600_NS17counting_iteratorItNS8_11use_defaultESA_SA_EEPbZNS1_13binary_searchIS3_S5_PtSB_SC_NS1_16binary_search_opENS8_6detail16wrapped_functionINS0_4lessIvEEbEEEE10hipError_tPvRmT1_T2_T3_mmT4_T5_P12ihipStream_tbEUlRKtE_EESL_SP_SQ_mSR_SU_bEUlT_E_NS1_11comp_targetILNS1_3genE4ELNS1_11target_archE910ELNS1_3gpuE8ELNS1_3repE0EEENS1_30default_config_static_selectorELNS0_4arch9wavefront6targetE1EEEvSO_
	.globl	_ZN7rocprim17ROCPRIM_400000_NS6detail17trampoline_kernelINS0_14default_configENS1_29binary_search_config_selectorItbEEZNS1_14transform_implILb0ES3_S5_N6thrust23THRUST_200600_302600_NS17counting_iteratorItNS8_11use_defaultESA_SA_EEPbZNS1_13binary_searchIS3_S5_PtSB_SC_NS1_16binary_search_opENS8_6detail16wrapped_functionINS0_4lessIvEEbEEEE10hipError_tPvRmT1_T2_T3_mmT4_T5_P12ihipStream_tbEUlRKtE_EESL_SP_SQ_mSR_SU_bEUlT_E_NS1_11comp_targetILNS1_3genE4ELNS1_11target_archE910ELNS1_3gpuE8ELNS1_3repE0EEENS1_30default_config_static_selectorELNS0_4arch9wavefront6targetE1EEEvSO_
	.p2align	8
	.type	_ZN7rocprim17ROCPRIM_400000_NS6detail17trampoline_kernelINS0_14default_configENS1_29binary_search_config_selectorItbEEZNS1_14transform_implILb0ES3_S5_N6thrust23THRUST_200600_302600_NS17counting_iteratorItNS8_11use_defaultESA_SA_EEPbZNS1_13binary_searchIS3_S5_PtSB_SC_NS1_16binary_search_opENS8_6detail16wrapped_functionINS0_4lessIvEEbEEEE10hipError_tPvRmT1_T2_T3_mmT4_T5_P12ihipStream_tbEUlRKtE_EESL_SP_SQ_mSR_SU_bEUlT_E_NS1_11comp_targetILNS1_3genE4ELNS1_11target_archE910ELNS1_3gpuE8ELNS1_3repE0EEENS1_30default_config_static_selectorELNS0_4arch9wavefront6targetE1EEEvSO_,@function
_ZN7rocprim17ROCPRIM_400000_NS6detail17trampoline_kernelINS0_14default_configENS1_29binary_search_config_selectorItbEEZNS1_14transform_implILb0ES3_S5_N6thrust23THRUST_200600_302600_NS17counting_iteratorItNS8_11use_defaultESA_SA_EEPbZNS1_13binary_searchIS3_S5_PtSB_SC_NS1_16binary_search_opENS8_6detail16wrapped_functionINS0_4lessIvEEbEEEE10hipError_tPvRmT1_T2_T3_mmT4_T5_P12ihipStream_tbEUlRKtE_EESL_SP_SQ_mSR_SU_bEUlT_E_NS1_11comp_targetILNS1_3genE4ELNS1_11target_archE910ELNS1_3gpuE8ELNS1_3repE0EEENS1_30default_config_static_selectorELNS0_4arch9wavefront6targetE1EEEvSO_: ; @_ZN7rocprim17ROCPRIM_400000_NS6detail17trampoline_kernelINS0_14default_configENS1_29binary_search_config_selectorItbEEZNS1_14transform_implILb0ES3_S5_N6thrust23THRUST_200600_302600_NS17counting_iteratorItNS8_11use_defaultESA_SA_EEPbZNS1_13binary_searchIS3_S5_PtSB_SC_NS1_16binary_search_opENS8_6detail16wrapped_functionINS0_4lessIvEEbEEEE10hipError_tPvRmT1_T2_T3_mmT4_T5_P12ihipStream_tbEUlRKtE_EESL_SP_SQ_mSR_SU_bEUlT_E_NS1_11comp_targetILNS1_3genE4ELNS1_11target_archE910ELNS1_3gpuE8ELNS1_3repE0EEENS1_30default_config_static_selectorELNS0_4arch9wavefront6targetE1EEEvSO_
; %bb.0:
	s_load_dword s17, s[4:5], 0x0
	s_load_dwordx2 s[8:9], s[4:5], 0x8
	s_load_dword s7, s[4:5], 0x38
	s_load_dwordx4 s[0:3], s[4:5], 0x18
	s_load_dwordx2 s[10:11], s[4:5], 0x28
	s_lshl_b32 s16, s6, 8
	s_waitcnt lgkmcnt(0)
	s_add_i32 s17, s17, s8
	s_add_i32 s7, s7, -1
	s_cmp_lg_u32 s6, s7
	s_cbranch_scc0 .LBB212_8
; %bb.1:
	v_add_u16_e32 v1, s16, v0
	v_add_u16_e32 v1, s17, v1
	s_mov_b64 s[6:7], 0
	s_cmp_eq_u64 s[10:11], 0
	v_pk_mov_b32 v[2:3], 0, 0
	s_cbranch_scc1 .LBB212_5
; %bb.2:
	v_pk_mov_b32 v[2:3], 0, 0
	v_pk_mov_b32 v[4:5], s[10:11], s[10:11] op_sel:[0,1]
	v_mov_b32_e32 v6, s3
.LBB212_3:                              ; =>This Inner Loop Header: Depth=1
	v_sub_co_u32_e32 v8, vcc, v4, v2
	v_subb_co_u32_e32 v9, vcc, v5, v3, vcc
	v_lshrrev_b64 v[10:11], 1, v[8:9]
	v_add_co_u32_e32 v7, vcc, v10, v2
	v_lshrrev_b64 v[8:9], 6, v[8:9]
	v_addc_co_u32_e32 v10, vcc, v11, v3, vcc
	v_add_co_u32_e32 v8, vcc, v7, v8
	v_addc_co_u32_e32 v9, vcc, v10, v9, vcc
	v_lshlrev_b64 v[10:11], 1, v[8:9]
	v_add_co_u32_e32 v10, vcc, s2, v10
	v_addc_co_u32_e32 v11, vcc, v6, v11, vcc
	global_load_ushort v7, v[10:11], off
	v_add_co_u32_e32 v10, vcc, 1, v8
	v_addc_co_u32_e32 v11, vcc, 0, v9, vcc
	s_waitcnt vmcnt(0)
	v_cmp_lt_u16_e32 vcc, v7, v1
	v_cndmask_b32_e32 v5, v9, v5, vcc
	v_cndmask_b32_e32 v4, v8, v4, vcc
	;; [unrolled: 1-line block ×4, first 2 shown]
	v_cmp_ge_u64_e32 vcc, v[2:3], v[4:5]
	s_or_b64 s[6:7], vcc, s[6:7]
	s_andn2_b64 exec, exec, s[6:7]
	s_cbranch_execnz .LBB212_3
; %bb.4:
	s_or_b64 exec, exec, s[6:7]
.LBB212_5:
	v_cmp_ne_u64_e32 vcc, s[10:11], v[2:3]
	s_mov_b64 s[12:13], 0
	s_mov_b64 s[14:15], 0
	s_and_saveexec_b64 s[6:7], vcc
	s_cbranch_execz .LBB212_7
; %bb.6:
	v_lshlrev_b64 v[2:3], 1, v[2:3]
	v_mov_b32_e32 v4, s3
	v_add_co_u32_e32 v2, vcc, s2, v2
	v_addc_co_u32_e32 v3, vcc, v4, v3, vcc
	global_load_ushort v2, v[2:3], off
	s_waitcnt vmcnt(0)
	v_cmp_le_u16_e32 vcc, v2, v1
	s_and_b64 s[14:15], vcc, exec
.LBB212_7:
	s_or_b64 exec, exec, s[6:7]
	v_cndmask_b32_e64 v1, 0, 1, s[14:15]
	s_mov_b64 s[6:7], -1
	s_and_b64 vcc, exec, s[12:13]
	s_cbranch_vccnz .LBB212_9
	s_branch .LBB212_18
.LBB212_8:
	s_mov_b64 s[6:7], 0
                                        ; implicit-def: $vgpr1
	s_cbranch_execz .LBB212_18
.LBB212_9:
	s_load_dword s4, s[4:5], 0x10
                                        ; implicit-def: $vgpr1
	s_waitcnt lgkmcnt(0)
	s_sub_i32 s4, s4, s16
	v_cmp_gt_u32_e64 s[6:7], s4, v0
	s_and_saveexec_b64 s[4:5], s[6:7]
	s_cbranch_execz .LBB212_17
; %bb.10:
	v_add_u16_e32 v1, s16, v0
	v_add_u16_e32 v1, s17, v1
	s_mov_b64 s[12:13], 0
	s_cmp_eq_u64 s[10:11], 0
	v_pk_mov_b32 v[2:3], 0, 0
	s_cbranch_scc1 .LBB212_14
; %bb.11:
	v_pk_mov_b32 v[2:3], 0, 0
	v_pk_mov_b32 v[4:5], s[10:11], s[10:11] op_sel:[0,1]
	v_mov_b32_e32 v6, s3
.LBB212_12:                             ; =>This Inner Loop Header: Depth=1
	v_sub_co_u32_e32 v8, vcc, v4, v2
	v_subb_co_u32_e32 v9, vcc, v5, v3, vcc
	v_lshrrev_b64 v[10:11], 1, v[8:9]
	v_add_co_u32_e32 v7, vcc, v10, v2
	v_lshrrev_b64 v[8:9], 6, v[8:9]
	v_addc_co_u32_e32 v10, vcc, v11, v3, vcc
	v_add_co_u32_e32 v8, vcc, v7, v8
	v_addc_co_u32_e32 v9, vcc, v10, v9, vcc
	v_lshlrev_b64 v[10:11], 1, v[8:9]
	v_add_co_u32_e32 v10, vcc, s2, v10
	v_addc_co_u32_e32 v11, vcc, v6, v11, vcc
	global_load_ushort v7, v[10:11], off
	v_add_co_u32_e32 v10, vcc, 1, v8
	v_addc_co_u32_e32 v11, vcc, 0, v9, vcc
	s_waitcnt vmcnt(0)
	v_cmp_lt_u16_e32 vcc, v7, v1
	v_cndmask_b32_e32 v5, v9, v5, vcc
	v_cndmask_b32_e32 v4, v8, v4, vcc
	;; [unrolled: 1-line block ×4, first 2 shown]
	v_cmp_ge_u64_e32 vcc, v[2:3], v[4:5]
	s_or_b64 s[12:13], vcc, s[12:13]
	s_andn2_b64 exec, exec, s[12:13]
	s_cbranch_execnz .LBB212_12
; %bb.13:
	s_or_b64 exec, exec, s[12:13]
.LBB212_14:
	v_cmp_ne_u64_e32 vcc, s[10:11], v[2:3]
	s_mov_b64 s[12:13], 0
	s_and_saveexec_b64 s[10:11], vcc
	s_cbranch_execz .LBB212_16
; %bb.15:
	v_lshlrev_b64 v[2:3], 1, v[2:3]
	v_mov_b32_e32 v4, s3
	v_add_co_u32_e32 v2, vcc, s2, v2
	v_addc_co_u32_e32 v3, vcc, v4, v3, vcc
	global_load_ushort v2, v[2:3], off
	s_waitcnt vmcnt(0)
	v_cmp_le_u16_e32 vcc, v2, v1
	s_and_b64 s[12:13], vcc, exec
.LBB212_16:
	s_or_b64 exec, exec, s[10:11]
	v_cndmask_b32_e64 v1, 0, 1, s[12:13]
.LBB212_17:
	s_or_b64 exec, exec, s[4:5]
.LBB212_18:
	s_and_saveexec_b64 s[2:3], s[6:7]
	s_cbranch_execz .LBB212_20
; %bb.19:
	s_add_u32 s0, s0, s8
	s_addc_u32 s1, s1, s9
	s_add_u32 s0, s0, s16
	s_addc_u32 s1, s1, 0
	global_store_byte v0, v1, s[0:1]
.LBB212_20:
	s_endpgm
	.section	.rodata,"a",@progbits
	.p2align	6, 0x0
	.amdhsa_kernel _ZN7rocprim17ROCPRIM_400000_NS6detail17trampoline_kernelINS0_14default_configENS1_29binary_search_config_selectorItbEEZNS1_14transform_implILb0ES3_S5_N6thrust23THRUST_200600_302600_NS17counting_iteratorItNS8_11use_defaultESA_SA_EEPbZNS1_13binary_searchIS3_S5_PtSB_SC_NS1_16binary_search_opENS8_6detail16wrapped_functionINS0_4lessIvEEbEEEE10hipError_tPvRmT1_T2_T3_mmT4_T5_P12ihipStream_tbEUlRKtE_EESL_SP_SQ_mSR_SU_bEUlT_E_NS1_11comp_targetILNS1_3genE4ELNS1_11target_archE910ELNS1_3gpuE8ELNS1_3repE0EEENS1_30default_config_static_selectorELNS0_4arch9wavefront6targetE1EEEvSO_
		.amdhsa_group_segment_fixed_size 0
		.amdhsa_private_segment_fixed_size 0
		.amdhsa_kernarg_size 312
		.amdhsa_user_sgpr_count 6
		.amdhsa_user_sgpr_private_segment_buffer 1
		.amdhsa_user_sgpr_dispatch_ptr 0
		.amdhsa_user_sgpr_queue_ptr 0
		.amdhsa_user_sgpr_kernarg_segment_ptr 1
		.amdhsa_user_sgpr_dispatch_id 0
		.amdhsa_user_sgpr_flat_scratch_init 0
		.amdhsa_user_sgpr_kernarg_preload_length 0
		.amdhsa_user_sgpr_kernarg_preload_offset 0
		.amdhsa_user_sgpr_private_segment_size 0
		.amdhsa_uses_dynamic_stack 0
		.amdhsa_system_sgpr_private_segment_wavefront_offset 0
		.amdhsa_system_sgpr_workgroup_id_x 1
		.amdhsa_system_sgpr_workgroup_id_y 0
		.amdhsa_system_sgpr_workgroup_id_z 0
		.amdhsa_system_sgpr_workgroup_info 0
		.amdhsa_system_vgpr_workitem_id 0
		.amdhsa_next_free_vgpr 12
		.amdhsa_next_free_sgpr 18
		.amdhsa_accum_offset 12
		.amdhsa_reserve_vcc 1
		.amdhsa_reserve_flat_scratch 0
		.amdhsa_float_round_mode_32 0
		.amdhsa_float_round_mode_16_64 0
		.amdhsa_float_denorm_mode_32 3
		.amdhsa_float_denorm_mode_16_64 3
		.amdhsa_dx10_clamp 1
		.amdhsa_ieee_mode 1
		.amdhsa_fp16_overflow 0
		.amdhsa_tg_split 0
		.amdhsa_exception_fp_ieee_invalid_op 0
		.amdhsa_exception_fp_denorm_src 0
		.amdhsa_exception_fp_ieee_div_zero 0
		.amdhsa_exception_fp_ieee_overflow 0
		.amdhsa_exception_fp_ieee_underflow 0
		.amdhsa_exception_fp_ieee_inexact 0
		.amdhsa_exception_int_div_zero 0
	.end_amdhsa_kernel
	.section	.text._ZN7rocprim17ROCPRIM_400000_NS6detail17trampoline_kernelINS0_14default_configENS1_29binary_search_config_selectorItbEEZNS1_14transform_implILb0ES3_S5_N6thrust23THRUST_200600_302600_NS17counting_iteratorItNS8_11use_defaultESA_SA_EEPbZNS1_13binary_searchIS3_S5_PtSB_SC_NS1_16binary_search_opENS8_6detail16wrapped_functionINS0_4lessIvEEbEEEE10hipError_tPvRmT1_T2_T3_mmT4_T5_P12ihipStream_tbEUlRKtE_EESL_SP_SQ_mSR_SU_bEUlT_E_NS1_11comp_targetILNS1_3genE4ELNS1_11target_archE910ELNS1_3gpuE8ELNS1_3repE0EEENS1_30default_config_static_selectorELNS0_4arch9wavefront6targetE1EEEvSO_,"axG",@progbits,_ZN7rocprim17ROCPRIM_400000_NS6detail17trampoline_kernelINS0_14default_configENS1_29binary_search_config_selectorItbEEZNS1_14transform_implILb0ES3_S5_N6thrust23THRUST_200600_302600_NS17counting_iteratorItNS8_11use_defaultESA_SA_EEPbZNS1_13binary_searchIS3_S5_PtSB_SC_NS1_16binary_search_opENS8_6detail16wrapped_functionINS0_4lessIvEEbEEEE10hipError_tPvRmT1_T2_T3_mmT4_T5_P12ihipStream_tbEUlRKtE_EESL_SP_SQ_mSR_SU_bEUlT_E_NS1_11comp_targetILNS1_3genE4ELNS1_11target_archE910ELNS1_3gpuE8ELNS1_3repE0EEENS1_30default_config_static_selectorELNS0_4arch9wavefront6targetE1EEEvSO_,comdat
.Lfunc_end212:
	.size	_ZN7rocprim17ROCPRIM_400000_NS6detail17trampoline_kernelINS0_14default_configENS1_29binary_search_config_selectorItbEEZNS1_14transform_implILb0ES3_S5_N6thrust23THRUST_200600_302600_NS17counting_iteratorItNS8_11use_defaultESA_SA_EEPbZNS1_13binary_searchIS3_S5_PtSB_SC_NS1_16binary_search_opENS8_6detail16wrapped_functionINS0_4lessIvEEbEEEE10hipError_tPvRmT1_T2_T3_mmT4_T5_P12ihipStream_tbEUlRKtE_EESL_SP_SQ_mSR_SU_bEUlT_E_NS1_11comp_targetILNS1_3genE4ELNS1_11target_archE910ELNS1_3gpuE8ELNS1_3repE0EEENS1_30default_config_static_selectorELNS0_4arch9wavefront6targetE1EEEvSO_, .Lfunc_end212-_ZN7rocprim17ROCPRIM_400000_NS6detail17trampoline_kernelINS0_14default_configENS1_29binary_search_config_selectorItbEEZNS1_14transform_implILb0ES3_S5_N6thrust23THRUST_200600_302600_NS17counting_iteratorItNS8_11use_defaultESA_SA_EEPbZNS1_13binary_searchIS3_S5_PtSB_SC_NS1_16binary_search_opENS8_6detail16wrapped_functionINS0_4lessIvEEbEEEE10hipError_tPvRmT1_T2_T3_mmT4_T5_P12ihipStream_tbEUlRKtE_EESL_SP_SQ_mSR_SU_bEUlT_E_NS1_11comp_targetILNS1_3genE4ELNS1_11target_archE910ELNS1_3gpuE8ELNS1_3repE0EEENS1_30default_config_static_selectorELNS0_4arch9wavefront6targetE1EEEvSO_
                                        ; -- End function
	.section	.AMDGPU.csdata,"",@progbits
; Kernel info:
; codeLenInByte = 628
; NumSgprs: 22
; NumVgprs: 12
; NumAgprs: 0
; TotalNumVgprs: 12
; ScratchSize: 0
; MemoryBound: 0
; FloatMode: 240
; IeeeMode: 1
; LDSByteSize: 0 bytes/workgroup (compile time only)
; SGPRBlocks: 2
; VGPRBlocks: 1
; NumSGPRsForWavesPerEU: 22
; NumVGPRsForWavesPerEU: 12
; AccumOffset: 12
; Occupancy: 8
; WaveLimiterHint : 0
; COMPUTE_PGM_RSRC2:SCRATCH_EN: 0
; COMPUTE_PGM_RSRC2:USER_SGPR: 6
; COMPUTE_PGM_RSRC2:TRAP_HANDLER: 0
; COMPUTE_PGM_RSRC2:TGID_X_EN: 1
; COMPUTE_PGM_RSRC2:TGID_Y_EN: 0
; COMPUTE_PGM_RSRC2:TGID_Z_EN: 0
; COMPUTE_PGM_RSRC2:TIDIG_COMP_CNT: 0
; COMPUTE_PGM_RSRC3_GFX90A:ACCUM_OFFSET: 2
; COMPUTE_PGM_RSRC3_GFX90A:TG_SPLIT: 0
	.section	.text._ZN7rocprim17ROCPRIM_400000_NS6detail17trampoline_kernelINS0_14default_configENS1_29binary_search_config_selectorItbEEZNS1_14transform_implILb0ES3_S5_N6thrust23THRUST_200600_302600_NS17counting_iteratorItNS8_11use_defaultESA_SA_EEPbZNS1_13binary_searchIS3_S5_PtSB_SC_NS1_16binary_search_opENS8_6detail16wrapped_functionINS0_4lessIvEEbEEEE10hipError_tPvRmT1_T2_T3_mmT4_T5_P12ihipStream_tbEUlRKtE_EESL_SP_SQ_mSR_SU_bEUlT_E_NS1_11comp_targetILNS1_3genE3ELNS1_11target_archE908ELNS1_3gpuE7ELNS1_3repE0EEENS1_30default_config_static_selectorELNS0_4arch9wavefront6targetE1EEEvSO_,"axG",@progbits,_ZN7rocprim17ROCPRIM_400000_NS6detail17trampoline_kernelINS0_14default_configENS1_29binary_search_config_selectorItbEEZNS1_14transform_implILb0ES3_S5_N6thrust23THRUST_200600_302600_NS17counting_iteratorItNS8_11use_defaultESA_SA_EEPbZNS1_13binary_searchIS3_S5_PtSB_SC_NS1_16binary_search_opENS8_6detail16wrapped_functionINS0_4lessIvEEbEEEE10hipError_tPvRmT1_T2_T3_mmT4_T5_P12ihipStream_tbEUlRKtE_EESL_SP_SQ_mSR_SU_bEUlT_E_NS1_11comp_targetILNS1_3genE3ELNS1_11target_archE908ELNS1_3gpuE7ELNS1_3repE0EEENS1_30default_config_static_selectorELNS0_4arch9wavefront6targetE1EEEvSO_,comdat
	.protected	_ZN7rocprim17ROCPRIM_400000_NS6detail17trampoline_kernelINS0_14default_configENS1_29binary_search_config_selectorItbEEZNS1_14transform_implILb0ES3_S5_N6thrust23THRUST_200600_302600_NS17counting_iteratorItNS8_11use_defaultESA_SA_EEPbZNS1_13binary_searchIS3_S5_PtSB_SC_NS1_16binary_search_opENS8_6detail16wrapped_functionINS0_4lessIvEEbEEEE10hipError_tPvRmT1_T2_T3_mmT4_T5_P12ihipStream_tbEUlRKtE_EESL_SP_SQ_mSR_SU_bEUlT_E_NS1_11comp_targetILNS1_3genE3ELNS1_11target_archE908ELNS1_3gpuE7ELNS1_3repE0EEENS1_30default_config_static_selectorELNS0_4arch9wavefront6targetE1EEEvSO_ ; -- Begin function _ZN7rocprim17ROCPRIM_400000_NS6detail17trampoline_kernelINS0_14default_configENS1_29binary_search_config_selectorItbEEZNS1_14transform_implILb0ES3_S5_N6thrust23THRUST_200600_302600_NS17counting_iteratorItNS8_11use_defaultESA_SA_EEPbZNS1_13binary_searchIS3_S5_PtSB_SC_NS1_16binary_search_opENS8_6detail16wrapped_functionINS0_4lessIvEEbEEEE10hipError_tPvRmT1_T2_T3_mmT4_T5_P12ihipStream_tbEUlRKtE_EESL_SP_SQ_mSR_SU_bEUlT_E_NS1_11comp_targetILNS1_3genE3ELNS1_11target_archE908ELNS1_3gpuE7ELNS1_3repE0EEENS1_30default_config_static_selectorELNS0_4arch9wavefront6targetE1EEEvSO_
	.globl	_ZN7rocprim17ROCPRIM_400000_NS6detail17trampoline_kernelINS0_14default_configENS1_29binary_search_config_selectorItbEEZNS1_14transform_implILb0ES3_S5_N6thrust23THRUST_200600_302600_NS17counting_iteratorItNS8_11use_defaultESA_SA_EEPbZNS1_13binary_searchIS3_S5_PtSB_SC_NS1_16binary_search_opENS8_6detail16wrapped_functionINS0_4lessIvEEbEEEE10hipError_tPvRmT1_T2_T3_mmT4_T5_P12ihipStream_tbEUlRKtE_EESL_SP_SQ_mSR_SU_bEUlT_E_NS1_11comp_targetILNS1_3genE3ELNS1_11target_archE908ELNS1_3gpuE7ELNS1_3repE0EEENS1_30default_config_static_selectorELNS0_4arch9wavefront6targetE1EEEvSO_
	.p2align	8
	.type	_ZN7rocprim17ROCPRIM_400000_NS6detail17trampoline_kernelINS0_14default_configENS1_29binary_search_config_selectorItbEEZNS1_14transform_implILb0ES3_S5_N6thrust23THRUST_200600_302600_NS17counting_iteratorItNS8_11use_defaultESA_SA_EEPbZNS1_13binary_searchIS3_S5_PtSB_SC_NS1_16binary_search_opENS8_6detail16wrapped_functionINS0_4lessIvEEbEEEE10hipError_tPvRmT1_T2_T3_mmT4_T5_P12ihipStream_tbEUlRKtE_EESL_SP_SQ_mSR_SU_bEUlT_E_NS1_11comp_targetILNS1_3genE3ELNS1_11target_archE908ELNS1_3gpuE7ELNS1_3repE0EEENS1_30default_config_static_selectorELNS0_4arch9wavefront6targetE1EEEvSO_,@function
_ZN7rocprim17ROCPRIM_400000_NS6detail17trampoline_kernelINS0_14default_configENS1_29binary_search_config_selectorItbEEZNS1_14transform_implILb0ES3_S5_N6thrust23THRUST_200600_302600_NS17counting_iteratorItNS8_11use_defaultESA_SA_EEPbZNS1_13binary_searchIS3_S5_PtSB_SC_NS1_16binary_search_opENS8_6detail16wrapped_functionINS0_4lessIvEEbEEEE10hipError_tPvRmT1_T2_T3_mmT4_T5_P12ihipStream_tbEUlRKtE_EESL_SP_SQ_mSR_SU_bEUlT_E_NS1_11comp_targetILNS1_3genE3ELNS1_11target_archE908ELNS1_3gpuE7ELNS1_3repE0EEENS1_30default_config_static_selectorELNS0_4arch9wavefront6targetE1EEEvSO_: ; @_ZN7rocprim17ROCPRIM_400000_NS6detail17trampoline_kernelINS0_14default_configENS1_29binary_search_config_selectorItbEEZNS1_14transform_implILb0ES3_S5_N6thrust23THRUST_200600_302600_NS17counting_iteratorItNS8_11use_defaultESA_SA_EEPbZNS1_13binary_searchIS3_S5_PtSB_SC_NS1_16binary_search_opENS8_6detail16wrapped_functionINS0_4lessIvEEbEEEE10hipError_tPvRmT1_T2_T3_mmT4_T5_P12ihipStream_tbEUlRKtE_EESL_SP_SQ_mSR_SU_bEUlT_E_NS1_11comp_targetILNS1_3genE3ELNS1_11target_archE908ELNS1_3gpuE7ELNS1_3repE0EEENS1_30default_config_static_selectorELNS0_4arch9wavefront6targetE1EEEvSO_
; %bb.0:
	.section	.rodata,"a",@progbits
	.p2align	6, 0x0
	.amdhsa_kernel _ZN7rocprim17ROCPRIM_400000_NS6detail17trampoline_kernelINS0_14default_configENS1_29binary_search_config_selectorItbEEZNS1_14transform_implILb0ES3_S5_N6thrust23THRUST_200600_302600_NS17counting_iteratorItNS8_11use_defaultESA_SA_EEPbZNS1_13binary_searchIS3_S5_PtSB_SC_NS1_16binary_search_opENS8_6detail16wrapped_functionINS0_4lessIvEEbEEEE10hipError_tPvRmT1_T2_T3_mmT4_T5_P12ihipStream_tbEUlRKtE_EESL_SP_SQ_mSR_SU_bEUlT_E_NS1_11comp_targetILNS1_3genE3ELNS1_11target_archE908ELNS1_3gpuE7ELNS1_3repE0EEENS1_30default_config_static_selectorELNS0_4arch9wavefront6targetE1EEEvSO_
		.amdhsa_group_segment_fixed_size 0
		.amdhsa_private_segment_fixed_size 0
		.amdhsa_kernarg_size 56
		.amdhsa_user_sgpr_count 6
		.amdhsa_user_sgpr_private_segment_buffer 1
		.amdhsa_user_sgpr_dispatch_ptr 0
		.amdhsa_user_sgpr_queue_ptr 0
		.amdhsa_user_sgpr_kernarg_segment_ptr 1
		.amdhsa_user_sgpr_dispatch_id 0
		.amdhsa_user_sgpr_flat_scratch_init 0
		.amdhsa_user_sgpr_kernarg_preload_length 0
		.amdhsa_user_sgpr_kernarg_preload_offset 0
		.amdhsa_user_sgpr_private_segment_size 0
		.amdhsa_uses_dynamic_stack 0
		.amdhsa_system_sgpr_private_segment_wavefront_offset 0
		.amdhsa_system_sgpr_workgroup_id_x 1
		.amdhsa_system_sgpr_workgroup_id_y 0
		.amdhsa_system_sgpr_workgroup_id_z 0
		.amdhsa_system_sgpr_workgroup_info 0
		.amdhsa_system_vgpr_workitem_id 0
		.amdhsa_next_free_vgpr 1
		.amdhsa_next_free_sgpr 0
		.amdhsa_accum_offset 4
		.amdhsa_reserve_vcc 0
		.amdhsa_reserve_flat_scratch 0
		.amdhsa_float_round_mode_32 0
		.amdhsa_float_round_mode_16_64 0
		.amdhsa_float_denorm_mode_32 3
		.amdhsa_float_denorm_mode_16_64 3
		.amdhsa_dx10_clamp 1
		.amdhsa_ieee_mode 1
		.amdhsa_fp16_overflow 0
		.amdhsa_tg_split 0
		.amdhsa_exception_fp_ieee_invalid_op 0
		.amdhsa_exception_fp_denorm_src 0
		.amdhsa_exception_fp_ieee_div_zero 0
		.amdhsa_exception_fp_ieee_overflow 0
		.amdhsa_exception_fp_ieee_underflow 0
		.amdhsa_exception_fp_ieee_inexact 0
		.amdhsa_exception_int_div_zero 0
	.end_amdhsa_kernel
	.section	.text._ZN7rocprim17ROCPRIM_400000_NS6detail17trampoline_kernelINS0_14default_configENS1_29binary_search_config_selectorItbEEZNS1_14transform_implILb0ES3_S5_N6thrust23THRUST_200600_302600_NS17counting_iteratorItNS8_11use_defaultESA_SA_EEPbZNS1_13binary_searchIS3_S5_PtSB_SC_NS1_16binary_search_opENS8_6detail16wrapped_functionINS0_4lessIvEEbEEEE10hipError_tPvRmT1_T2_T3_mmT4_T5_P12ihipStream_tbEUlRKtE_EESL_SP_SQ_mSR_SU_bEUlT_E_NS1_11comp_targetILNS1_3genE3ELNS1_11target_archE908ELNS1_3gpuE7ELNS1_3repE0EEENS1_30default_config_static_selectorELNS0_4arch9wavefront6targetE1EEEvSO_,"axG",@progbits,_ZN7rocprim17ROCPRIM_400000_NS6detail17trampoline_kernelINS0_14default_configENS1_29binary_search_config_selectorItbEEZNS1_14transform_implILb0ES3_S5_N6thrust23THRUST_200600_302600_NS17counting_iteratorItNS8_11use_defaultESA_SA_EEPbZNS1_13binary_searchIS3_S5_PtSB_SC_NS1_16binary_search_opENS8_6detail16wrapped_functionINS0_4lessIvEEbEEEE10hipError_tPvRmT1_T2_T3_mmT4_T5_P12ihipStream_tbEUlRKtE_EESL_SP_SQ_mSR_SU_bEUlT_E_NS1_11comp_targetILNS1_3genE3ELNS1_11target_archE908ELNS1_3gpuE7ELNS1_3repE0EEENS1_30default_config_static_selectorELNS0_4arch9wavefront6targetE1EEEvSO_,comdat
.Lfunc_end213:
	.size	_ZN7rocprim17ROCPRIM_400000_NS6detail17trampoline_kernelINS0_14default_configENS1_29binary_search_config_selectorItbEEZNS1_14transform_implILb0ES3_S5_N6thrust23THRUST_200600_302600_NS17counting_iteratorItNS8_11use_defaultESA_SA_EEPbZNS1_13binary_searchIS3_S5_PtSB_SC_NS1_16binary_search_opENS8_6detail16wrapped_functionINS0_4lessIvEEbEEEE10hipError_tPvRmT1_T2_T3_mmT4_T5_P12ihipStream_tbEUlRKtE_EESL_SP_SQ_mSR_SU_bEUlT_E_NS1_11comp_targetILNS1_3genE3ELNS1_11target_archE908ELNS1_3gpuE7ELNS1_3repE0EEENS1_30default_config_static_selectorELNS0_4arch9wavefront6targetE1EEEvSO_, .Lfunc_end213-_ZN7rocprim17ROCPRIM_400000_NS6detail17trampoline_kernelINS0_14default_configENS1_29binary_search_config_selectorItbEEZNS1_14transform_implILb0ES3_S5_N6thrust23THRUST_200600_302600_NS17counting_iteratorItNS8_11use_defaultESA_SA_EEPbZNS1_13binary_searchIS3_S5_PtSB_SC_NS1_16binary_search_opENS8_6detail16wrapped_functionINS0_4lessIvEEbEEEE10hipError_tPvRmT1_T2_T3_mmT4_T5_P12ihipStream_tbEUlRKtE_EESL_SP_SQ_mSR_SU_bEUlT_E_NS1_11comp_targetILNS1_3genE3ELNS1_11target_archE908ELNS1_3gpuE7ELNS1_3repE0EEENS1_30default_config_static_selectorELNS0_4arch9wavefront6targetE1EEEvSO_
                                        ; -- End function
	.section	.AMDGPU.csdata,"",@progbits
; Kernel info:
; codeLenInByte = 0
; NumSgprs: 4
; NumVgprs: 0
; NumAgprs: 0
; TotalNumVgprs: 0
; ScratchSize: 0
; MemoryBound: 0
; FloatMode: 240
; IeeeMode: 1
; LDSByteSize: 0 bytes/workgroup (compile time only)
; SGPRBlocks: 0
; VGPRBlocks: 0
; NumSGPRsForWavesPerEU: 4
; NumVGPRsForWavesPerEU: 1
; AccumOffset: 4
; Occupancy: 8
; WaveLimiterHint : 0
; COMPUTE_PGM_RSRC2:SCRATCH_EN: 0
; COMPUTE_PGM_RSRC2:USER_SGPR: 6
; COMPUTE_PGM_RSRC2:TRAP_HANDLER: 0
; COMPUTE_PGM_RSRC2:TGID_X_EN: 1
; COMPUTE_PGM_RSRC2:TGID_Y_EN: 0
; COMPUTE_PGM_RSRC2:TGID_Z_EN: 0
; COMPUTE_PGM_RSRC2:TIDIG_COMP_CNT: 0
; COMPUTE_PGM_RSRC3_GFX90A:ACCUM_OFFSET: 0
; COMPUTE_PGM_RSRC3_GFX90A:TG_SPLIT: 0
	.section	.text._ZN7rocprim17ROCPRIM_400000_NS6detail17trampoline_kernelINS0_14default_configENS1_29binary_search_config_selectorItbEEZNS1_14transform_implILb0ES3_S5_N6thrust23THRUST_200600_302600_NS17counting_iteratorItNS8_11use_defaultESA_SA_EEPbZNS1_13binary_searchIS3_S5_PtSB_SC_NS1_16binary_search_opENS8_6detail16wrapped_functionINS0_4lessIvEEbEEEE10hipError_tPvRmT1_T2_T3_mmT4_T5_P12ihipStream_tbEUlRKtE_EESL_SP_SQ_mSR_SU_bEUlT_E_NS1_11comp_targetILNS1_3genE2ELNS1_11target_archE906ELNS1_3gpuE6ELNS1_3repE0EEENS1_30default_config_static_selectorELNS0_4arch9wavefront6targetE1EEEvSO_,"axG",@progbits,_ZN7rocprim17ROCPRIM_400000_NS6detail17trampoline_kernelINS0_14default_configENS1_29binary_search_config_selectorItbEEZNS1_14transform_implILb0ES3_S5_N6thrust23THRUST_200600_302600_NS17counting_iteratorItNS8_11use_defaultESA_SA_EEPbZNS1_13binary_searchIS3_S5_PtSB_SC_NS1_16binary_search_opENS8_6detail16wrapped_functionINS0_4lessIvEEbEEEE10hipError_tPvRmT1_T2_T3_mmT4_T5_P12ihipStream_tbEUlRKtE_EESL_SP_SQ_mSR_SU_bEUlT_E_NS1_11comp_targetILNS1_3genE2ELNS1_11target_archE906ELNS1_3gpuE6ELNS1_3repE0EEENS1_30default_config_static_selectorELNS0_4arch9wavefront6targetE1EEEvSO_,comdat
	.protected	_ZN7rocprim17ROCPRIM_400000_NS6detail17trampoline_kernelINS0_14default_configENS1_29binary_search_config_selectorItbEEZNS1_14transform_implILb0ES3_S5_N6thrust23THRUST_200600_302600_NS17counting_iteratorItNS8_11use_defaultESA_SA_EEPbZNS1_13binary_searchIS3_S5_PtSB_SC_NS1_16binary_search_opENS8_6detail16wrapped_functionINS0_4lessIvEEbEEEE10hipError_tPvRmT1_T2_T3_mmT4_T5_P12ihipStream_tbEUlRKtE_EESL_SP_SQ_mSR_SU_bEUlT_E_NS1_11comp_targetILNS1_3genE2ELNS1_11target_archE906ELNS1_3gpuE6ELNS1_3repE0EEENS1_30default_config_static_selectorELNS0_4arch9wavefront6targetE1EEEvSO_ ; -- Begin function _ZN7rocprim17ROCPRIM_400000_NS6detail17trampoline_kernelINS0_14default_configENS1_29binary_search_config_selectorItbEEZNS1_14transform_implILb0ES3_S5_N6thrust23THRUST_200600_302600_NS17counting_iteratorItNS8_11use_defaultESA_SA_EEPbZNS1_13binary_searchIS3_S5_PtSB_SC_NS1_16binary_search_opENS8_6detail16wrapped_functionINS0_4lessIvEEbEEEE10hipError_tPvRmT1_T2_T3_mmT4_T5_P12ihipStream_tbEUlRKtE_EESL_SP_SQ_mSR_SU_bEUlT_E_NS1_11comp_targetILNS1_3genE2ELNS1_11target_archE906ELNS1_3gpuE6ELNS1_3repE0EEENS1_30default_config_static_selectorELNS0_4arch9wavefront6targetE1EEEvSO_
	.globl	_ZN7rocprim17ROCPRIM_400000_NS6detail17trampoline_kernelINS0_14default_configENS1_29binary_search_config_selectorItbEEZNS1_14transform_implILb0ES3_S5_N6thrust23THRUST_200600_302600_NS17counting_iteratorItNS8_11use_defaultESA_SA_EEPbZNS1_13binary_searchIS3_S5_PtSB_SC_NS1_16binary_search_opENS8_6detail16wrapped_functionINS0_4lessIvEEbEEEE10hipError_tPvRmT1_T2_T3_mmT4_T5_P12ihipStream_tbEUlRKtE_EESL_SP_SQ_mSR_SU_bEUlT_E_NS1_11comp_targetILNS1_3genE2ELNS1_11target_archE906ELNS1_3gpuE6ELNS1_3repE0EEENS1_30default_config_static_selectorELNS0_4arch9wavefront6targetE1EEEvSO_
	.p2align	8
	.type	_ZN7rocprim17ROCPRIM_400000_NS6detail17trampoline_kernelINS0_14default_configENS1_29binary_search_config_selectorItbEEZNS1_14transform_implILb0ES3_S5_N6thrust23THRUST_200600_302600_NS17counting_iteratorItNS8_11use_defaultESA_SA_EEPbZNS1_13binary_searchIS3_S5_PtSB_SC_NS1_16binary_search_opENS8_6detail16wrapped_functionINS0_4lessIvEEbEEEE10hipError_tPvRmT1_T2_T3_mmT4_T5_P12ihipStream_tbEUlRKtE_EESL_SP_SQ_mSR_SU_bEUlT_E_NS1_11comp_targetILNS1_3genE2ELNS1_11target_archE906ELNS1_3gpuE6ELNS1_3repE0EEENS1_30default_config_static_selectorELNS0_4arch9wavefront6targetE1EEEvSO_,@function
_ZN7rocprim17ROCPRIM_400000_NS6detail17trampoline_kernelINS0_14default_configENS1_29binary_search_config_selectorItbEEZNS1_14transform_implILb0ES3_S5_N6thrust23THRUST_200600_302600_NS17counting_iteratorItNS8_11use_defaultESA_SA_EEPbZNS1_13binary_searchIS3_S5_PtSB_SC_NS1_16binary_search_opENS8_6detail16wrapped_functionINS0_4lessIvEEbEEEE10hipError_tPvRmT1_T2_T3_mmT4_T5_P12ihipStream_tbEUlRKtE_EESL_SP_SQ_mSR_SU_bEUlT_E_NS1_11comp_targetILNS1_3genE2ELNS1_11target_archE906ELNS1_3gpuE6ELNS1_3repE0EEENS1_30default_config_static_selectorELNS0_4arch9wavefront6targetE1EEEvSO_: ; @_ZN7rocprim17ROCPRIM_400000_NS6detail17trampoline_kernelINS0_14default_configENS1_29binary_search_config_selectorItbEEZNS1_14transform_implILb0ES3_S5_N6thrust23THRUST_200600_302600_NS17counting_iteratorItNS8_11use_defaultESA_SA_EEPbZNS1_13binary_searchIS3_S5_PtSB_SC_NS1_16binary_search_opENS8_6detail16wrapped_functionINS0_4lessIvEEbEEEE10hipError_tPvRmT1_T2_T3_mmT4_T5_P12ihipStream_tbEUlRKtE_EESL_SP_SQ_mSR_SU_bEUlT_E_NS1_11comp_targetILNS1_3genE2ELNS1_11target_archE906ELNS1_3gpuE6ELNS1_3repE0EEENS1_30default_config_static_selectorELNS0_4arch9wavefront6targetE1EEEvSO_
; %bb.0:
	.section	.rodata,"a",@progbits
	.p2align	6, 0x0
	.amdhsa_kernel _ZN7rocprim17ROCPRIM_400000_NS6detail17trampoline_kernelINS0_14default_configENS1_29binary_search_config_selectorItbEEZNS1_14transform_implILb0ES3_S5_N6thrust23THRUST_200600_302600_NS17counting_iteratorItNS8_11use_defaultESA_SA_EEPbZNS1_13binary_searchIS3_S5_PtSB_SC_NS1_16binary_search_opENS8_6detail16wrapped_functionINS0_4lessIvEEbEEEE10hipError_tPvRmT1_T2_T3_mmT4_T5_P12ihipStream_tbEUlRKtE_EESL_SP_SQ_mSR_SU_bEUlT_E_NS1_11comp_targetILNS1_3genE2ELNS1_11target_archE906ELNS1_3gpuE6ELNS1_3repE0EEENS1_30default_config_static_selectorELNS0_4arch9wavefront6targetE1EEEvSO_
		.amdhsa_group_segment_fixed_size 0
		.amdhsa_private_segment_fixed_size 0
		.amdhsa_kernarg_size 56
		.amdhsa_user_sgpr_count 6
		.amdhsa_user_sgpr_private_segment_buffer 1
		.amdhsa_user_sgpr_dispatch_ptr 0
		.amdhsa_user_sgpr_queue_ptr 0
		.amdhsa_user_sgpr_kernarg_segment_ptr 1
		.amdhsa_user_sgpr_dispatch_id 0
		.amdhsa_user_sgpr_flat_scratch_init 0
		.amdhsa_user_sgpr_kernarg_preload_length 0
		.amdhsa_user_sgpr_kernarg_preload_offset 0
		.amdhsa_user_sgpr_private_segment_size 0
		.amdhsa_uses_dynamic_stack 0
		.amdhsa_system_sgpr_private_segment_wavefront_offset 0
		.amdhsa_system_sgpr_workgroup_id_x 1
		.amdhsa_system_sgpr_workgroup_id_y 0
		.amdhsa_system_sgpr_workgroup_id_z 0
		.amdhsa_system_sgpr_workgroup_info 0
		.amdhsa_system_vgpr_workitem_id 0
		.amdhsa_next_free_vgpr 1
		.amdhsa_next_free_sgpr 0
		.amdhsa_accum_offset 4
		.amdhsa_reserve_vcc 0
		.amdhsa_reserve_flat_scratch 0
		.amdhsa_float_round_mode_32 0
		.amdhsa_float_round_mode_16_64 0
		.amdhsa_float_denorm_mode_32 3
		.amdhsa_float_denorm_mode_16_64 3
		.amdhsa_dx10_clamp 1
		.amdhsa_ieee_mode 1
		.amdhsa_fp16_overflow 0
		.amdhsa_tg_split 0
		.amdhsa_exception_fp_ieee_invalid_op 0
		.amdhsa_exception_fp_denorm_src 0
		.amdhsa_exception_fp_ieee_div_zero 0
		.amdhsa_exception_fp_ieee_overflow 0
		.amdhsa_exception_fp_ieee_underflow 0
		.amdhsa_exception_fp_ieee_inexact 0
		.amdhsa_exception_int_div_zero 0
	.end_amdhsa_kernel
	.section	.text._ZN7rocprim17ROCPRIM_400000_NS6detail17trampoline_kernelINS0_14default_configENS1_29binary_search_config_selectorItbEEZNS1_14transform_implILb0ES3_S5_N6thrust23THRUST_200600_302600_NS17counting_iteratorItNS8_11use_defaultESA_SA_EEPbZNS1_13binary_searchIS3_S5_PtSB_SC_NS1_16binary_search_opENS8_6detail16wrapped_functionINS0_4lessIvEEbEEEE10hipError_tPvRmT1_T2_T3_mmT4_T5_P12ihipStream_tbEUlRKtE_EESL_SP_SQ_mSR_SU_bEUlT_E_NS1_11comp_targetILNS1_3genE2ELNS1_11target_archE906ELNS1_3gpuE6ELNS1_3repE0EEENS1_30default_config_static_selectorELNS0_4arch9wavefront6targetE1EEEvSO_,"axG",@progbits,_ZN7rocprim17ROCPRIM_400000_NS6detail17trampoline_kernelINS0_14default_configENS1_29binary_search_config_selectorItbEEZNS1_14transform_implILb0ES3_S5_N6thrust23THRUST_200600_302600_NS17counting_iteratorItNS8_11use_defaultESA_SA_EEPbZNS1_13binary_searchIS3_S5_PtSB_SC_NS1_16binary_search_opENS8_6detail16wrapped_functionINS0_4lessIvEEbEEEE10hipError_tPvRmT1_T2_T3_mmT4_T5_P12ihipStream_tbEUlRKtE_EESL_SP_SQ_mSR_SU_bEUlT_E_NS1_11comp_targetILNS1_3genE2ELNS1_11target_archE906ELNS1_3gpuE6ELNS1_3repE0EEENS1_30default_config_static_selectorELNS0_4arch9wavefront6targetE1EEEvSO_,comdat
.Lfunc_end214:
	.size	_ZN7rocprim17ROCPRIM_400000_NS6detail17trampoline_kernelINS0_14default_configENS1_29binary_search_config_selectorItbEEZNS1_14transform_implILb0ES3_S5_N6thrust23THRUST_200600_302600_NS17counting_iteratorItNS8_11use_defaultESA_SA_EEPbZNS1_13binary_searchIS3_S5_PtSB_SC_NS1_16binary_search_opENS8_6detail16wrapped_functionINS0_4lessIvEEbEEEE10hipError_tPvRmT1_T2_T3_mmT4_T5_P12ihipStream_tbEUlRKtE_EESL_SP_SQ_mSR_SU_bEUlT_E_NS1_11comp_targetILNS1_3genE2ELNS1_11target_archE906ELNS1_3gpuE6ELNS1_3repE0EEENS1_30default_config_static_selectorELNS0_4arch9wavefront6targetE1EEEvSO_, .Lfunc_end214-_ZN7rocprim17ROCPRIM_400000_NS6detail17trampoline_kernelINS0_14default_configENS1_29binary_search_config_selectorItbEEZNS1_14transform_implILb0ES3_S5_N6thrust23THRUST_200600_302600_NS17counting_iteratorItNS8_11use_defaultESA_SA_EEPbZNS1_13binary_searchIS3_S5_PtSB_SC_NS1_16binary_search_opENS8_6detail16wrapped_functionINS0_4lessIvEEbEEEE10hipError_tPvRmT1_T2_T3_mmT4_T5_P12ihipStream_tbEUlRKtE_EESL_SP_SQ_mSR_SU_bEUlT_E_NS1_11comp_targetILNS1_3genE2ELNS1_11target_archE906ELNS1_3gpuE6ELNS1_3repE0EEENS1_30default_config_static_selectorELNS0_4arch9wavefront6targetE1EEEvSO_
                                        ; -- End function
	.section	.AMDGPU.csdata,"",@progbits
; Kernel info:
; codeLenInByte = 0
; NumSgprs: 4
; NumVgprs: 0
; NumAgprs: 0
; TotalNumVgprs: 0
; ScratchSize: 0
; MemoryBound: 0
; FloatMode: 240
; IeeeMode: 1
; LDSByteSize: 0 bytes/workgroup (compile time only)
; SGPRBlocks: 0
; VGPRBlocks: 0
; NumSGPRsForWavesPerEU: 4
; NumVGPRsForWavesPerEU: 1
; AccumOffset: 4
; Occupancy: 8
; WaveLimiterHint : 0
; COMPUTE_PGM_RSRC2:SCRATCH_EN: 0
; COMPUTE_PGM_RSRC2:USER_SGPR: 6
; COMPUTE_PGM_RSRC2:TRAP_HANDLER: 0
; COMPUTE_PGM_RSRC2:TGID_X_EN: 1
; COMPUTE_PGM_RSRC2:TGID_Y_EN: 0
; COMPUTE_PGM_RSRC2:TGID_Z_EN: 0
; COMPUTE_PGM_RSRC2:TIDIG_COMP_CNT: 0
; COMPUTE_PGM_RSRC3_GFX90A:ACCUM_OFFSET: 0
; COMPUTE_PGM_RSRC3_GFX90A:TG_SPLIT: 0
	.section	.text._ZN7rocprim17ROCPRIM_400000_NS6detail17trampoline_kernelINS0_14default_configENS1_29binary_search_config_selectorItbEEZNS1_14transform_implILb0ES3_S5_N6thrust23THRUST_200600_302600_NS17counting_iteratorItNS8_11use_defaultESA_SA_EEPbZNS1_13binary_searchIS3_S5_PtSB_SC_NS1_16binary_search_opENS8_6detail16wrapped_functionINS0_4lessIvEEbEEEE10hipError_tPvRmT1_T2_T3_mmT4_T5_P12ihipStream_tbEUlRKtE_EESL_SP_SQ_mSR_SU_bEUlT_E_NS1_11comp_targetILNS1_3genE10ELNS1_11target_archE1201ELNS1_3gpuE5ELNS1_3repE0EEENS1_30default_config_static_selectorELNS0_4arch9wavefront6targetE1EEEvSO_,"axG",@progbits,_ZN7rocprim17ROCPRIM_400000_NS6detail17trampoline_kernelINS0_14default_configENS1_29binary_search_config_selectorItbEEZNS1_14transform_implILb0ES3_S5_N6thrust23THRUST_200600_302600_NS17counting_iteratorItNS8_11use_defaultESA_SA_EEPbZNS1_13binary_searchIS3_S5_PtSB_SC_NS1_16binary_search_opENS8_6detail16wrapped_functionINS0_4lessIvEEbEEEE10hipError_tPvRmT1_T2_T3_mmT4_T5_P12ihipStream_tbEUlRKtE_EESL_SP_SQ_mSR_SU_bEUlT_E_NS1_11comp_targetILNS1_3genE10ELNS1_11target_archE1201ELNS1_3gpuE5ELNS1_3repE0EEENS1_30default_config_static_selectorELNS0_4arch9wavefront6targetE1EEEvSO_,comdat
	.protected	_ZN7rocprim17ROCPRIM_400000_NS6detail17trampoline_kernelINS0_14default_configENS1_29binary_search_config_selectorItbEEZNS1_14transform_implILb0ES3_S5_N6thrust23THRUST_200600_302600_NS17counting_iteratorItNS8_11use_defaultESA_SA_EEPbZNS1_13binary_searchIS3_S5_PtSB_SC_NS1_16binary_search_opENS8_6detail16wrapped_functionINS0_4lessIvEEbEEEE10hipError_tPvRmT1_T2_T3_mmT4_T5_P12ihipStream_tbEUlRKtE_EESL_SP_SQ_mSR_SU_bEUlT_E_NS1_11comp_targetILNS1_3genE10ELNS1_11target_archE1201ELNS1_3gpuE5ELNS1_3repE0EEENS1_30default_config_static_selectorELNS0_4arch9wavefront6targetE1EEEvSO_ ; -- Begin function _ZN7rocprim17ROCPRIM_400000_NS6detail17trampoline_kernelINS0_14default_configENS1_29binary_search_config_selectorItbEEZNS1_14transform_implILb0ES3_S5_N6thrust23THRUST_200600_302600_NS17counting_iteratorItNS8_11use_defaultESA_SA_EEPbZNS1_13binary_searchIS3_S5_PtSB_SC_NS1_16binary_search_opENS8_6detail16wrapped_functionINS0_4lessIvEEbEEEE10hipError_tPvRmT1_T2_T3_mmT4_T5_P12ihipStream_tbEUlRKtE_EESL_SP_SQ_mSR_SU_bEUlT_E_NS1_11comp_targetILNS1_3genE10ELNS1_11target_archE1201ELNS1_3gpuE5ELNS1_3repE0EEENS1_30default_config_static_selectorELNS0_4arch9wavefront6targetE1EEEvSO_
	.globl	_ZN7rocprim17ROCPRIM_400000_NS6detail17trampoline_kernelINS0_14default_configENS1_29binary_search_config_selectorItbEEZNS1_14transform_implILb0ES3_S5_N6thrust23THRUST_200600_302600_NS17counting_iteratorItNS8_11use_defaultESA_SA_EEPbZNS1_13binary_searchIS3_S5_PtSB_SC_NS1_16binary_search_opENS8_6detail16wrapped_functionINS0_4lessIvEEbEEEE10hipError_tPvRmT1_T2_T3_mmT4_T5_P12ihipStream_tbEUlRKtE_EESL_SP_SQ_mSR_SU_bEUlT_E_NS1_11comp_targetILNS1_3genE10ELNS1_11target_archE1201ELNS1_3gpuE5ELNS1_3repE0EEENS1_30default_config_static_selectorELNS0_4arch9wavefront6targetE1EEEvSO_
	.p2align	8
	.type	_ZN7rocprim17ROCPRIM_400000_NS6detail17trampoline_kernelINS0_14default_configENS1_29binary_search_config_selectorItbEEZNS1_14transform_implILb0ES3_S5_N6thrust23THRUST_200600_302600_NS17counting_iteratorItNS8_11use_defaultESA_SA_EEPbZNS1_13binary_searchIS3_S5_PtSB_SC_NS1_16binary_search_opENS8_6detail16wrapped_functionINS0_4lessIvEEbEEEE10hipError_tPvRmT1_T2_T3_mmT4_T5_P12ihipStream_tbEUlRKtE_EESL_SP_SQ_mSR_SU_bEUlT_E_NS1_11comp_targetILNS1_3genE10ELNS1_11target_archE1201ELNS1_3gpuE5ELNS1_3repE0EEENS1_30default_config_static_selectorELNS0_4arch9wavefront6targetE1EEEvSO_,@function
_ZN7rocprim17ROCPRIM_400000_NS6detail17trampoline_kernelINS0_14default_configENS1_29binary_search_config_selectorItbEEZNS1_14transform_implILb0ES3_S5_N6thrust23THRUST_200600_302600_NS17counting_iteratorItNS8_11use_defaultESA_SA_EEPbZNS1_13binary_searchIS3_S5_PtSB_SC_NS1_16binary_search_opENS8_6detail16wrapped_functionINS0_4lessIvEEbEEEE10hipError_tPvRmT1_T2_T3_mmT4_T5_P12ihipStream_tbEUlRKtE_EESL_SP_SQ_mSR_SU_bEUlT_E_NS1_11comp_targetILNS1_3genE10ELNS1_11target_archE1201ELNS1_3gpuE5ELNS1_3repE0EEENS1_30default_config_static_selectorELNS0_4arch9wavefront6targetE1EEEvSO_: ; @_ZN7rocprim17ROCPRIM_400000_NS6detail17trampoline_kernelINS0_14default_configENS1_29binary_search_config_selectorItbEEZNS1_14transform_implILb0ES3_S5_N6thrust23THRUST_200600_302600_NS17counting_iteratorItNS8_11use_defaultESA_SA_EEPbZNS1_13binary_searchIS3_S5_PtSB_SC_NS1_16binary_search_opENS8_6detail16wrapped_functionINS0_4lessIvEEbEEEE10hipError_tPvRmT1_T2_T3_mmT4_T5_P12ihipStream_tbEUlRKtE_EESL_SP_SQ_mSR_SU_bEUlT_E_NS1_11comp_targetILNS1_3genE10ELNS1_11target_archE1201ELNS1_3gpuE5ELNS1_3repE0EEENS1_30default_config_static_selectorELNS0_4arch9wavefront6targetE1EEEvSO_
; %bb.0:
	.section	.rodata,"a",@progbits
	.p2align	6, 0x0
	.amdhsa_kernel _ZN7rocprim17ROCPRIM_400000_NS6detail17trampoline_kernelINS0_14default_configENS1_29binary_search_config_selectorItbEEZNS1_14transform_implILb0ES3_S5_N6thrust23THRUST_200600_302600_NS17counting_iteratorItNS8_11use_defaultESA_SA_EEPbZNS1_13binary_searchIS3_S5_PtSB_SC_NS1_16binary_search_opENS8_6detail16wrapped_functionINS0_4lessIvEEbEEEE10hipError_tPvRmT1_T2_T3_mmT4_T5_P12ihipStream_tbEUlRKtE_EESL_SP_SQ_mSR_SU_bEUlT_E_NS1_11comp_targetILNS1_3genE10ELNS1_11target_archE1201ELNS1_3gpuE5ELNS1_3repE0EEENS1_30default_config_static_selectorELNS0_4arch9wavefront6targetE1EEEvSO_
		.amdhsa_group_segment_fixed_size 0
		.amdhsa_private_segment_fixed_size 0
		.amdhsa_kernarg_size 56
		.amdhsa_user_sgpr_count 6
		.amdhsa_user_sgpr_private_segment_buffer 1
		.amdhsa_user_sgpr_dispatch_ptr 0
		.amdhsa_user_sgpr_queue_ptr 0
		.amdhsa_user_sgpr_kernarg_segment_ptr 1
		.amdhsa_user_sgpr_dispatch_id 0
		.amdhsa_user_sgpr_flat_scratch_init 0
		.amdhsa_user_sgpr_kernarg_preload_length 0
		.amdhsa_user_sgpr_kernarg_preload_offset 0
		.amdhsa_user_sgpr_private_segment_size 0
		.amdhsa_uses_dynamic_stack 0
		.amdhsa_system_sgpr_private_segment_wavefront_offset 0
		.amdhsa_system_sgpr_workgroup_id_x 1
		.amdhsa_system_sgpr_workgroup_id_y 0
		.amdhsa_system_sgpr_workgroup_id_z 0
		.amdhsa_system_sgpr_workgroup_info 0
		.amdhsa_system_vgpr_workitem_id 0
		.amdhsa_next_free_vgpr 1
		.amdhsa_next_free_sgpr 0
		.amdhsa_accum_offset 4
		.amdhsa_reserve_vcc 0
		.amdhsa_reserve_flat_scratch 0
		.amdhsa_float_round_mode_32 0
		.amdhsa_float_round_mode_16_64 0
		.amdhsa_float_denorm_mode_32 3
		.amdhsa_float_denorm_mode_16_64 3
		.amdhsa_dx10_clamp 1
		.amdhsa_ieee_mode 1
		.amdhsa_fp16_overflow 0
		.amdhsa_tg_split 0
		.amdhsa_exception_fp_ieee_invalid_op 0
		.amdhsa_exception_fp_denorm_src 0
		.amdhsa_exception_fp_ieee_div_zero 0
		.amdhsa_exception_fp_ieee_overflow 0
		.amdhsa_exception_fp_ieee_underflow 0
		.amdhsa_exception_fp_ieee_inexact 0
		.amdhsa_exception_int_div_zero 0
	.end_amdhsa_kernel
	.section	.text._ZN7rocprim17ROCPRIM_400000_NS6detail17trampoline_kernelINS0_14default_configENS1_29binary_search_config_selectorItbEEZNS1_14transform_implILb0ES3_S5_N6thrust23THRUST_200600_302600_NS17counting_iteratorItNS8_11use_defaultESA_SA_EEPbZNS1_13binary_searchIS3_S5_PtSB_SC_NS1_16binary_search_opENS8_6detail16wrapped_functionINS0_4lessIvEEbEEEE10hipError_tPvRmT1_T2_T3_mmT4_T5_P12ihipStream_tbEUlRKtE_EESL_SP_SQ_mSR_SU_bEUlT_E_NS1_11comp_targetILNS1_3genE10ELNS1_11target_archE1201ELNS1_3gpuE5ELNS1_3repE0EEENS1_30default_config_static_selectorELNS0_4arch9wavefront6targetE1EEEvSO_,"axG",@progbits,_ZN7rocprim17ROCPRIM_400000_NS6detail17trampoline_kernelINS0_14default_configENS1_29binary_search_config_selectorItbEEZNS1_14transform_implILb0ES3_S5_N6thrust23THRUST_200600_302600_NS17counting_iteratorItNS8_11use_defaultESA_SA_EEPbZNS1_13binary_searchIS3_S5_PtSB_SC_NS1_16binary_search_opENS8_6detail16wrapped_functionINS0_4lessIvEEbEEEE10hipError_tPvRmT1_T2_T3_mmT4_T5_P12ihipStream_tbEUlRKtE_EESL_SP_SQ_mSR_SU_bEUlT_E_NS1_11comp_targetILNS1_3genE10ELNS1_11target_archE1201ELNS1_3gpuE5ELNS1_3repE0EEENS1_30default_config_static_selectorELNS0_4arch9wavefront6targetE1EEEvSO_,comdat
.Lfunc_end215:
	.size	_ZN7rocprim17ROCPRIM_400000_NS6detail17trampoline_kernelINS0_14default_configENS1_29binary_search_config_selectorItbEEZNS1_14transform_implILb0ES3_S5_N6thrust23THRUST_200600_302600_NS17counting_iteratorItNS8_11use_defaultESA_SA_EEPbZNS1_13binary_searchIS3_S5_PtSB_SC_NS1_16binary_search_opENS8_6detail16wrapped_functionINS0_4lessIvEEbEEEE10hipError_tPvRmT1_T2_T3_mmT4_T5_P12ihipStream_tbEUlRKtE_EESL_SP_SQ_mSR_SU_bEUlT_E_NS1_11comp_targetILNS1_3genE10ELNS1_11target_archE1201ELNS1_3gpuE5ELNS1_3repE0EEENS1_30default_config_static_selectorELNS0_4arch9wavefront6targetE1EEEvSO_, .Lfunc_end215-_ZN7rocprim17ROCPRIM_400000_NS6detail17trampoline_kernelINS0_14default_configENS1_29binary_search_config_selectorItbEEZNS1_14transform_implILb0ES3_S5_N6thrust23THRUST_200600_302600_NS17counting_iteratorItNS8_11use_defaultESA_SA_EEPbZNS1_13binary_searchIS3_S5_PtSB_SC_NS1_16binary_search_opENS8_6detail16wrapped_functionINS0_4lessIvEEbEEEE10hipError_tPvRmT1_T2_T3_mmT4_T5_P12ihipStream_tbEUlRKtE_EESL_SP_SQ_mSR_SU_bEUlT_E_NS1_11comp_targetILNS1_3genE10ELNS1_11target_archE1201ELNS1_3gpuE5ELNS1_3repE0EEENS1_30default_config_static_selectorELNS0_4arch9wavefront6targetE1EEEvSO_
                                        ; -- End function
	.section	.AMDGPU.csdata,"",@progbits
; Kernel info:
; codeLenInByte = 0
; NumSgprs: 4
; NumVgprs: 0
; NumAgprs: 0
; TotalNumVgprs: 0
; ScratchSize: 0
; MemoryBound: 0
; FloatMode: 240
; IeeeMode: 1
; LDSByteSize: 0 bytes/workgroup (compile time only)
; SGPRBlocks: 0
; VGPRBlocks: 0
; NumSGPRsForWavesPerEU: 4
; NumVGPRsForWavesPerEU: 1
; AccumOffset: 4
; Occupancy: 8
; WaveLimiterHint : 0
; COMPUTE_PGM_RSRC2:SCRATCH_EN: 0
; COMPUTE_PGM_RSRC2:USER_SGPR: 6
; COMPUTE_PGM_RSRC2:TRAP_HANDLER: 0
; COMPUTE_PGM_RSRC2:TGID_X_EN: 1
; COMPUTE_PGM_RSRC2:TGID_Y_EN: 0
; COMPUTE_PGM_RSRC2:TGID_Z_EN: 0
; COMPUTE_PGM_RSRC2:TIDIG_COMP_CNT: 0
; COMPUTE_PGM_RSRC3_GFX90A:ACCUM_OFFSET: 0
; COMPUTE_PGM_RSRC3_GFX90A:TG_SPLIT: 0
	.section	.text._ZN7rocprim17ROCPRIM_400000_NS6detail17trampoline_kernelINS0_14default_configENS1_29binary_search_config_selectorItbEEZNS1_14transform_implILb0ES3_S5_N6thrust23THRUST_200600_302600_NS17counting_iteratorItNS8_11use_defaultESA_SA_EEPbZNS1_13binary_searchIS3_S5_PtSB_SC_NS1_16binary_search_opENS8_6detail16wrapped_functionINS0_4lessIvEEbEEEE10hipError_tPvRmT1_T2_T3_mmT4_T5_P12ihipStream_tbEUlRKtE_EESL_SP_SQ_mSR_SU_bEUlT_E_NS1_11comp_targetILNS1_3genE10ELNS1_11target_archE1200ELNS1_3gpuE4ELNS1_3repE0EEENS1_30default_config_static_selectorELNS0_4arch9wavefront6targetE1EEEvSO_,"axG",@progbits,_ZN7rocprim17ROCPRIM_400000_NS6detail17trampoline_kernelINS0_14default_configENS1_29binary_search_config_selectorItbEEZNS1_14transform_implILb0ES3_S5_N6thrust23THRUST_200600_302600_NS17counting_iteratorItNS8_11use_defaultESA_SA_EEPbZNS1_13binary_searchIS3_S5_PtSB_SC_NS1_16binary_search_opENS8_6detail16wrapped_functionINS0_4lessIvEEbEEEE10hipError_tPvRmT1_T2_T3_mmT4_T5_P12ihipStream_tbEUlRKtE_EESL_SP_SQ_mSR_SU_bEUlT_E_NS1_11comp_targetILNS1_3genE10ELNS1_11target_archE1200ELNS1_3gpuE4ELNS1_3repE0EEENS1_30default_config_static_selectorELNS0_4arch9wavefront6targetE1EEEvSO_,comdat
	.protected	_ZN7rocprim17ROCPRIM_400000_NS6detail17trampoline_kernelINS0_14default_configENS1_29binary_search_config_selectorItbEEZNS1_14transform_implILb0ES3_S5_N6thrust23THRUST_200600_302600_NS17counting_iteratorItNS8_11use_defaultESA_SA_EEPbZNS1_13binary_searchIS3_S5_PtSB_SC_NS1_16binary_search_opENS8_6detail16wrapped_functionINS0_4lessIvEEbEEEE10hipError_tPvRmT1_T2_T3_mmT4_T5_P12ihipStream_tbEUlRKtE_EESL_SP_SQ_mSR_SU_bEUlT_E_NS1_11comp_targetILNS1_3genE10ELNS1_11target_archE1200ELNS1_3gpuE4ELNS1_3repE0EEENS1_30default_config_static_selectorELNS0_4arch9wavefront6targetE1EEEvSO_ ; -- Begin function _ZN7rocprim17ROCPRIM_400000_NS6detail17trampoline_kernelINS0_14default_configENS1_29binary_search_config_selectorItbEEZNS1_14transform_implILb0ES3_S5_N6thrust23THRUST_200600_302600_NS17counting_iteratorItNS8_11use_defaultESA_SA_EEPbZNS1_13binary_searchIS3_S5_PtSB_SC_NS1_16binary_search_opENS8_6detail16wrapped_functionINS0_4lessIvEEbEEEE10hipError_tPvRmT1_T2_T3_mmT4_T5_P12ihipStream_tbEUlRKtE_EESL_SP_SQ_mSR_SU_bEUlT_E_NS1_11comp_targetILNS1_3genE10ELNS1_11target_archE1200ELNS1_3gpuE4ELNS1_3repE0EEENS1_30default_config_static_selectorELNS0_4arch9wavefront6targetE1EEEvSO_
	.globl	_ZN7rocprim17ROCPRIM_400000_NS6detail17trampoline_kernelINS0_14default_configENS1_29binary_search_config_selectorItbEEZNS1_14transform_implILb0ES3_S5_N6thrust23THRUST_200600_302600_NS17counting_iteratorItNS8_11use_defaultESA_SA_EEPbZNS1_13binary_searchIS3_S5_PtSB_SC_NS1_16binary_search_opENS8_6detail16wrapped_functionINS0_4lessIvEEbEEEE10hipError_tPvRmT1_T2_T3_mmT4_T5_P12ihipStream_tbEUlRKtE_EESL_SP_SQ_mSR_SU_bEUlT_E_NS1_11comp_targetILNS1_3genE10ELNS1_11target_archE1200ELNS1_3gpuE4ELNS1_3repE0EEENS1_30default_config_static_selectorELNS0_4arch9wavefront6targetE1EEEvSO_
	.p2align	8
	.type	_ZN7rocprim17ROCPRIM_400000_NS6detail17trampoline_kernelINS0_14default_configENS1_29binary_search_config_selectorItbEEZNS1_14transform_implILb0ES3_S5_N6thrust23THRUST_200600_302600_NS17counting_iteratorItNS8_11use_defaultESA_SA_EEPbZNS1_13binary_searchIS3_S5_PtSB_SC_NS1_16binary_search_opENS8_6detail16wrapped_functionINS0_4lessIvEEbEEEE10hipError_tPvRmT1_T2_T3_mmT4_T5_P12ihipStream_tbEUlRKtE_EESL_SP_SQ_mSR_SU_bEUlT_E_NS1_11comp_targetILNS1_3genE10ELNS1_11target_archE1200ELNS1_3gpuE4ELNS1_3repE0EEENS1_30default_config_static_selectorELNS0_4arch9wavefront6targetE1EEEvSO_,@function
_ZN7rocprim17ROCPRIM_400000_NS6detail17trampoline_kernelINS0_14default_configENS1_29binary_search_config_selectorItbEEZNS1_14transform_implILb0ES3_S5_N6thrust23THRUST_200600_302600_NS17counting_iteratorItNS8_11use_defaultESA_SA_EEPbZNS1_13binary_searchIS3_S5_PtSB_SC_NS1_16binary_search_opENS8_6detail16wrapped_functionINS0_4lessIvEEbEEEE10hipError_tPvRmT1_T2_T3_mmT4_T5_P12ihipStream_tbEUlRKtE_EESL_SP_SQ_mSR_SU_bEUlT_E_NS1_11comp_targetILNS1_3genE10ELNS1_11target_archE1200ELNS1_3gpuE4ELNS1_3repE0EEENS1_30default_config_static_selectorELNS0_4arch9wavefront6targetE1EEEvSO_: ; @_ZN7rocprim17ROCPRIM_400000_NS6detail17trampoline_kernelINS0_14default_configENS1_29binary_search_config_selectorItbEEZNS1_14transform_implILb0ES3_S5_N6thrust23THRUST_200600_302600_NS17counting_iteratorItNS8_11use_defaultESA_SA_EEPbZNS1_13binary_searchIS3_S5_PtSB_SC_NS1_16binary_search_opENS8_6detail16wrapped_functionINS0_4lessIvEEbEEEE10hipError_tPvRmT1_T2_T3_mmT4_T5_P12ihipStream_tbEUlRKtE_EESL_SP_SQ_mSR_SU_bEUlT_E_NS1_11comp_targetILNS1_3genE10ELNS1_11target_archE1200ELNS1_3gpuE4ELNS1_3repE0EEENS1_30default_config_static_selectorELNS0_4arch9wavefront6targetE1EEEvSO_
; %bb.0:
	.section	.rodata,"a",@progbits
	.p2align	6, 0x0
	.amdhsa_kernel _ZN7rocprim17ROCPRIM_400000_NS6detail17trampoline_kernelINS0_14default_configENS1_29binary_search_config_selectorItbEEZNS1_14transform_implILb0ES3_S5_N6thrust23THRUST_200600_302600_NS17counting_iteratorItNS8_11use_defaultESA_SA_EEPbZNS1_13binary_searchIS3_S5_PtSB_SC_NS1_16binary_search_opENS8_6detail16wrapped_functionINS0_4lessIvEEbEEEE10hipError_tPvRmT1_T2_T3_mmT4_T5_P12ihipStream_tbEUlRKtE_EESL_SP_SQ_mSR_SU_bEUlT_E_NS1_11comp_targetILNS1_3genE10ELNS1_11target_archE1200ELNS1_3gpuE4ELNS1_3repE0EEENS1_30default_config_static_selectorELNS0_4arch9wavefront6targetE1EEEvSO_
		.amdhsa_group_segment_fixed_size 0
		.amdhsa_private_segment_fixed_size 0
		.amdhsa_kernarg_size 56
		.amdhsa_user_sgpr_count 6
		.amdhsa_user_sgpr_private_segment_buffer 1
		.amdhsa_user_sgpr_dispatch_ptr 0
		.amdhsa_user_sgpr_queue_ptr 0
		.amdhsa_user_sgpr_kernarg_segment_ptr 1
		.amdhsa_user_sgpr_dispatch_id 0
		.amdhsa_user_sgpr_flat_scratch_init 0
		.amdhsa_user_sgpr_kernarg_preload_length 0
		.amdhsa_user_sgpr_kernarg_preload_offset 0
		.amdhsa_user_sgpr_private_segment_size 0
		.amdhsa_uses_dynamic_stack 0
		.amdhsa_system_sgpr_private_segment_wavefront_offset 0
		.amdhsa_system_sgpr_workgroup_id_x 1
		.amdhsa_system_sgpr_workgroup_id_y 0
		.amdhsa_system_sgpr_workgroup_id_z 0
		.amdhsa_system_sgpr_workgroup_info 0
		.amdhsa_system_vgpr_workitem_id 0
		.amdhsa_next_free_vgpr 1
		.amdhsa_next_free_sgpr 0
		.amdhsa_accum_offset 4
		.amdhsa_reserve_vcc 0
		.amdhsa_reserve_flat_scratch 0
		.amdhsa_float_round_mode_32 0
		.amdhsa_float_round_mode_16_64 0
		.amdhsa_float_denorm_mode_32 3
		.amdhsa_float_denorm_mode_16_64 3
		.amdhsa_dx10_clamp 1
		.amdhsa_ieee_mode 1
		.amdhsa_fp16_overflow 0
		.amdhsa_tg_split 0
		.amdhsa_exception_fp_ieee_invalid_op 0
		.amdhsa_exception_fp_denorm_src 0
		.amdhsa_exception_fp_ieee_div_zero 0
		.amdhsa_exception_fp_ieee_overflow 0
		.amdhsa_exception_fp_ieee_underflow 0
		.amdhsa_exception_fp_ieee_inexact 0
		.amdhsa_exception_int_div_zero 0
	.end_amdhsa_kernel
	.section	.text._ZN7rocprim17ROCPRIM_400000_NS6detail17trampoline_kernelINS0_14default_configENS1_29binary_search_config_selectorItbEEZNS1_14transform_implILb0ES3_S5_N6thrust23THRUST_200600_302600_NS17counting_iteratorItNS8_11use_defaultESA_SA_EEPbZNS1_13binary_searchIS3_S5_PtSB_SC_NS1_16binary_search_opENS8_6detail16wrapped_functionINS0_4lessIvEEbEEEE10hipError_tPvRmT1_T2_T3_mmT4_T5_P12ihipStream_tbEUlRKtE_EESL_SP_SQ_mSR_SU_bEUlT_E_NS1_11comp_targetILNS1_3genE10ELNS1_11target_archE1200ELNS1_3gpuE4ELNS1_3repE0EEENS1_30default_config_static_selectorELNS0_4arch9wavefront6targetE1EEEvSO_,"axG",@progbits,_ZN7rocprim17ROCPRIM_400000_NS6detail17trampoline_kernelINS0_14default_configENS1_29binary_search_config_selectorItbEEZNS1_14transform_implILb0ES3_S5_N6thrust23THRUST_200600_302600_NS17counting_iteratorItNS8_11use_defaultESA_SA_EEPbZNS1_13binary_searchIS3_S5_PtSB_SC_NS1_16binary_search_opENS8_6detail16wrapped_functionINS0_4lessIvEEbEEEE10hipError_tPvRmT1_T2_T3_mmT4_T5_P12ihipStream_tbEUlRKtE_EESL_SP_SQ_mSR_SU_bEUlT_E_NS1_11comp_targetILNS1_3genE10ELNS1_11target_archE1200ELNS1_3gpuE4ELNS1_3repE0EEENS1_30default_config_static_selectorELNS0_4arch9wavefront6targetE1EEEvSO_,comdat
.Lfunc_end216:
	.size	_ZN7rocprim17ROCPRIM_400000_NS6detail17trampoline_kernelINS0_14default_configENS1_29binary_search_config_selectorItbEEZNS1_14transform_implILb0ES3_S5_N6thrust23THRUST_200600_302600_NS17counting_iteratorItNS8_11use_defaultESA_SA_EEPbZNS1_13binary_searchIS3_S5_PtSB_SC_NS1_16binary_search_opENS8_6detail16wrapped_functionINS0_4lessIvEEbEEEE10hipError_tPvRmT1_T2_T3_mmT4_T5_P12ihipStream_tbEUlRKtE_EESL_SP_SQ_mSR_SU_bEUlT_E_NS1_11comp_targetILNS1_3genE10ELNS1_11target_archE1200ELNS1_3gpuE4ELNS1_3repE0EEENS1_30default_config_static_selectorELNS0_4arch9wavefront6targetE1EEEvSO_, .Lfunc_end216-_ZN7rocprim17ROCPRIM_400000_NS6detail17trampoline_kernelINS0_14default_configENS1_29binary_search_config_selectorItbEEZNS1_14transform_implILb0ES3_S5_N6thrust23THRUST_200600_302600_NS17counting_iteratorItNS8_11use_defaultESA_SA_EEPbZNS1_13binary_searchIS3_S5_PtSB_SC_NS1_16binary_search_opENS8_6detail16wrapped_functionINS0_4lessIvEEbEEEE10hipError_tPvRmT1_T2_T3_mmT4_T5_P12ihipStream_tbEUlRKtE_EESL_SP_SQ_mSR_SU_bEUlT_E_NS1_11comp_targetILNS1_3genE10ELNS1_11target_archE1200ELNS1_3gpuE4ELNS1_3repE0EEENS1_30default_config_static_selectorELNS0_4arch9wavefront6targetE1EEEvSO_
                                        ; -- End function
	.section	.AMDGPU.csdata,"",@progbits
; Kernel info:
; codeLenInByte = 0
; NumSgprs: 4
; NumVgprs: 0
; NumAgprs: 0
; TotalNumVgprs: 0
; ScratchSize: 0
; MemoryBound: 0
; FloatMode: 240
; IeeeMode: 1
; LDSByteSize: 0 bytes/workgroup (compile time only)
; SGPRBlocks: 0
; VGPRBlocks: 0
; NumSGPRsForWavesPerEU: 4
; NumVGPRsForWavesPerEU: 1
; AccumOffset: 4
; Occupancy: 8
; WaveLimiterHint : 0
; COMPUTE_PGM_RSRC2:SCRATCH_EN: 0
; COMPUTE_PGM_RSRC2:USER_SGPR: 6
; COMPUTE_PGM_RSRC2:TRAP_HANDLER: 0
; COMPUTE_PGM_RSRC2:TGID_X_EN: 1
; COMPUTE_PGM_RSRC2:TGID_Y_EN: 0
; COMPUTE_PGM_RSRC2:TGID_Z_EN: 0
; COMPUTE_PGM_RSRC2:TIDIG_COMP_CNT: 0
; COMPUTE_PGM_RSRC3_GFX90A:ACCUM_OFFSET: 0
; COMPUTE_PGM_RSRC3_GFX90A:TG_SPLIT: 0
	.section	.text._ZN7rocprim17ROCPRIM_400000_NS6detail17trampoline_kernelINS0_14default_configENS1_29binary_search_config_selectorItbEEZNS1_14transform_implILb0ES3_S5_N6thrust23THRUST_200600_302600_NS17counting_iteratorItNS8_11use_defaultESA_SA_EEPbZNS1_13binary_searchIS3_S5_PtSB_SC_NS1_16binary_search_opENS8_6detail16wrapped_functionINS0_4lessIvEEbEEEE10hipError_tPvRmT1_T2_T3_mmT4_T5_P12ihipStream_tbEUlRKtE_EESL_SP_SQ_mSR_SU_bEUlT_E_NS1_11comp_targetILNS1_3genE9ELNS1_11target_archE1100ELNS1_3gpuE3ELNS1_3repE0EEENS1_30default_config_static_selectorELNS0_4arch9wavefront6targetE1EEEvSO_,"axG",@progbits,_ZN7rocprim17ROCPRIM_400000_NS6detail17trampoline_kernelINS0_14default_configENS1_29binary_search_config_selectorItbEEZNS1_14transform_implILb0ES3_S5_N6thrust23THRUST_200600_302600_NS17counting_iteratorItNS8_11use_defaultESA_SA_EEPbZNS1_13binary_searchIS3_S5_PtSB_SC_NS1_16binary_search_opENS8_6detail16wrapped_functionINS0_4lessIvEEbEEEE10hipError_tPvRmT1_T2_T3_mmT4_T5_P12ihipStream_tbEUlRKtE_EESL_SP_SQ_mSR_SU_bEUlT_E_NS1_11comp_targetILNS1_3genE9ELNS1_11target_archE1100ELNS1_3gpuE3ELNS1_3repE0EEENS1_30default_config_static_selectorELNS0_4arch9wavefront6targetE1EEEvSO_,comdat
	.protected	_ZN7rocprim17ROCPRIM_400000_NS6detail17trampoline_kernelINS0_14default_configENS1_29binary_search_config_selectorItbEEZNS1_14transform_implILb0ES3_S5_N6thrust23THRUST_200600_302600_NS17counting_iteratorItNS8_11use_defaultESA_SA_EEPbZNS1_13binary_searchIS3_S5_PtSB_SC_NS1_16binary_search_opENS8_6detail16wrapped_functionINS0_4lessIvEEbEEEE10hipError_tPvRmT1_T2_T3_mmT4_T5_P12ihipStream_tbEUlRKtE_EESL_SP_SQ_mSR_SU_bEUlT_E_NS1_11comp_targetILNS1_3genE9ELNS1_11target_archE1100ELNS1_3gpuE3ELNS1_3repE0EEENS1_30default_config_static_selectorELNS0_4arch9wavefront6targetE1EEEvSO_ ; -- Begin function _ZN7rocprim17ROCPRIM_400000_NS6detail17trampoline_kernelINS0_14default_configENS1_29binary_search_config_selectorItbEEZNS1_14transform_implILb0ES3_S5_N6thrust23THRUST_200600_302600_NS17counting_iteratorItNS8_11use_defaultESA_SA_EEPbZNS1_13binary_searchIS3_S5_PtSB_SC_NS1_16binary_search_opENS8_6detail16wrapped_functionINS0_4lessIvEEbEEEE10hipError_tPvRmT1_T2_T3_mmT4_T5_P12ihipStream_tbEUlRKtE_EESL_SP_SQ_mSR_SU_bEUlT_E_NS1_11comp_targetILNS1_3genE9ELNS1_11target_archE1100ELNS1_3gpuE3ELNS1_3repE0EEENS1_30default_config_static_selectorELNS0_4arch9wavefront6targetE1EEEvSO_
	.globl	_ZN7rocprim17ROCPRIM_400000_NS6detail17trampoline_kernelINS0_14default_configENS1_29binary_search_config_selectorItbEEZNS1_14transform_implILb0ES3_S5_N6thrust23THRUST_200600_302600_NS17counting_iteratorItNS8_11use_defaultESA_SA_EEPbZNS1_13binary_searchIS3_S5_PtSB_SC_NS1_16binary_search_opENS8_6detail16wrapped_functionINS0_4lessIvEEbEEEE10hipError_tPvRmT1_T2_T3_mmT4_T5_P12ihipStream_tbEUlRKtE_EESL_SP_SQ_mSR_SU_bEUlT_E_NS1_11comp_targetILNS1_3genE9ELNS1_11target_archE1100ELNS1_3gpuE3ELNS1_3repE0EEENS1_30default_config_static_selectorELNS0_4arch9wavefront6targetE1EEEvSO_
	.p2align	8
	.type	_ZN7rocprim17ROCPRIM_400000_NS6detail17trampoline_kernelINS0_14default_configENS1_29binary_search_config_selectorItbEEZNS1_14transform_implILb0ES3_S5_N6thrust23THRUST_200600_302600_NS17counting_iteratorItNS8_11use_defaultESA_SA_EEPbZNS1_13binary_searchIS3_S5_PtSB_SC_NS1_16binary_search_opENS8_6detail16wrapped_functionINS0_4lessIvEEbEEEE10hipError_tPvRmT1_T2_T3_mmT4_T5_P12ihipStream_tbEUlRKtE_EESL_SP_SQ_mSR_SU_bEUlT_E_NS1_11comp_targetILNS1_3genE9ELNS1_11target_archE1100ELNS1_3gpuE3ELNS1_3repE0EEENS1_30default_config_static_selectorELNS0_4arch9wavefront6targetE1EEEvSO_,@function
_ZN7rocprim17ROCPRIM_400000_NS6detail17trampoline_kernelINS0_14default_configENS1_29binary_search_config_selectorItbEEZNS1_14transform_implILb0ES3_S5_N6thrust23THRUST_200600_302600_NS17counting_iteratorItNS8_11use_defaultESA_SA_EEPbZNS1_13binary_searchIS3_S5_PtSB_SC_NS1_16binary_search_opENS8_6detail16wrapped_functionINS0_4lessIvEEbEEEE10hipError_tPvRmT1_T2_T3_mmT4_T5_P12ihipStream_tbEUlRKtE_EESL_SP_SQ_mSR_SU_bEUlT_E_NS1_11comp_targetILNS1_3genE9ELNS1_11target_archE1100ELNS1_3gpuE3ELNS1_3repE0EEENS1_30default_config_static_selectorELNS0_4arch9wavefront6targetE1EEEvSO_: ; @_ZN7rocprim17ROCPRIM_400000_NS6detail17trampoline_kernelINS0_14default_configENS1_29binary_search_config_selectorItbEEZNS1_14transform_implILb0ES3_S5_N6thrust23THRUST_200600_302600_NS17counting_iteratorItNS8_11use_defaultESA_SA_EEPbZNS1_13binary_searchIS3_S5_PtSB_SC_NS1_16binary_search_opENS8_6detail16wrapped_functionINS0_4lessIvEEbEEEE10hipError_tPvRmT1_T2_T3_mmT4_T5_P12ihipStream_tbEUlRKtE_EESL_SP_SQ_mSR_SU_bEUlT_E_NS1_11comp_targetILNS1_3genE9ELNS1_11target_archE1100ELNS1_3gpuE3ELNS1_3repE0EEENS1_30default_config_static_selectorELNS0_4arch9wavefront6targetE1EEEvSO_
; %bb.0:
	.section	.rodata,"a",@progbits
	.p2align	6, 0x0
	.amdhsa_kernel _ZN7rocprim17ROCPRIM_400000_NS6detail17trampoline_kernelINS0_14default_configENS1_29binary_search_config_selectorItbEEZNS1_14transform_implILb0ES3_S5_N6thrust23THRUST_200600_302600_NS17counting_iteratorItNS8_11use_defaultESA_SA_EEPbZNS1_13binary_searchIS3_S5_PtSB_SC_NS1_16binary_search_opENS8_6detail16wrapped_functionINS0_4lessIvEEbEEEE10hipError_tPvRmT1_T2_T3_mmT4_T5_P12ihipStream_tbEUlRKtE_EESL_SP_SQ_mSR_SU_bEUlT_E_NS1_11comp_targetILNS1_3genE9ELNS1_11target_archE1100ELNS1_3gpuE3ELNS1_3repE0EEENS1_30default_config_static_selectorELNS0_4arch9wavefront6targetE1EEEvSO_
		.amdhsa_group_segment_fixed_size 0
		.amdhsa_private_segment_fixed_size 0
		.amdhsa_kernarg_size 56
		.amdhsa_user_sgpr_count 6
		.amdhsa_user_sgpr_private_segment_buffer 1
		.amdhsa_user_sgpr_dispatch_ptr 0
		.amdhsa_user_sgpr_queue_ptr 0
		.amdhsa_user_sgpr_kernarg_segment_ptr 1
		.amdhsa_user_sgpr_dispatch_id 0
		.amdhsa_user_sgpr_flat_scratch_init 0
		.amdhsa_user_sgpr_kernarg_preload_length 0
		.amdhsa_user_sgpr_kernarg_preload_offset 0
		.amdhsa_user_sgpr_private_segment_size 0
		.amdhsa_uses_dynamic_stack 0
		.amdhsa_system_sgpr_private_segment_wavefront_offset 0
		.amdhsa_system_sgpr_workgroup_id_x 1
		.amdhsa_system_sgpr_workgroup_id_y 0
		.amdhsa_system_sgpr_workgroup_id_z 0
		.amdhsa_system_sgpr_workgroup_info 0
		.amdhsa_system_vgpr_workitem_id 0
		.amdhsa_next_free_vgpr 1
		.amdhsa_next_free_sgpr 0
		.amdhsa_accum_offset 4
		.amdhsa_reserve_vcc 0
		.amdhsa_reserve_flat_scratch 0
		.amdhsa_float_round_mode_32 0
		.amdhsa_float_round_mode_16_64 0
		.amdhsa_float_denorm_mode_32 3
		.amdhsa_float_denorm_mode_16_64 3
		.amdhsa_dx10_clamp 1
		.amdhsa_ieee_mode 1
		.amdhsa_fp16_overflow 0
		.amdhsa_tg_split 0
		.amdhsa_exception_fp_ieee_invalid_op 0
		.amdhsa_exception_fp_denorm_src 0
		.amdhsa_exception_fp_ieee_div_zero 0
		.amdhsa_exception_fp_ieee_overflow 0
		.amdhsa_exception_fp_ieee_underflow 0
		.amdhsa_exception_fp_ieee_inexact 0
		.amdhsa_exception_int_div_zero 0
	.end_amdhsa_kernel
	.section	.text._ZN7rocprim17ROCPRIM_400000_NS6detail17trampoline_kernelINS0_14default_configENS1_29binary_search_config_selectorItbEEZNS1_14transform_implILb0ES3_S5_N6thrust23THRUST_200600_302600_NS17counting_iteratorItNS8_11use_defaultESA_SA_EEPbZNS1_13binary_searchIS3_S5_PtSB_SC_NS1_16binary_search_opENS8_6detail16wrapped_functionINS0_4lessIvEEbEEEE10hipError_tPvRmT1_T2_T3_mmT4_T5_P12ihipStream_tbEUlRKtE_EESL_SP_SQ_mSR_SU_bEUlT_E_NS1_11comp_targetILNS1_3genE9ELNS1_11target_archE1100ELNS1_3gpuE3ELNS1_3repE0EEENS1_30default_config_static_selectorELNS0_4arch9wavefront6targetE1EEEvSO_,"axG",@progbits,_ZN7rocprim17ROCPRIM_400000_NS6detail17trampoline_kernelINS0_14default_configENS1_29binary_search_config_selectorItbEEZNS1_14transform_implILb0ES3_S5_N6thrust23THRUST_200600_302600_NS17counting_iteratorItNS8_11use_defaultESA_SA_EEPbZNS1_13binary_searchIS3_S5_PtSB_SC_NS1_16binary_search_opENS8_6detail16wrapped_functionINS0_4lessIvEEbEEEE10hipError_tPvRmT1_T2_T3_mmT4_T5_P12ihipStream_tbEUlRKtE_EESL_SP_SQ_mSR_SU_bEUlT_E_NS1_11comp_targetILNS1_3genE9ELNS1_11target_archE1100ELNS1_3gpuE3ELNS1_3repE0EEENS1_30default_config_static_selectorELNS0_4arch9wavefront6targetE1EEEvSO_,comdat
.Lfunc_end217:
	.size	_ZN7rocprim17ROCPRIM_400000_NS6detail17trampoline_kernelINS0_14default_configENS1_29binary_search_config_selectorItbEEZNS1_14transform_implILb0ES3_S5_N6thrust23THRUST_200600_302600_NS17counting_iteratorItNS8_11use_defaultESA_SA_EEPbZNS1_13binary_searchIS3_S5_PtSB_SC_NS1_16binary_search_opENS8_6detail16wrapped_functionINS0_4lessIvEEbEEEE10hipError_tPvRmT1_T2_T3_mmT4_T5_P12ihipStream_tbEUlRKtE_EESL_SP_SQ_mSR_SU_bEUlT_E_NS1_11comp_targetILNS1_3genE9ELNS1_11target_archE1100ELNS1_3gpuE3ELNS1_3repE0EEENS1_30default_config_static_selectorELNS0_4arch9wavefront6targetE1EEEvSO_, .Lfunc_end217-_ZN7rocprim17ROCPRIM_400000_NS6detail17trampoline_kernelINS0_14default_configENS1_29binary_search_config_selectorItbEEZNS1_14transform_implILb0ES3_S5_N6thrust23THRUST_200600_302600_NS17counting_iteratorItNS8_11use_defaultESA_SA_EEPbZNS1_13binary_searchIS3_S5_PtSB_SC_NS1_16binary_search_opENS8_6detail16wrapped_functionINS0_4lessIvEEbEEEE10hipError_tPvRmT1_T2_T3_mmT4_T5_P12ihipStream_tbEUlRKtE_EESL_SP_SQ_mSR_SU_bEUlT_E_NS1_11comp_targetILNS1_3genE9ELNS1_11target_archE1100ELNS1_3gpuE3ELNS1_3repE0EEENS1_30default_config_static_selectorELNS0_4arch9wavefront6targetE1EEEvSO_
                                        ; -- End function
	.section	.AMDGPU.csdata,"",@progbits
; Kernel info:
; codeLenInByte = 0
; NumSgprs: 4
; NumVgprs: 0
; NumAgprs: 0
; TotalNumVgprs: 0
; ScratchSize: 0
; MemoryBound: 0
; FloatMode: 240
; IeeeMode: 1
; LDSByteSize: 0 bytes/workgroup (compile time only)
; SGPRBlocks: 0
; VGPRBlocks: 0
; NumSGPRsForWavesPerEU: 4
; NumVGPRsForWavesPerEU: 1
; AccumOffset: 4
; Occupancy: 8
; WaveLimiterHint : 0
; COMPUTE_PGM_RSRC2:SCRATCH_EN: 0
; COMPUTE_PGM_RSRC2:USER_SGPR: 6
; COMPUTE_PGM_RSRC2:TRAP_HANDLER: 0
; COMPUTE_PGM_RSRC2:TGID_X_EN: 1
; COMPUTE_PGM_RSRC2:TGID_Y_EN: 0
; COMPUTE_PGM_RSRC2:TGID_Z_EN: 0
; COMPUTE_PGM_RSRC2:TIDIG_COMP_CNT: 0
; COMPUTE_PGM_RSRC3_GFX90A:ACCUM_OFFSET: 0
; COMPUTE_PGM_RSRC3_GFX90A:TG_SPLIT: 0
	.section	.text._ZN7rocprim17ROCPRIM_400000_NS6detail17trampoline_kernelINS0_14default_configENS1_29binary_search_config_selectorItbEEZNS1_14transform_implILb0ES3_S5_N6thrust23THRUST_200600_302600_NS17counting_iteratorItNS8_11use_defaultESA_SA_EEPbZNS1_13binary_searchIS3_S5_PtSB_SC_NS1_16binary_search_opENS8_6detail16wrapped_functionINS0_4lessIvEEbEEEE10hipError_tPvRmT1_T2_T3_mmT4_T5_P12ihipStream_tbEUlRKtE_EESL_SP_SQ_mSR_SU_bEUlT_E_NS1_11comp_targetILNS1_3genE8ELNS1_11target_archE1030ELNS1_3gpuE2ELNS1_3repE0EEENS1_30default_config_static_selectorELNS0_4arch9wavefront6targetE1EEEvSO_,"axG",@progbits,_ZN7rocprim17ROCPRIM_400000_NS6detail17trampoline_kernelINS0_14default_configENS1_29binary_search_config_selectorItbEEZNS1_14transform_implILb0ES3_S5_N6thrust23THRUST_200600_302600_NS17counting_iteratorItNS8_11use_defaultESA_SA_EEPbZNS1_13binary_searchIS3_S5_PtSB_SC_NS1_16binary_search_opENS8_6detail16wrapped_functionINS0_4lessIvEEbEEEE10hipError_tPvRmT1_T2_T3_mmT4_T5_P12ihipStream_tbEUlRKtE_EESL_SP_SQ_mSR_SU_bEUlT_E_NS1_11comp_targetILNS1_3genE8ELNS1_11target_archE1030ELNS1_3gpuE2ELNS1_3repE0EEENS1_30default_config_static_selectorELNS0_4arch9wavefront6targetE1EEEvSO_,comdat
	.protected	_ZN7rocprim17ROCPRIM_400000_NS6detail17trampoline_kernelINS0_14default_configENS1_29binary_search_config_selectorItbEEZNS1_14transform_implILb0ES3_S5_N6thrust23THRUST_200600_302600_NS17counting_iteratorItNS8_11use_defaultESA_SA_EEPbZNS1_13binary_searchIS3_S5_PtSB_SC_NS1_16binary_search_opENS8_6detail16wrapped_functionINS0_4lessIvEEbEEEE10hipError_tPvRmT1_T2_T3_mmT4_T5_P12ihipStream_tbEUlRKtE_EESL_SP_SQ_mSR_SU_bEUlT_E_NS1_11comp_targetILNS1_3genE8ELNS1_11target_archE1030ELNS1_3gpuE2ELNS1_3repE0EEENS1_30default_config_static_selectorELNS0_4arch9wavefront6targetE1EEEvSO_ ; -- Begin function _ZN7rocprim17ROCPRIM_400000_NS6detail17trampoline_kernelINS0_14default_configENS1_29binary_search_config_selectorItbEEZNS1_14transform_implILb0ES3_S5_N6thrust23THRUST_200600_302600_NS17counting_iteratorItNS8_11use_defaultESA_SA_EEPbZNS1_13binary_searchIS3_S5_PtSB_SC_NS1_16binary_search_opENS8_6detail16wrapped_functionINS0_4lessIvEEbEEEE10hipError_tPvRmT1_T2_T3_mmT4_T5_P12ihipStream_tbEUlRKtE_EESL_SP_SQ_mSR_SU_bEUlT_E_NS1_11comp_targetILNS1_3genE8ELNS1_11target_archE1030ELNS1_3gpuE2ELNS1_3repE0EEENS1_30default_config_static_selectorELNS0_4arch9wavefront6targetE1EEEvSO_
	.globl	_ZN7rocprim17ROCPRIM_400000_NS6detail17trampoline_kernelINS0_14default_configENS1_29binary_search_config_selectorItbEEZNS1_14transform_implILb0ES3_S5_N6thrust23THRUST_200600_302600_NS17counting_iteratorItNS8_11use_defaultESA_SA_EEPbZNS1_13binary_searchIS3_S5_PtSB_SC_NS1_16binary_search_opENS8_6detail16wrapped_functionINS0_4lessIvEEbEEEE10hipError_tPvRmT1_T2_T3_mmT4_T5_P12ihipStream_tbEUlRKtE_EESL_SP_SQ_mSR_SU_bEUlT_E_NS1_11comp_targetILNS1_3genE8ELNS1_11target_archE1030ELNS1_3gpuE2ELNS1_3repE0EEENS1_30default_config_static_selectorELNS0_4arch9wavefront6targetE1EEEvSO_
	.p2align	8
	.type	_ZN7rocprim17ROCPRIM_400000_NS6detail17trampoline_kernelINS0_14default_configENS1_29binary_search_config_selectorItbEEZNS1_14transform_implILb0ES3_S5_N6thrust23THRUST_200600_302600_NS17counting_iteratorItNS8_11use_defaultESA_SA_EEPbZNS1_13binary_searchIS3_S5_PtSB_SC_NS1_16binary_search_opENS8_6detail16wrapped_functionINS0_4lessIvEEbEEEE10hipError_tPvRmT1_T2_T3_mmT4_T5_P12ihipStream_tbEUlRKtE_EESL_SP_SQ_mSR_SU_bEUlT_E_NS1_11comp_targetILNS1_3genE8ELNS1_11target_archE1030ELNS1_3gpuE2ELNS1_3repE0EEENS1_30default_config_static_selectorELNS0_4arch9wavefront6targetE1EEEvSO_,@function
_ZN7rocprim17ROCPRIM_400000_NS6detail17trampoline_kernelINS0_14default_configENS1_29binary_search_config_selectorItbEEZNS1_14transform_implILb0ES3_S5_N6thrust23THRUST_200600_302600_NS17counting_iteratorItNS8_11use_defaultESA_SA_EEPbZNS1_13binary_searchIS3_S5_PtSB_SC_NS1_16binary_search_opENS8_6detail16wrapped_functionINS0_4lessIvEEbEEEE10hipError_tPvRmT1_T2_T3_mmT4_T5_P12ihipStream_tbEUlRKtE_EESL_SP_SQ_mSR_SU_bEUlT_E_NS1_11comp_targetILNS1_3genE8ELNS1_11target_archE1030ELNS1_3gpuE2ELNS1_3repE0EEENS1_30default_config_static_selectorELNS0_4arch9wavefront6targetE1EEEvSO_: ; @_ZN7rocprim17ROCPRIM_400000_NS6detail17trampoline_kernelINS0_14default_configENS1_29binary_search_config_selectorItbEEZNS1_14transform_implILb0ES3_S5_N6thrust23THRUST_200600_302600_NS17counting_iteratorItNS8_11use_defaultESA_SA_EEPbZNS1_13binary_searchIS3_S5_PtSB_SC_NS1_16binary_search_opENS8_6detail16wrapped_functionINS0_4lessIvEEbEEEE10hipError_tPvRmT1_T2_T3_mmT4_T5_P12ihipStream_tbEUlRKtE_EESL_SP_SQ_mSR_SU_bEUlT_E_NS1_11comp_targetILNS1_3genE8ELNS1_11target_archE1030ELNS1_3gpuE2ELNS1_3repE0EEENS1_30default_config_static_selectorELNS0_4arch9wavefront6targetE1EEEvSO_
; %bb.0:
	.section	.rodata,"a",@progbits
	.p2align	6, 0x0
	.amdhsa_kernel _ZN7rocprim17ROCPRIM_400000_NS6detail17trampoline_kernelINS0_14default_configENS1_29binary_search_config_selectorItbEEZNS1_14transform_implILb0ES3_S5_N6thrust23THRUST_200600_302600_NS17counting_iteratorItNS8_11use_defaultESA_SA_EEPbZNS1_13binary_searchIS3_S5_PtSB_SC_NS1_16binary_search_opENS8_6detail16wrapped_functionINS0_4lessIvEEbEEEE10hipError_tPvRmT1_T2_T3_mmT4_T5_P12ihipStream_tbEUlRKtE_EESL_SP_SQ_mSR_SU_bEUlT_E_NS1_11comp_targetILNS1_3genE8ELNS1_11target_archE1030ELNS1_3gpuE2ELNS1_3repE0EEENS1_30default_config_static_selectorELNS0_4arch9wavefront6targetE1EEEvSO_
		.amdhsa_group_segment_fixed_size 0
		.amdhsa_private_segment_fixed_size 0
		.amdhsa_kernarg_size 56
		.amdhsa_user_sgpr_count 6
		.amdhsa_user_sgpr_private_segment_buffer 1
		.amdhsa_user_sgpr_dispatch_ptr 0
		.amdhsa_user_sgpr_queue_ptr 0
		.amdhsa_user_sgpr_kernarg_segment_ptr 1
		.amdhsa_user_sgpr_dispatch_id 0
		.amdhsa_user_sgpr_flat_scratch_init 0
		.amdhsa_user_sgpr_kernarg_preload_length 0
		.amdhsa_user_sgpr_kernarg_preload_offset 0
		.amdhsa_user_sgpr_private_segment_size 0
		.amdhsa_uses_dynamic_stack 0
		.amdhsa_system_sgpr_private_segment_wavefront_offset 0
		.amdhsa_system_sgpr_workgroup_id_x 1
		.amdhsa_system_sgpr_workgroup_id_y 0
		.amdhsa_system_sgpr_workgroup_id_z 0
		.amdhsa_system_sgpr_workgroup_info 0
		.amdhsa_system_vgpr_workitem_id 0
		.amdhsa_next_free_vgpr 1
		.amdhsa_next_free_sgpr 0
		.amdhsa_accum_offset 4
		.amdhsa_reserve_vcc 0
		.amdhsa_reserve_flat_scratch 0
		.amdhsa_float_round_mode_32 0
		.amdhsa_float_round_mode_16_64 0
		.amdhsa_float_denorm_mode_32 3
		.amdhsa_float_denorm_mode_16_64 3
		.amdhsa_dx10_clamp 1
		.amdhsa_ieee_mode 1
		.amdhsa_fp16_overflow 0
		.amdhsa_tg_split 0
		.amdhsa_exception_fp_ieee_invalid_op 0
		.amdhsa_exception_fp_denorm_src 0
		.amdhsa_exception_fp_ieee_div_zero 0
		.amdhsa_exception_fp_ieee_overflow 0
		.amdhsa_exception_fp_ieee_underflow 0
		.amdhsa_exception_fp_ieee_inexact 0
		.amdhsa_exception_int_div_zero 0
	.end_amdhsa_kernel
	.section	.text._ZN7rocprim17ROCPRIM_400000_NS6detail17trampoline_kernelINS0_14default_configENS1_29binary_search_config_selectorItbEEZNS1_14transform_implILb0ES3_S5_N6thrust23THRUST_200600_302600_NS17counting_iteratorItNS8_11use_defaultESA_SA_EEPbZNS1_13binary_searchIS3_S5_PtSB_SC_NS1_16binary_search_opENS8_6detail16wrapped_functionINS0_4lessIvEEbEEEE10hipError_tPvRmT1_T2_T3_mmT4_T5_P12ihipStream_tbEUlRKtE_EESL_SP_SQ_mSR_SU_bEUlT_E_NS1_11comp_targetILNS1_3genE8ELNS1_11target_archE1030ELNS1_3gpuE2ELNS1_3repE0EEENS1_30default_config_static_selectorELNS0_4arch9wavefront6targetE1EEEvSO_,"axG",@progbits,_ZN7rocprim17ROCPRIM_400000_NS6detail17trampoline_kernelINS0_14default_configENS1_29binary_search_config_selectorItbEEZNS1_14transform_implILb0ES3_S5_N6thrust23THRUST_200600_302600_NS17counting_iteratorItNS8_11use_defaultESA_SA_EEPbZNS1_13binary_searchIS3_S5_PtSB_SC_NS1_16binary_search_opENS8_6detail16wrapped_functionINS0_4lessIvEEbEEEE10hipError_tPvRmT1_T2_T3_mmT4_T5_P12ihipStream_tbEUlRKtE_EESL_SP_SQ_mSR_SU_bEUlT_E_NS1_11comp_targetILNS1_3genE8ELNS1_11target_archE1030ELNS1_3gpuE2ELNS1_3repE0EEENS1_30default_config_static_selectorELNS0_4arch9wavefront6targetE1EEEvSO_,comdat
.Lfunc_end218:
	.size	_ZN7rocprim17ROCPRIM_400000_NS6detail17trampoline_kernelINS0_14default_configENS1_29binary_search_config_selectorItbEEZNS1_14transform_implILb0ES3_S5_N6thrust23THRUST_200600_302600_NS17counting_iteratorItNS8_11use_defaultESA_SA_EEPbZNS1_13binary_searchIS3_S5_PtSB_SC_NS1_16binary_search_opENS8_6detail16wrapped_functionINS0_4lessIvEEbEEEE10hipError_tPvRmT1_T2_T3_mmT4_T5_P12ihipStream_tbEUlRKtE_EESL_SP_SQ_mSR_SU_bEUlT_E_NS1_11comp_targetILNS1_3genE8ELNS1_11target_archE1030ELNS1_3gpuE2ELNS1_3repE0EEENS1_30default_config_static_selectorELNS0_4arch9wavefront6targetE1EEEvSO_, .Lfunc_end218-_ZN7rocprim17ROCPRIM_400000_NS6detail17trampoline_kernelINS0_14default_configENS1_29binary_search_config_selectorItbEEZNS1_14transform_implILb0ES3_S5_N6thrust23THRUST_200600_302600_NS17counting_iteratorItNS8_11use_defaultESA_SA_EEPbZNS1_13binary_searchIS3_S5_PtSB_SC_NS1_16binary_search_opENS8_6detail16wrapped_functionINS0_4lessIvEEbEEEE10hipError_tPvRmT1_T2_T3_mmT4_T5_P12ihipStream_tbEUlRKtE_EESL_SP_SQ_mSR_SU_bEUlT_E_NS1_11comp_targetILNS1_3genE8ELNS1_11target_archE1030ELNS1_3gpuE2ELNS1_3repE0EEENS1_30default_config_static_selectorELNS0_4arch9wavefront6targetE1EEEvSO_
                                        ; -- End function
	.section	.AMDGPU.csdata,"",@progbits
; Kernel info:
; codeLenInByte = 0
; NumSgprs: 4
; NumVgprs: 0
; NumAgprs: 0
; TotalNumVgprs: 0
; ScratchSize: 0
; MemoryBound: 0
; FloatMode: 240
; IeeeMode: 1
; LDSByteSize: 0 bytes/workgroup (compile time only)
; SGPRBlocks: 0
; VGPRBlocks: 0
; NumSGPRsForWavesPerEU: 4
; NumVGPRsForWavesPerEU: 1
; AccumOffset: 4
; Occupancy: 8
; WaveLimiterHint : 0
; COMPUTE_PGM_RSRC2:SCRATCH_EN: 0
; COMPUTE_PGM_RSRC2:USER_SGPR: 6
; COMPUTE_PGM_RSRC2:TRAP_HANDLER: 0
; COMPUTE_PGM_RSRC2:TGID_X_EN: 1
; COMPUTE_PGM_RSRC2:TGID_Y_EN: 0
; COMPUTE_PGM_RSRC2:TGID_Z_EN: 0
; COMPUTE_PGM_RSRC2:TIDIG_COMP_CNT: 0
; COMPUTE_PGM_RSRC3_GFX90A:ACCUM_OFFSET: 0
; COMPUTE_PGM_RSRC3_GFX90A:TG_SPLIT: 0
	.section	.text._Z20binary_search_kernelIxEvmPT_Pb,"axG",@progbits,_Z20binary_search_kernelIxEvmPT_Pb,comdat
	.protected	_Z20binary_search_kernelIxEvmPT_Pb ; -- Begin function _Z20binary_search_kernelIxEvmPT_Pb
	.globl	_Z20binary_search_kernelIxEvmPT_Pb
	.p2align	8
	.type	_Z20binary_search_kernelIxEvmPT_Pb,@function
_Z20binary_search_kernelIxEvmPT_Pb:     ; @_Z20binary_search_kernelIxEvmPT_Pb
; %bb.0:
	s_load_dwordx4 s[8:11], s[4:5], 0x0
	s_load_dwordx2 s[2:3], s[4:5], 0x10
	s_waitcnt lgkmcnt(0)
	s_lshl_b64 s[0:1], s[8:9], 3
	s_ashr_i64 s[4:5], s[0:1], 3
	v_cmp_lt_i64_e64 s[6:7], s[4:5], 1
	s_mov_b64 s[0:1], 0
	s_and_b64 vcc, exec, s[6:7]
	s_cbranch_vccnz .LBB219_3
; %bb.1:
	s_mov_b64 s[6:7], s[4:5]
.LBB219_2:                              ; =>This Inner Loop Header: Depth=1
	s_sub_u32 s12, s6, s0
	s_subb_u32 s13, s7, s1
	s_lshr_b32 s14, s13, 31
	s_add_u32 s12, s12, s14
	s_addc_u32 s13, s13, 0
	s_ashr_i64 s[12:13], s[12:13], 1
	s_add_u32 s12, s12, s0
	s_addc_u32 s13, s13, s1
	s_lshl_b64 s[14:15], s[12:13], 3
	s_add_u32 s14, s10, s14
	s_addc_u32 s15, s11, s15
	s_load_dwordx2 s[14:15], s[14:15], 0x0
	s_add_u32 s16, s12, 1
	s_addc_u32 s17, s13, 0
	s_waitcnt lgkmcnt(0)
	v_cmp_lt_i64_e64 s[14:15], s[14:15], 0
	s_and_b64 s[14:15], s[14:15], exec
	s_cselect_b32 s7, s7, s13
	s_cselect_b32 s6, s6, s12
	;; [unrolled: 1-line block ×4, first 2 shown]
	v_pk_mov_b32 v[0:1], s[6:7], s[6:7] op_sel:[0,1]
	v_cmp_lt_i64_e32 vcc, s[0:1], v[0:1]
	s_cbranch_vccnz .LBB219_2
.LBB219_3:
	v_cmp_gt_i64_e64 s[12:13], s[4:5], 0
	s_mov_b64 s[6:7], 0
	s_cmp_eq_u64 s[0:1], s[8:9]
	s_mov_b64 s[14:15], 0
	s_cbranch_scc1 .LBB219_5
; %bb.4:
	s_lshl_b64 s[0:1], s[0:1], 3
	s_add_u32 s0, s10, s0
	s_addc_u32 s1, s11, s1
	s_load_dwordx2 s[0:1], s[0:1], 0x0
	s_waitcnt lgkmcnt(0)
	v_cmp_lt_i64_e64 s[14:15], s[0:1], 1
.LBB219_5:
	v_cndmask_b32_e64 v2, 0, 1, s[12:13]
	v_mov_b32_e32 v0, 0
	v_cndmask_b32_e64 v1, 0, 1, s[14:15]
	v_cmp_ne_u32_e64 s[0:1], 1, v2
	s_andn2_b64 vcc, exec, s[12:13]
	global_store_byte v0, v1, s[2:3]
	s_cbranch_vccnz .LBB219_8
; %bb.6:
	s_mov_b64 s[12:13], s[4:5]
.LBB219_7:                              ; =>This Inner Loop Header: Depth=1
	s_sub_u32 s14, s12, s6
	s_subb_u32 s15, s13, s7
	s_lshr_b32 s16, s15, 31
	s_add_u32 s14, s14, s16
	s_addc_u32 s15, s15, 0
	s_ashr_i64 s[14:15], s[14:15], 1
	s_add_u32 s14, s14, s6
	s_addc_u32 s15, s15, s7
	s_lshl_b64 s[16:17], s[14:15], 3
	s_add_u32 s16, s10, s16
	s_addc_u32 s17, s11, s17
	s_load_dwordx2 s[16:17], s[16:17], 0x0
	s_add_u32 s18, s14, 1
	s_addc_u32 s19, s15, 0
	s_waitcnt lgkmcnt(0)
	v_cmp_lt_i64_e64 s[16:17], s[16:17], 1
	s_and_b64 s[16:17], s[16:17], exec
	s_cselect_b32 s13, s13, s15
	s_cselect_b32 s12, s12, s14
	;; [unrolled: 1-line block ×4, first 2 shown]
	v_pk_mov_b32 v[0:1], s[12:13], s[12:13] op_sel:[0,1]
	v_cmp_lt_i64_e32 vcc, s[6:7], v[0:1]
	s_cbranch_vccnz .LBB219_7
.LBB219_8:
	s_mov_b64 s[12:13], 0
	s_cmp_eq_u64 s[6:7], s[8:9]
	s_mov_b64 s[14:15], 0
	s_cbranch_scc1 .LBB219_10
; %bb.9:
	s_lshl_b64 s[6:7], s[6:7], 3
	s_add_u32 s6, s10, s6
	s_addc_u32 s7, s11, s7
	s_load_dwordx2 s[6:7], s[6:7], 0x0
	s_waitcnt lgkmcnt(0)
	v_cmp_lt_i64_e64 s[14:15], s[6:7], 2
.LBB219_10:
	v_cndmask_b32_e64 v0, 0, 1, s[14:15]
	v_mov_b32_e32 v1, 0
	s_and_b64 vcc, exec, s[0:1]
	global_store_byte v1, v0, s[2:3] offset:1
	s_cbranch_vccnz .LBB219_13
; %bb.11:
	s_mov_b64 s[6:7], s[4:5]
.LBB219_12:                             ; =>This Inner Loop Header: Depth=1
	s_sub_u32 s14, s6, s12
	s_subb_u32 s15, s7, s13
	s_lshr_b32 s16, s15, 31
	s_add_u32 s14, s14, s16
	s_addc_u32 s15, s15, 0
	s_ashr_i64 s[14:15], s[14:15], 1
	s_add_u32 s14, s14, s12
	s_addc_u32 s15, s15, s13
	s_lshl_b64 s[16:17], s[14:15], 3
	s_add_u32 s16, s10, s16
	s_addc_u32 s17, s11, s17
	s_load_dwordx2 s[16:17], s[16:17], 0x0
	s_add_u32 s18, s14, 1
	s_addc_u32 s19, s15, 0
	s_waitcnt lgkmcnt(0)
	v_cmp_lt_i64_e64 s[16:17], s[16:17], 2
	s_and_b64 s[16:17], s[16:17], exec
	s_cselect_b32 s7, s7, s15
	s_cselect_b32 s6, s6, s14
	s_cselect_b32 s13, s19, s13
	s_cselect_b32 s12, s18, s12
	v_pk_mov_b32 v[0:1], s[6:7], s[6:7] op_sel:[0,1]
	v_cmp_lt_i64_e32 vcc, s[12:13], v[0:1]
	s_cbranch_vccnz .LBB219_12
.LBB219_13:
	s_mov_b64 s[6:7], 0
	s_cmp_eq_u64 s[12:13], s[8:9]
	s_mov_b64 s[14:15], 0
	s_cbranch_scc1 .LBB219_15
; %bb.14:
	s_lshl_b64 s[12:13], s[12:13], 3
	s_add_u32 s12, s10, s12
	s_addc_u32 s13, s11, s13
	s_load_dwordx2 s[12:13], s[12:13], 0x0
	s_waitcnt lgkmcnt(0)
	v_cmp_lt_i64_e64 s[14:15], s[12:13], 3
.LBB219_15:
	v_cndmask_b32_e64 v0, 0, 1, s[14:15]
	v_mov_b32_e32 v1, 0
	s_and_b64 vcc, exec, s[0:1]
	global_store_byte v1, v0, s[2:3] offset:2
	s_cbranch_vccnz .LBB219_18
; %bb.16:
	s_mov_b64 s[12:13], s[4:5]
.LBB219_17:                             ; =>This Inner Loop Header: Depth=1
	s_sub_u32 s14, s12, s6
	s_subb_u32 s15, s13, s7
	s_lshr_b32 s16, s15, 31
	s_add_u32 s14, s14, s16
	s_addc_u32 s15, s15, 0
	s_ashr_i64 s[14:15], s[14:15], 1
	s_add_u32 s14, s14, s6
	s_addc_u32 s15, s15, s7
	s_lshl_b64 s[16:17], s[14:15], 3
	s_add_u32 s16, s10, s16
	s_addc_u32 s17, s11, s17
	s_load_dwordx2 s[16:17], s[16:17], 0x0
	s_add_u32 s18, s14, 1
	s_addc_u32 s19, s15, 0
	s_waitcnt lgkmcnt(0)
	v_cmp_lt_i64_e64 s[16:17], s[16:17], 3
	s_and_b64 s[16:17], s[16:17], exec
	s_cselect_b32 s13, s13, s15
	s_cselect_b32 s12, s12, s14
	s_cselect_b32 s7, s19, s7
	s_cselect_b32 s6, s18, s6
	v_pk_mov_b32 v[0:1], s[12:13], s[12:13] op_sel:[0,1]
	v_cmp_lt_i64_e32 vcc, s[6:7], v[0:1]
	s_cbranch_vccnz .LBB219_17
.LBB219_18:
	;; [unrolled: 45-line block ×7, first 2 shown]
	s_mov_b64 s[6:7], 0
	s_cmp_eq_u64 s[12:13], s[8:9]
	s_mov_b64 s[14:15], 0
	s_cbranch_scc1 .LBB219_45
; %bb.44:
	s_lshl_b64 s[12:13], s[12:13], 3
	s_add_u32 s12, s10, s12
	s_addc_u32 s13, s11, s13
	s_load_dwordx2 s[12:13], s[12:13], 0x0
	s_waitcnt lgkmcnt(0)
	v_cmp_lt_i64_e64 s[14:15], s[12:13], 9
.LBB219_45:
	v_cndmask_b32_e64 v0, 0, 1, s[14:15]
	v_mov_b32_e32 v1, 0
	s_and_b64 vcc, exec, s[0:1]
	global_store_byte v1, v0, s[2:3] offset:8
	s_cbranch_vccnz .LBB219_47
.LBB219_46:                             ; =>This Inner Loop Header: Depth=1
	s_sub_u32 s0, s4, s6
	s_subb_u32 s1, s5, s7
	s_lshr_b32 s12, s1, 31
	s_add_u32 s0, s0, s12
	s_addc_u32 s1, s1, 0
	s_ashr_i64 s[0:1], s[0:1], 1
	s_add_u32 s0, s0, s6
	s_addc_u32 s1, s1, s7
	s_lshl_b64 s[12:13], s[0:1], 3
	s_add_u32 s12, s10, s12
	s_addc_u32 s13, s11, s13
	s_load_dwordx2 s[12:13], s[12:13], 0x0
	s_add_u32 s14, s0, 1
	s_addc_u32 s15, s1, 0
	s_waitcnt lgkmcnt(0)
	v_cmp_lt_i64_e64 s[12:13], s[12:13], 9
	s_and_b64 s[12:13], s[12:13], exec
	s_cselect_b32 s5, s5, s1
	s_cselect_b32 s4, s4, s0
	;; [unrolled: 1-line block ×4, first 2 shown]
	v_pk_mov_b32 v[0:1], s[4:5], s[4:5] op_sel:[0,1]
	v_cmp_lt_i64_e32 vcc, s[6:7], v[0:1]
	s_cbranch_vccnz .LBB219_46
.LBB219_47:
	s_cmp_eq_u64 s[6:7], s[8:9]
	s_mov_b64 s[0:1], 0
	s_cbranch_scc1 .LBB219_49
; %bb.48:
	s_lshl_b64 s[0:1], s[6:7], 3
	s_add_u32 s0, s10, s0
	s_addc_u32 s1, s11, s1
	s_load_dwordx2 s[0:1], s[0:1], 0x0
	s_waitcnt lgkmcnt(0)
	v_cmp_lt_i64_e64 s[0:1], s[0:1], 10
.LBB219_49:
	v_mov_b32_e32 v0, 0
	v_cndmask_b32_e64 v1, 0, 1, s[0:1]
	global_store_byte v0, v1, s[2:3] offset:9
	s_endpgm
	.section	.rodata,"a",@progbits
	.p2align	6, 0x0
	.amdhsa_kernel _Z20binary_search_kernelIxEvmPT_Pb
		.amdhsa_group_segment_fixed_size 0
		.amdhsa_private_segment_fixed_size 0
		.amdhsa_kernarg_size 24
		.amdhsa_user_sgpr_count 6
		.amdhsa_user_sgpr_private_segment_buffer 1
		.amdhsa_user_sgpr_dispatch_ptr 0
		.amdhsa_user_sgpr_queue_ptr 0
		.amdhsa_user_sgpr_kernarg_segment_ptr 1
		.amdhsa_user_sgpr_dispatch_id 0
		.amdhsa_user_sgpr_flat_scratch_init 0
		.amdhsa_user_sgpr_kernarg_preload_length 0
		.amdhsa_user_sgpr_kernarg_preload_offset 0
		.amdhsa_user_sgpr_private_segment_size 0
		.amdhsa_uses_dynamic_stack 0
		.amdhsa_system_sgpr_private_segment_wavefront_offset 0
		.amdhsa_system_sgpr_workgroup_id_x 1
		.amdhsa_system_sgpr_workgroup_id_y 0
		.amdhsa_system_sgpr_workgroup_id_z 0
		.amdhsa_system_sgpr_workgroup_info 0
		.amdhsa_system_vgpr_workitem_id 0
		.amdhsa_next_free_vgpr 3
		.amdhsa_next_free_sgpr 20
		.amdhsa_accum_offset 4
		.amdhsa_reserve_vcc 1
		.amdhsa_reserve_flat_scratch 0
		.amdhsa_float_round_mode_32 0
		.amdhsa_float_round_mode_16_64 0
		.amdhsa_float_denorm_mode_32 3
		.amdhsa_float_denorm_mode_16_64 3
		.amdhsa_dx10_clamp 1
		.amdhsa_ieee_mode 1
		.amdhsa_fp16_overflow 0
		.amdhsa_tg_split 0
		.amdhsa_exception_fp_ieee_invalid_op 0
		.amdhsa_exception_fp_denorm_src 0
		.amdhsa_exception_fp_ieee_div_zero 0
		.amdhsa_exception_fp_ieee_overflow 0
		.amdhsa_exception_fp_ieee_underflow 0
		.amdhsa_exception_fp_ieee_inexact 0
		.amdhsa_exception_int_div_zero 0
	.end_amdhsa_kernel
	.section	.text._Z20binary_search_kernelIxEvmPT_Pb,"axG",@progbits,_Z20binary_search_kernelIxEvmPT_Pb,comdat
.Lfunc_end219:
	.size	_Z20binary_search_kernelIxEvmPT_Pb, .Lfunc_end219-_Z20binary_search_kernelIxEvmPT_Pb
                                        ; -- End function
	.section	.AMDGPU.csdata,"",@progbits
; Kernel info:
; codeLenInByte = 1940
; NumSgprs: 24
; NumVgprs: 3
; NumAgprs: 0
; TotalNumVgprs: 3
; ScratchSize: 0
; MemoryBound: 0
; FloatMode: 240
; IeeeMode: 1
; LDSByteSize: 0 bytes/workgroup (compile time only)
; SGPRBlocks: 2
; VGPRBlocks: 0
; NumSGPRsForWavesPerEU: 24
; NumVGPRsForWavesPerEU: 3
; AccumOffset: 4
; Occupancy: 8
; WaveLimiterHint : 0
; COMPUTE_PGM_RSRC2:SCRATCH_EN: 0
; COMPUTE_PGM_RSRC2:USER_SGPR: 6
; COMPUTE_PGM_RSRC2:TRAP_HANDLER: 0
; COMPUTE_PGM_RSRC2:TGID_X_EN: 1
; COMPUTE_PGM_RSRC2:TGID_Y_EN: 0
; COMPUTE_PGM_RSRC2:TGID_Z_EN: 0
; COMPUTE_PGM_RSRC2:TIDIG_COMP_CNT: 0
; COMPUTE_PGM_RSRC3_GFX90A:ACCUM_OFFSET: 0
; COMPUTE_PGM_RSRC3_GFX90A:TG_SPLIT: 0
	.section	.text._ZN7rocprim17ROCPRIM_400000_NS6detail17trampoline_kernelINS0_14default_configENS1_29binary_search_config_selectorIxbEEZNS1_14transform_implILb0ES3_S5_N6thrust23THRUST_200600_302600_NS17counting_iteratorIxNS8_11use_defaultESA_SA_EEPbZNS1_13binary_searchIS3_S5_PxSB_SC_NS1_16binary_search_opENS8_6detail16wrapped_functionINS0_4lessIvEEbEEEE10hipError_tPvRmT1_T2_T3_mmT4_T5_P12ihipStream_tbEUlRKxE_EESL_SP_SQ_mSR_SU_bEUlT_E_NS1_11comp_targetILNS1_3genE0ELNS1_11target_archE4294967295ELNS1_3gpuE0ELNS1_3repE0EEENS1_30default_config_static_selectorELNS0_4arch9wavefront6targetE1EEEvSO_,"axG",@progbits,_ZN7rocprim17ROCPRIM_400000_NS6detail17trampoline_kernelINS0_14default_configENS1_29binary_search_config_selectorIxbEEZNS1_14transform_implILb0ES3_S5_N6thrust23THRUST_200600_302600_NS17counting_iteratorIxNS8_11use_defaultESA_SA_EEPbZNS1_13binary_searchIS3_S5_PxSB_SC_NS1_16binary_search_opENS8_6detail16wrapped_functionINS0_4lessIvEEbEEEE10hipError_tPvRmT1_T2_T3_mmT4_T5_P12ihipStream_tbEUlRKxE_EESL_SP_SQ_mSR_SU_bEUlT_E_NS1_11comp_targetILNS1_3genE0ELNS1_11target_archE4294967295ELNS1_3gpuE0ELNS1_3repE0EEENS1_30default_config_static_selectorELNS0_4arch9wavefront6targetE1EEEvSO_,comdat
	.protected	_ZN7rocprim17ROCPRIM_400000_NS6detail17trampoline_kernelINS0_14default_configENS1_29binary_search_config_selectorIxbEEZNS1_14transform_implILb0ES3_S5_N6thrust23THRUST_200600_302600_NS17counting_iteratorIxNS8_11use_defaultESA_SA_EEPbZNS1_13binary_searchIS3_S5_PxSB_SC_NS1_16binary_search_opENS8_6detail16wrapped_functionINS0_4lessIvEEbEEEE10hipError_tPvRmT1_T2_T3_mmT4_T5_P12ihipStream_tbEUlRKxE_EESL_SP_SQ_mSR_SU_bEUlT_E_NS1_11comp_targetILNS1_3genE0ELNS1_11target_archE4294967295ELNS1_3gpuE0ELNS1_3repE0EEENS1_30default_config_static_selectorELNS0_4arch9wavefront6targetE1EEEvSO_ ; -- Begin function _ZN7rocprim17ROCPRIM_400000_NS6detail17trampoline_kernelINS0_14default_configENS1_29binary_search_config_selectorIxbEEZNS1_14transform_implILb0ES3_S5_N6thrust23THRUST_200600_302600_NS17counting_iteratorIxNS8_11use_defaultESA_SA_EEPbZNS1_13binary_searchIS3_S5_PxSB_SC_NS1_16binary_search_opENS8_6detail16wrapped_functionINS0_4lessIvEEbEEEE10hipError_tPvRmT1_T2_T3_mmT4_T5_P12ihipStream_tbEUlRKxE_EESL_SP_SQ_mSR_SU_bEUlT_E_NS1_11comp_targetILNS1_3genE0ELNS1_11target_archE4294967295ELNS1_3gpuE0ELNS1_3repE0EEENS1_30default_config_static_selectorELNS0_4arch9wavefront6targetE1EEEvSO_
	.globl	_ZN7rocprim17ROCPRIM_400000_NS6detail17trampoline_kernelINS0_14default_configENS1_29binary_search_config_selectorIxbEEZNS1_14transform_implILb0ES3_S5_N6thrust23THRUST_200600_302600_NS17counting_iteratorIxNS8_11use_defaultESA_SA_EEPbZNS1_13binary_searchIS3_S5_PxSB_SC_NS1_16binary_search_opENS8_6detail16wrapped_functionINS0_4lessIvEEbEEEE10hipError_tPvRmT1_T2_T3_mmT4_T5_P12ihipStream_tbEUlRKxE_EESL_SP_SQ_mSR_SU_bEUlT_E_NS1_11comp_targetILNS1_3genE0ELNS1_11target_archE4294967295ELNS1_3gpuE0ELNS1_3repE0EEENS1_30default_config_static_selectorELNS0_4arch9wavefront6targetE1EEEvSO_
	.p2align	8
	.type	_ZN7rocprim17ROCPRIM_400000_NS6detail17trampoline_kernelINS0_14default_configENS1_29binary_search_config_selectorIxbEEZNS1_14transform_implILb0ES3_S5_N6thrust23THRUST_200600_302600_NS17counting_iteratorIxNS8_11use_defaultESA_SA_EEPbZNS1_13binary_searchIS3_S5_PxSB_SC_NS1_16binary_search_opENS8_6detail16wrapped_functionINS0_4lessIvEEbEEEE10hipError_tPvRmT1_T2_T3_mmT4_T5_P12ihipStream_tbEUlRKxE_EESL_SP_SQ_mSR_SU_bEUlT_E_NS1_11comp_targetILNS1_3genE0ELNS1_11target_archE4294967295ELNS1_3gpuE0ELNS1_3repE0EEENS1_30default_config_static_selectorELNS0_4arch9wavefront6targetE1EEEvSO_,@function
_ZN7rocprim17ROCPRIM_400000_NS6detail17trampoline_kernelINS0_14default_configENS1_29binary_search_config_selectorIxbEEZNS1_14transform_implILb0ES3_S5_N6thrust23THRUST_200600_302600_NS17counting_iteratorIxNS8_11use_defaultESA_SA_EEPbZNS1_13binary_searchIS3_S5_PxSB_SC_NS1_16binary_search_opENS8_6detail16wrapped_functionINS0_4lessIvEEbEEEE10hipError_tPvRmT1_T2_T3_mmT4_T5_P12ihipStream_tbEUlRKxE_EESL_SP_SQ_mSR_SU_bEUlT_E_NS1_11comp_targetILNS1_3genE0ELNS1_11target_archE4294967295ELNS1_3gpuE0ELNS1_3repE0EEENS1_30default_config_static_selectorELNS0_4arch9wavefront6targetE1EEEvSO_: ; @_ZN7rocprim17ROCPRIM_400000_NS6detail17trampoline_kernelINS0_14default_configENS1_29binary_search_config_selectorIxbEEZNS1_14transform_implILb0ES3_S5_N6thrust23THRUST_200600_302600_NS17counting_iteratorIxNS8_11use_defaultESA_SA_EEPbZNS1_13binary_searchIS3_S5_PxSB_SC_NS1_16binary_search_opENS8_6detail16wrapped_functionINS0_4lessIvEEbEEEE10hipError_tPvRmT1_T2_T3_mmT4_T5_P12ihipStream_tbEUlRKxE_EESL_SP_SQ_mSR_SU_bEUlT_E_NS1_11comp_targetILNS1_3genE0ELNS1_11target_archE4294967295ELNS1_3gpuE0ELNS1_3repE0EEENS1_30default_config_static_selectorELNS0_4arch9wavefront6targetE1EEEvSO_
; %bb.0:
	.section	.rodata,"a",@progbits
	.p2align	6, 0x0
	.amdhsa_kernel _ZN7rocprim17ROCPRIM_400000_NS6detail17trampoline_kernelINS0_14default_configENS1_29binary_search_config_selectorIxbEEZNS1_14transform_implILb0ES3_S5_N6thrust23THRUST_200600_302600_NS17counting_iteratorIxNS8_11use_defaultESA_SA_EEPbZNS1_13binary_searchIS3_S5_PxSB_SC_NS1_16binary_search_opENS8_6detail16wrapped_functionINS0_4lessIvEEbEEEE10hipError_tPvRmT1_T2_T3_mmT4_T5_P12ihipStream_tbEUlRKxE_EESL_SP_SQ_mSR_SU_bEUlT_E_NS1_11comp_targetILNS1_3genE0ELNS1_11target_archE4294967295ELNS1_3gpuE0ELNS1_3repE0EEENS1_30default_config_static_selectorELNS0_4arch9wavefront6targetE1EEEvSO_
		.amdhsa_group_segment_fixed_size 0
		.amdhsa_private_segment_fixed_size 0
		.amdhsa_kernarg_size 56
		.amdhsa_user_sgpr_count 6
		.amdhsa_user_sgpr_private_segment_buffer 1
		.amdhsa_user_sgpr_dispatch_ptr 0
		.amdhsa_user_sgpr_queue_ptr 0
		.amdhsa_user_sgpr_kernarg_segment_ptr 1
		.amdhsa_user_sgpr_dispatch_id 0
		.amdhsa_user_sgpr_flat_scratch_init 0
		.amdhsa_user_sgpr_kernarg_preload_length 0
		.amdhsa_user_sgpr_kernarg_preload_offset 0
		.amdhsa_user_sgpr_private_segment_size 0
		.amdhsa_uses_dynamic_stack 0
		.amdhsa_system_sgpr_private_segment_wavefront_offset 0
		.amdhsa_system_sgpr_workgroup_id_x 1
		.amdhsa_system_sgpr_workgroup_id_y 0
		.amdhsa_system_sgpr_workgroup_id_z 0
		.amdhsa_system_sgpr_workgroup_info 0
		.amdhsa_system_vgpr_workitem_id 0
		.amdhsa_next_free_vgpr 1
		.amdhsa_next_free_sgpr 0
		.amdhsa_accum_offset 4
		.amdhsa_reserve_vcc 0
		.amdhsa_reserve_flat_scratch 0
		.amdhsa_float_round_mode_32 0
		.amdhsa_float_round_mode_16_64 0
		.amdhsa_float_denorm_mode_32 3
		.amdhsa_float_denorm_mode_16_64 3
		.amdhsa_dx10_clamp 1
		.amdhsa_ieee_mode 1
		.amdhsa_fp16_overflow 0
		.amdhsa_tg_split 0
		.amdhsa_exception_fp_ieee_invalid_op 0
		.amdhsa_exception_fp_denorm_src 0
		.amdhsa_exception_fp_ieee_div_zero 0
		.amdhsa_exception_fp_ieee_overflow 0
		.amdhsa_exception_fp_ieee_underflow 0
		.amdhsa_exception_fp_ieee_inexact 0
		.amdhsa_exception_int_div_zero 0
	.end_amdhsa_kernel
	.section	.text._ZN7rocprim17ROCPRIM_400000_NS6detail17trampoline_kernelINS0_14default_configENS1_29binary_search_config_selectorIxbEEZNS1_14transform_implILb0ES3_S5_N6thrust23THRUST_200600_302600_NS17counting_iteratorIxNS8_11use_defaultESA_SA_EEPbZNS1_13binary_searchIS3_S5_PxSB_SC_NS1_16binary_search_opENS8_6detail16wrapped_functionINS0_4lessIvEEbEEEE10hipError_tPvRmT1_T2_T3_mmT4_T5_P12ihipStream_tbEUlRKxE_EESL_SP_SQ_mSR_SU_bEUlT_E_NS1_11comp_targetILNS1_3genE0ELNS1_11target_archE4294967295ELNS1_3gpuE0ELNS1_3repE0EEENS1_30default_config_static_selectorELNS0_4arch9wavefront6targetE1EEEvSO_,"axG",@progbits,_ZN7rocprim17ROCPRIM_400000_NS6detail17trampoline_kernelINS0_14default_configENS1_29binary_search_config_selectorIxbEEZNS1_14transform_implILb0ES3_S5_N6thrust23THRUST_200600_302600_NS17counting_iteratorIxNS8_11use_defaultESA_SA_EEPbZNS1_13binary_searchIS3_S5_PxSB_SC_NS1_16binary_search_opENS8_6detail16wrapped_functionINS0_4lessIvEEbEEEE10hipError_tPvRmT1_T2_T3_mmT4_T5_P12ihipStream_tbEUlRKxE_EESL_SP_SQ_mSR_SU_bEUlT_E_NS1_11comp_targetILNS1_3genE0ELNS1_11target_archE4294967295ELNS1_3gpuE0ELNS1_3repE0EEENS1_30default_config_static_selectorELNS0_4arch9wavefront6targetE1EEEvSO_,comdat
.Lfunc_end220:
	.size	_ZN7rocprim17ROCPRIM_400000_NS6detail17trampoline_kernelINS0_14default_configENS1_29binary_search_config_selectorIxbEEZNS1_14transform_implILb0ES3_S5_N6thrust23THRUST_200600_302600_NS17counting_iteratorIxNS8_11use_defaultESA_SA_EEPbZNS1_13binary_searchIS3_S5_PxSB_SC_NS1_16binary_search_opENS8_6detail16wrapped_functionINS0_4lessIvEEbEEEE10hipError_tPvRmT1_T2_T3_mmT4_T5_P12ihipStream_tbEUlRKxE_EESL_SP_SQ_mSR_SU_bEUlT_E_NS1_11comp_targetILNS1_3genE0ELNS1_11target_archE4294967295ELNS1_3gpuE0ELNS1_3repE0EEENS1_30default_config_static_selectorELNS0_4arch9wavefront6targetE1EEEvSO_, .Lfunc_end220-_ZN7rocprim17ROCPRIM_400000_NS6detail17trampoline_kernelINS0_14default_configENS1_29binary_search_config_selectorIxbEEZNS1_14transform_implILb0ES3_S5_N6thrust23THRUST_200600_302600_NS17counting_iteratorIxNS8_11use_defaultESA_SA_EEPbZNS1_13binary_searchIS3_S5_PxSB_SC_NS1_16binary_search_opENS8_6detail16wrapped_functionINS0_4lessIvEEbEEEE10hipError_tPvRmT1_T2_T3_mmT4_T5_P12ihipStream_tbEUlRKxE_EESL_SP_SQ_mSR_SU_bEUlT_E_NS1_11comp_targetILNS1_3genE0ELNS1_11target_archE4294967295ELNS1_3gpuE0ELNS1_3repE0EEENS1_30default_config_static_selectorELNS0_4arch9wavefront6targetE1EEEvSO_
                                        ; -- End function
	.section	.AMDGPU.csdata,"",@progbits
; Kernel info:
; codeLenInByte = 0
; NumSgprs: 4
; NumVgprs: 0
; NumAgprs: 0
; TotalNumVgprs: 0
; ScratchSize: 0
; MemoryBound: 0
; FloatMode: 240
; IeeeMode: 1
; LDSByteSize: 0 bytes/workgroup (compile time only)
; SGPRBlocks: 0
; VGPRBlocks: 0
; NumSGPRsForWavesPerEU: 4
; NumVGPRsForWavesPerEU: 1
; AccumOffset: 4
; Occupancy: 8
; WaveLimiterHint : 0
; COMPUTE_PGM_RSRC2:SCRATCH_EN: 0
; COMPUTE_PGM_RSRC2:USER_SGPR: 6
; COMPUTE_PGM_RSRC2:TRAP_HANDLER: 0
; COMPUTE_PGM_RSRC2:TGID_X_EN: 1
; COMPUTE_PGM_RSRC2:TGID_Y_EN: 0
; COMPUTE_PGM_RSRC2:TGID_Z_EN: 0
; COMPUTE_PGM_RSRC2:TIDIG_COMP_CNT: 0
; COMPUTE_PGM_RSRC3_GFX90A:ACCUM_OFFSET: 0
; COMPUTE_PGM_RSRC3_GFX90A:TG_SPLIT: 0
	.section	.text._ZN7rocprim17ROCPRIM_400000_NS6detail17trampoline_kernelINS0_14default_configENS1_29binary_search_config_selectorIxbEEZNS1_14transform_implILb0ES3_S5_N6thrust23THRUST_200600_302600_NS17counting_iteratorIxNS8_11use_defaultESA_SA_EEPbZNS1_13binary_searchIS3_S5_PxSB_SC_NS1_16binary_search_opENS8_6detail16wrapped_functionINS0_4lessIvEEbEEEE10hipError_tPvRmT1_T2_T3_mmT4_T5_P12ihipStream_tbEUlRKxE_EESL_SP_SQ_mSR_SU_bEUlT_E_NS1_11comp_targetILNS1_3genE5ELNS1_11target_archE942ELNS1_3gpuE9ELNS1_3repE0EEENS1_30default_config_static_selectorELNS0_4arch9wavefront6targetE1EEEvSO_,"axG",@progbits,_ZN7rocprim17ROCPRIM_400000_NS6detail17trampoline_kernelINS0_14default_configENS1_29binary_search_config_selectorIxbEEZNS1_14transform_implILb0ES3_S5_N6thrust23THRUST_200600_302600_NS17counting_iteratorIxNS8_11use_defaultESA_SA_EEPbZNS1_13binary_searchIS3_S5_PxSB_SC_NS1_16binary_search_opENS8_6detail16wrapped_functionINS0_4lessIvEEbEEEE10hipError_tPvRmT1_T2_T3_mmT4_T5_P12ihipStream_tbEUlRKxE_EESL_SP_SQ_mSR_SU_bEUlT_E_NS1_11comp_targetILNS1_3genE5ELNS1_11target_archE942ELNS1_3gpuE9ELNS1_3repE0EEENS1_30default_config_static_selectorELNS0_4arch9wavefront6targetE1EEEvSO_,comdat
	.protected	_ZN7rocprim17ROCPRIM_400000_NS6detail17trampoline_kernelINS0_14default_configENS1_29binary_search_config_selectorIxbEEZNS1_14transform_implILb0ES3_S5_N6thrust23THRUST_200600_302600_NS17counting_iteratorIxNS8_11use_defaultESA_SA_EEPbZNS1_13binary_searchIS3_S5_PxSB_SC_NS1_16binary_search_opENS8_6detail16wrapped_functionINS0_4lessIvEEbEEEE10hipError_tPvRmT1_T2_T3_mmT4_T5_P12ihipStream_tbEUlRKxE_EESL_SP_SQ_mSR_SU_bEUlT_E_NS1_11comp_targetILNS1_3genE5ELNS1_11target_archE942ELNS1_3gpuE9ELNS1_3repE0EEENS1_30default_config_static_selectorELNS0_4arch9wavefront6targetE1EEEvSO_ ; -- Begin function _ZN7rocprim17ROCPRIM_400000_NS6detail17trampoline_kernelINS0_14default_configENS1_29binary_search_config_selectorIxbEEZNS1_14transform_implILb0ES3_S5_N6thrust23THRUST_200600_302600_NS17counting_iteratorIxNS8_11use_defaultESA_SA_EEPbZNS1_13binary_searchIS3_S5_PxSB_SC_NS1_16binary_search_opENS8_6detail16wrapped_functionINS0_4lessIvEEbEEEE10hipError_tPvRmT1_T2_T3_mmT4_T5_P12ihipStream_tbEUlRKxE_EESL_SP_SQ_mSR_SU_bEUlT_E_NS1_11comp_targetILNS1_3genE5ELNS1_11target_archE942ELNS1_3gpuE9ELNS1_3repE0EEENS1_30default_config_static_selectorELNS0_4arch9wavefront6targetE1EEEvSO_
	.globl	_ZN7rocprim17ROCPRIM_400000_NS6detail17trampoline_kernelINS0_14default_configENS1_29binary_search_config_selectorIxbEEZNS1_14transform_implILb0ES3_S5_N6thrust23THRUST_200600_302600_NS17counting_iteratorIxNS8_11use_defaultESA_SA_EEPbZNS1_13binary_searchIS3_S5_PxSB_SC_NS1_16binary_search_opENS8_6detail16wrapped_functionINS0_4lessIvEEbEEEE10hipError_tPvRmT1_T2_T3_mmT4_T5_P12ihipStream_tbEUlRKxE_EESL_SP_SQ_mSR_SU_bEUlT_E_NS1_11comp_targetILNS1_3genE5ELNS1_11target_archE942ELNS1_3gpuE9ELNS1_3repE0EEENS1_30default_config_static_selectorELNS0_4arch9wavefront6targetE1EEEvSO_
	.p2align	8
	.type	_ZN7rocprim17ROCPRIM_400000_NS6detail17trampoline_kernelINS0_14default_configENS1_29binary_search_config_selectorIxbEEZNS1_14transform_implILb0ES3_S5_N6thrust23THRUST_200600_302600_NS17counting_iteratorIxNS8_11use_defaultESA_SA_EEPbZNS1_13binary_searchIS3_S5_PxSB_SC_NS1_16binary_search_opENS8_6detail16wrapped_functionINS0_4lessIvEEbEEEE10hipError_tPvRmT1_T2_T3_mmT4_T5_P12ihipStream_tbEUlRKxE_EESL_SP_SQ_mSR_SU_bEUlT_E_NS1_11comp_targetILNS1_3genE5ELNS1_11target_archE942ELNS1_3gpuE9ELNS1_3repE0EEENS1_30default_config_static_selectorELNS0_4arch9wavefront6targetE1EEEvSO_,@function
_ZN7rocprim17ROCPRIM_400000_NS6detail17trampoline_kernelINS0_14default_configENS1_29binary_search_config_selectorIxbEEZNS1_14transform_implILb0ES3_S5_N6thrust23THRUST_200600_302600_NS17counting_iteratorIxNS8_11use_defaultESA_SA_EEPbZNS1_13binary_searchIS3_S5_PxSB_SC_NS1_16binary_search_opENS8_6detail16wrapped_functionINS0_4lessIvEEbEEEE10hipError_tPvRmT1_T2_T3_mmT4_T5_P12ihipStream_tbEUlRKxE_EESL_SP_SQ_mSR_SU_bEUlT_E_NS1_11comp_targetILNS1_3genE5ELNS1_11target_archE942ELNS1_3gpuE9ELNS1_3repE0EEENS1_30default_config_static_selectorELNS0_4arch9wavefront6targetE1EEEvSO_: ; @_ZN7rocprim17ROCPRIM_400000_NS6detail17trampoline_kernelINS0_14default_configENS1_29binary_search_config_selectorIxbEEZNS1_14transform_implILb0ES3_S5_N6thrust23THRUST_200600_302600_NS17counting_iteratorIxNS8_11use_defaultESA_SA_EEPbZNS1_13binary_searchIS3_S5_PxSB_SC_NS1_16binary_search_opENS8_6detail16wrapped_functionINS0_4lessIvEEbEEEE10hipError_tPvRmT1_T2_T3_mmT4_T5_P12ihipStream_tbEUlRKxE_EESL_SP_SQ_mSR_SU_bEUlT_E_NS1_11comp_targetILNS1_3genE5ELNS1_11target_archE942ELNS1_3gpuE9ELNS1_3repE0EEENS1_30default_config_static_selectorELNS0_4arch9wavefront6targetE1EEEvSO_
; %bb.0:
	.section	.rodata,"a",@progbits
	.p2align	6, 0x0
	.amdhsa_kernel _ZN7rocprim17ROCPRIM_400000_NS6detail17trampoline_kernelINS0_14default_configENS1_29binary_search_config_selectorIxbEEZNS1_14transform_implILb0ES3_S5_N6thrust23THRUST_200600_302600_NS17counting_iteratorIxNS8_11use_defaultESA_SA_EEPbZNS1_13binary_searchIS3_S5_PxSB_SC_NS1_16binary_search_opENS8_6detail16wrapped_functionINS0_4lessIvEEbEEEE10hipError_tPvRmT1_T2_T3_mmT4_T5_P12ihipStream_tbEUlRKxE_EESL_SP_SQ_mSR_SU_bEUlT_E_NS1_11comp_targetILNS1_3genE5ELNS1_11target_archE942ELNS1_3gpuE9ELNS1_3repE0EEENS1_30default_config_static_selectorELNS0_4arch9wavefront6targetE1EEEvSO_
		.amdhsa_group_segment_fixed_size 0
		.amdhsa_private_segment_fixed_size 0
		.amdhsa_kernarg_size 56
		.amdhsa_user_sgpr_count 6
		.amdhsa_user_sgpr_private_segment_buffer 1
		.amdhsa_user_sgpr_dispatch_ptr 0
		.amdhsa_user_sgpr_queue_ptr 0
		.amdhsa_user_sgpr_kernarg_segment_ptr 1
		.amdhsa_user_sgpr_dispatch_id 0
		.amdhsa_user_sgpr_flat_scratch_init 0
		.amdhsa_user_sgpr_kernarg_preload_length 0
		.amdhsa_user_sgpr_kernarg_preload_offset 0
		.amdhsa_user_sgpr_private_segment_size 0
		.amdhsa_uses_dynamic_stack 0
		.amdhsa_system_sgpr_private_segment_wavefront_offset 0
		.amdhsa_system_sgpr_workgroup_id_x 1
		.amdhsa_system_sgpr_workgroup_id_y 0
		.amdhsa_system_sgpr_workgroup_id_z 0
		.amdhsa_system_sgpr_workgroup_info 0
		.amdhsa_system_vgpr_workitem_id 0
		.amdhsa_next_free_vgpr 1
		.amdhsa_next_free_sgpr 0
		.amdhsa_accum_offset 4
		.amdhsa_reserve_vcc 0
		.amdhsa_reserve_flat_scratch 0
		.amdhsa_float_round_mode_32 0
		.amdhsa_float_round_mode_16_64 0
		.amdhsa_float_denorm_mode_32 3
		.amdhsa_float_denorm_mode_16_64 3
		.amdhsa_dx10_clamp 1
		.amdhsa_ieee_mode 1
		.amdhsa_fp16_overflow 0
		.amdhsa_tg_split 0
		.amdhsa_exception_fp_ieee_invalid_op 0
		.amdhsa_exception_fp_denorm_src 0
		.amdhsa_exception_fp_ieee_div_zero 0
		.amdhsa_exception_fp_ieee_overflow 0
		.amdhsa_exception_fp_ieee_underflow 0
		.amdhsa_exception_fp_ieee_inexact 0
		.amdhsa_exception_int_div_zero 0
	.end_amdhsa_kernel
	.section	.text._ZN7rocprim17ROCPRIM_400000_NS6detail17trampoline_kernelINS0_14default_configENS1_29binary_search_config_selectorIxbEEZNS1_14transform_implILb0ES3_S5_N6thrust23THRUST_200600_302600_NS17counting_iteratorIxNS8_11use_defaultESA_SA_EEPbZNS1_13binary_searchIS3_S5_PxSB_SC_NS1_16binary_search_opENS8_6detail16wrapped_functionINS0_4lessIvEEbEEEE10hipError_tPvRmT1_T2_T3_mmT4_T5_P12ihipStream_tbEUlRKxE_EESL_SP_SQ_mSR_SU_bEUlT_E_NS1_11comp_targetILNS1_3genE5ELNS1_11target_archE942ELNS1_3gpuE9ELNS1_3repE0EEENS1_30default_config_static_selectorELNS0_4arch9wavefront6targetE1EEEvSO_,"axG",@progbits,_ZN7rocprim17ROCPRIM_400000_NS6detail17trampoline_kernelINS0_14default_configENS1_29binary_search_config_selectorIxbEEZNS1_14transform_implILb0ES3_S5_N6thrust23THRUST_200600_302600_NS17counting_iteratorIxNS8_11use_defaultESA_SA_EEPbZNS1_13binary_searchIS3_S5_PxSB_SC_NS1_16binary_search_opENS8_6detail16wrapped_functionINS0_4lessIvEEbEEEE10hipError_tPvRmT1_T2_T3_mmT4_T5_P12ihipStream_tbEUlRKxE_EESL_SP_SQ_mSR_SU_bEUlT_E_NS1_11comp_targetILNS1_3genE5ELNS1_11target_archE942ELNS1_3gpuE9ELNS1_3repE0EEENS1_30default_config_static_selectorELNS0_4arch9wavefront6targetE1EEEvSO_,comdat
.Lfunc_end221:
	.size	_ZN7rocprim17ROCPRIM_400000_NS6detail17trampoline_kernelINS0_14default_configENS1_29binary_search_config_selectorIxbEEZNS1_14transform_implILb0ES3_S5_N6thrust23THRUST_200600_302600_NS17counting_iteratorIxNS8_11use_defaultESA_SA_EEPbZNS1_13binary_searchIS3_S5_PxSB_SC_NS1_16binary_search_opENS8_6detail16wrapped_functionINS0_4lessIvEEbEEEE10hipError_tPvRmT1_T2_T3_mmT4_T5_P12ihipStream_tbEUlRKxE_EESL_SP_SQ_mSR_SU_bEUlT_E_NS1_11comp_targetILNS1_3genE5ELNS1_11target_archE942ELNS1_3gpuE9ELNS1_3repE0EEENS1_30default_config_static_selectorELNS0_4arch9wavefront6targetE1EEEvSO_, .Lfunc_end221-_ZN7rocprim17ROCPRIM_400000_NS6detail17trampoline_kernelINS0_14default_configENS1_29binary_search_config_selectorIxbEEZNS1_14transform_implILb0ES3_S5_N6thrust23THRUST_200600_302600_NS17counting_iteratorIxNS8_11use_defaultESA_SA_EEPbZNS1_13binary_searchIS3_S5_PxSB_SC_NS1_16binary_search_opENS8_6detail16wrapped_functionINS0_4lessIvEEbEEEE10hipError_tPvRmT1_T2_T3_mmT4_T5_P12ihipStream_tbEUlRKxE_EESL_SP_SQ_mSR_SU_bEUlT_E_NS1_11comp_targetILNS1_3genE5ELNS1_11target_archE942ELNS1_3gpuE9ELNS1_3repE0EEENS1_30default_config_static_selectorELNS0_4arch9wavefront6targetE1EEEvSO_
                                        ; -- End function
	.section	.AMDGPU.csdata,"",@progbits
; Kernel info:
; codeLenInByte = 0
; NumSgprs: 4
; NumVgprs: 0
; NumAgprs: 0
; TotalNumVgprs: 0
; ScratchSize: 0
; MemoryBound: 0
; FloatMode: 240
; IeeeMode: 1
; LDSByteSize: 0 bytes/workgroup (compile time only)
; SGPRBlocks: 0
; VGPRBlocks: 0
; NumSGPRsForWavesPerEU: 4
; NumVGPRsForWavesPerEU: 1
; AccumOffset: 4
; Occupancy: 8
; WaveLimiterHint : 0
; COMPUTE_PGM_RSRC2:SCRATCH_EN: 0
; COMPUTE_PGM_RSRC2:USER_SGPR: 6
; COMPUTE_PGM_RSRC2:TRAP_HANDLER: 0
; COMPUTE_PGM_RSRC2:TGID_X_EN: 1
; COMPUTE_PGM_RSRC2:TGID_Y_EN: 0
; COMPUTE_PGM_RSRC2:TGID_Z_EN: 0
; COMPUTE_PGM_RSRC2:TIDIG_COMP_CNT: 0
; COMPUTE_PGM_RSRC3_GFX90A:ACCUM_OFFSET: 0
; COMPUTE_PGM_RSRC3_GFX90A:TG_SPLIT: 0
	.section	.text._ZN7rocprim17ROCPRIM_400000_NS6detail17trampoline_kernelINS0_14default_configENS1_29binary_search_config_selectorIxbEEZNS1_14transform_implILb0ES3_S5_N6thrust23THRUST_200600_302600_NS17counting_iteratorIxNS8_11use_defaultESA_SA_EEPbZNS1_13binary_searchIS3_S5_PxSB_SC_NS1_16binary_search_opENS8_6detail16wrapped_functionINS0_4lessIvEEbEEEE10hipError_tPvRmT1_T2_T3_mmT4_T5_P12ihipStream_tbEUlRKxE_EESL_SP_SQ_mSR_SU_bEUlT_E_NS1_11comp_targetILNS1_3genE4ELNS1_11target_archE910ELNS1_3gpuE8ELNS1_3repE0EEENS1_30default_config_static_selectorELNS0_4arch9wavefront6targetE1EEEvSO_,"axG",@progbits,_ZN7rocprim17ROCPRIM_400000_NS6detail17trampoline_kernelINS0_14default_configENS1_29binary_search_config_selectorIxbEEZNS1_14transform_implILb0ES3_S5_N6thrust23THRUST_200600_302600_NS17counting_iteratorIxNS8_11use_defaultESA_SA_EEPbZNS1_13binary_searchIS3_S5_PxSB_SC_NS1_16binary_search_opENS8_6detail16wrapped_functionINS0_4lessIvEEbEEEE10hipError_tPvRmT1_T2_T3_mmT4_T5_P12ihipStream_tbEUlRKxE_EESL_SP_SQ_mSR_SU_bEUlT_E_NS1_11comp_targetILNS1_3genE4ELNS1_11target_archE910ELNS1_3gpuE8ELNS1_3repE0EEENS1_30default_config_static_selectorELNS0_4arch9wavefront6targetE1EEEvSO_,comdat
	.protected	_ZN7rocprim17ROCPRIM_400000_NS6detail17trampoline_kernelINS0_14default_configENS1_29binary_search_config_selectorIxbEEZNS1_14transform_implILb0ES3_S5_N6thrust23THRUST_200600_302600_NS17counting_iteratorIxNS8_11use_defaultESA_SA_EEPbZNS1_13binary_searchIS3_S5_PxSB_SC_NS1_16binary_search_opENS8_6detail16wrapped_functionINS0_4lessIvEEbEEEE10hipError_tPvRmT1_T2_T3_mmT4_T5_P12ihipStream_tbEUlRKxE_EESL_SP_SQ_mSR_SU_bEUlT_E_NS1_11comp_targetILNS1_3genE4ELNS1_11target_archE910ELNS1_3gpuE8ELNS1_3repE0EEENS1_30default_config_static_selectorELNS0_4arch9wavefront6targetE1EEEvSO_ ; -- Begin function _ZN7rocprim17ROCPRIM_400000_NS6detail17trampoline_kernelINS0_14default_configENS1_29binary_search_config_selectorIxbEEZNS1_14transform_implILb0ES3_S5_N6thrust23THRUST_200600_302600_NS17counting_iteratorIxNS8_11use_defaultESA_SA_EEPbZNS1_13binary_searchIS3_S5_PxSB_SC_NS1_16binary_search_opENS8_6detail16wrapped_functionINS0_4lessIvEEbEEEE10hipError_tPvRmT1_T2_T3_mmT4_T5_P12ihipStream_tbEUlRKxE_EESL_SP_SQ_mSR_SU_bEUlT_E_NS1_11comp_targetILNS1_3genE4ELNS1_11target_archE910ELNS1_3gpuE8ELNS1_3repE0EEENS1_30default_config_static_selectorELNS0_4arch9wavefront6targetE1EEEvSO_
	.globl	_ZN7rocprim17ROCPRIM_400000_NS6detail17trampoline_kernelINS0_14default_configENS1_29binary_search_config_selectorIxbEEZNS1_14transform_implILb0ES3_S5_N6thrust23THRUST_200600_302600_NS17counting_iteratorIxNS8_11use_defaultESA_SA_EEPbZNS1_13binary_searchIS3_S5_PxSB_SC_NS1_16binary_search_opENS8_6detail16wrapped_functionINS0_4lessIvEEbEEEE10hipError_tPvRmT1_T2_T3_mmT4_T5_P12ihipStream_tbEUlRKxE_EESL_SP_SQ_mSR_SU_bEUlT_E_NS1_11comp_targetILNS1_3genE4ELNS1_11target_archE910ELNS1_3gpuE8ELNS1_3repE0EEENS1_30default_config_static_selectorELNS0_4arch9wavefront6targetE1EEEvSO_
	.p2align	8
	.type	_ZN7rocprim17ROCPRIM_400000_NS6detail17trampoline_kernelINS0_14default_configENS1_29binary_search_config_selectorIxbEEZNS1_14transform_implILb0ES3_S5_N6thrust23THRUST_200600_302600_NS17counting_iteratorIxNS8_11use_defaultESA_SA_EEPbZNS1_13binary_searchIS3_S5_PxSB_SC_NS1_16binary_search_opENS8_6detail16wrapped_functionINS0_4lessIvEEbEEEE10hipError_tPvRmT1_T2_T3_mmT4_T5_P12ihipStream_tbEUlRKxE_EESL_SP_SQ_mSR_SU_bEUlT_E_NS1_11comp_targetILNS1_3genE4ELNS1_11target_archE910ELNS1_3gpuE8ELNS1_3repE0EEENS1_30default_config_static_selectorELNS0_4arch9wavefront6targetE1EEEvSO_,@function
_ZN7rocprim17ROCPRIM_400000_NS6detail17trampoline_kernelINS0_14default_configENS1_29binary_search_config_selectorIxbEEZNS1_14transform_implILb0ES3_S5_N6thrust23THRUST_200600_302600_NS17counting_iteratorIxNS8_11use_defaultESA_SA_EEPbZNS1_13binary_searchIS3_S5_PxSB_SC_NS1_16binary_search_opENS8_6detail16wrapped_functionINS0_4lessIvEEbEEEE10hipError_tPvRmT1_T2_T3_mmT4_T5_P12ihipStream_tbEUlRKxE_EESL_SP_SQ_mSR_SU_bEUlT_E_NS1_11comp_targetILNS1_3genE4ELNS1_11target_archE910ELNS1_3gpuE8ELNS1_3repE0EEENS1_30default_config_static_selectorELNS0_4arch9wavefront6targetE1EEEvSO_: ; @_ZN7rocprim17ROCPRIM_400000_NS6detail17trampoline_kernelINS0_14default_configENS1_29binary_search_config_selectorIxbEEZNS1_14transform_implILb0ES3_S5_N6thrust23THRUST_200600_302600_NS17counting_iteratorIxNS8_11use_defaultESA_SA_EEPbZNS1_13binary_searchIS3_S5_PxSB_SC_NS1_16binary_search_opENS8_6detail16wrapped_functionINS0_4lessIvEEbEEEE10hipError_tPvRmT1_T2_T3_mmT4_T5_P12ihipStream_tbEUlRKxE_EESL_SP_SQ_mSR_SU_bEUlT_E_NS1_11comp_targetILNS1_3genE4ELNS1_11target_archE910ELNS1_3gpuE8ELNS1_3repE0EEENS1_30default_config_static_selectorELNS0_4arch9wavefront6targetE1EEEvSO_
; %bb.0:
	s_load_dwordx4 s[0:3], s[4:5], 0x0
	s_load_dwordx2 s[12:13], s[4:5], 0x28
	s_load_dword s7, s[4:5], 0x38
	s_load_dwordx4 s[8:11], s[4:5], 0x18
	s_waitcnt lgkmcnt(0)
	s_add_u32 s17, s2, s0
	s_addc_u32 s18, s3, s1
	s_lshl_b32 s16, s6, 6
	s_add_i32 s7, s7, -1
	s_cmp_lg_u32 s6, s7
	s_cbranch_scc0 .LBB222_8
; %bb.1:
	s_add_u32 s0, s17, s16
	s_addc_u32 s1, s18, 0
	v_mov_b32_e32 v1, s1
	v_add_co_u32_e32 v4, vcc, s0, v0
	v_mov_b32_e32 v3, 0
	v_addc_co_u32_e32 v5, vcc, 0, v1, vcc
	s_mov_b64 s[0:1], 0
	s_cmp_eq_u64 s[12:13], 0
	v_pk_mov_b32 v[6:7], 0, 0
	s_cbranch_scc1 .LBB222_5
; %bb.2:
	v_pk_mov_b32 v[6:7], 0, 0
	v_pk_mov_b32 v[8:9], s[12:13], s[12:13] op_sel:[0,1]
	v_mov_b32_e32 v1, s11
.LBB222_3:                              ; =>This Inner Loop Header: Depth=1
	v_sub_co_u32_e32 v10, vcc, v8, v6
	v_subb_co_u32_e32 v11, vcc, v9, v7, vcc
	v_lshrrev_b64 v[12:13], 1, v[10:11]
	v_add_co_u32_e32 v2, vcc, v12, v6
	v_lshrrev_b64 v[10:11], 6, v[10:11]
	v_addc_co_u32_e32 v12, vcc, v13, v7, vcc
	v_add_co_u32_e32 v10, vcc, v2, v10
	v_addc_co_u32_e32 v11, vcc, v12, v11, vcc
	v_lshlrev_b64 v[12:13], 3, v[10:11]
	v_add_co_u32_e32 v12, vcc, s10, v12
	v_addc_co_u32_e32 v13, vcc, v1, v13, vcc
	global_load_dwordx2 v[12:13], v[12:13], off
	v_add_co_u32_e32 v2, vcc, 1, v10
	v_addc_co_u32_e32 v14, vcc, 0, v11, vcc
	s_waitcnt vmcnt(0)
	v_cmp_lt_i64_e32 vcc, v[12:13], v[4:5]
	v_cndmask_b32_e32 v9, v11, v9, vcc
	v_cndmask_b32_e32 v8, v10, v8, vcc
	;; [unrolled: 1-line block ×4, first 2 shown]
	v_cmp_ge_u64_e32 vcc, v[6:7], v[8:9]
	s_or_b64 s[0:1], vcc, s[0:1]
	s_andn2_b64 exec, exec, s[0:1]
	s_cbranch_execnz .LBB222_3
; %bb.4:
	s_or_b64 exec, exec, s[0:1]
.LBB222_5:
	v_cmp_ne_u64_e32 vcc, s[12:13], v[6:7]
	s_mov_b64 s[6:7], 0
	s_mov_b64 s[14:15], 0
	s_and_saveexec_b64 s[0:1], vcc
	s_cbranch_execz .LBB222_7
; %bb.6:
	v_lshlrev_b64 v[6:7], 3, v[6:7]
	v_mov_b32_e32 v1, s11
	v_add_co_u32_e32 v6, vcc, s10, v6
	v_addc_co_u32_e32 v7, vcc, v1, v7, vcc
	global_load_dwordx2 v[6:7], v[6:7], off
	s_waitcnt vmcnt(0)
	v_cmp_le_i64_e32 vcc, v[6:7], v[4:5]
	s_and_b64 s[14:15], vcc, exec
.LBB222_7:
	s_or_b64 exec, exec, s[0:1]
	v_cndmask_b32_e64 v1, 0, 1, s[14:15]
	s_mov_b64 s[0:1], -1
	s_and_b64 vcc, exec, s[6:7]
	s_cbranch_vccnz .LBB222_9
	s_branch .LBB222_18
.LBB222_8:
	s_mov_b64 s[0:1], 0
                                        ; implicit-def: $vgpr1
                                        ; implicit-def: $vgpr2_vgpr3
	s_cbranch_execz .LBB222_18
.LBB222_9:
	s_load_dword s0, s[4:5], 0x10
	v_mov_b32_e32 v3, 0
                                        ; implicit-def: $vgpr1
	s_waitcnt lgkmcnt(0)
	s_sub_i32 s0, s0, s16
	v_cmp_gt_u32_e64 s[0:1], s0, v0
	s_and_saveexec_b64 s[4:5], s[0:1]
	s_cbranch_execz .LBB222_17
; %bb.10:
	s_add_u32 s6, s17, s16
	s_addc_u32 s7, s18, 0
	v_mov_b32_e32 v1, s7
	v_add_co_u32_e32 v4, vcc, s6, v0
	v_addc_co_u32_e32 v5, vcc, 0, v1, vcc
	s_mov_b64 s[6:7], 0
	s_cmp_eq_u64 s[12:13], 0
	v_pk_mov_b32 v[6:7], 0, 0
	s_cbranch_scc1 .LBB222_14
; %bb.11:
	v_pk_mov_b32 v[6:7], 0, 0
	v_pk_mov_b32 v[8:9], s[12:13], s[12:13] op_sel:[0,1]
	v_mov_b32_e32 v1, s11
.LBB222_12:                             ; =>This Inner Loop Header: Depth=1
	v_sub_co_u32_e32 v10, vcc, v8, v6
	v_subb_co_u32_e32 v11, vcc, v9, v7, vcc
	v_lshrrev_b64 v[12:13], 1, v[10:11]
	v_add_co_u32_e32 v2, vcc, v12, v6
	v_lshrrev_b64 v[10:11], 6, v[10:11]
	v_addc_co_u32_e32 v12, vcc, v13, v7, vcc
	v_add_co_u32_e32 v10, vcc, v2, v10
	v_addc_co_u32_e32 v11, vcc, v12, v11, vcc
	v_lshlrev_b64 v[12:13], 3, v[10:11]
	v_add_co_u32_e32 v12, vcc, s10, v12
	v_addc_co_u32_e32 v13, vcc, v1, v13, vcc
	global_load_dwordx2 v[12:13], v[12:13], off
	v_add_co_u32_e32 v2, vcc, 1, v10
	v_addc_co_u32_e32 v14, vcc, 0, v11, vcc
	s_waitcnt vmcnt(0)
	v_cmp_lt_i64_e32 vcc, v[12:13], v[4:5]
	v_cndmask_b32_e32 v9, v11, v9, vcc
	v_cndmask_b32_e32 v8, v10, v8, vcc
	;; [unrolled: 1-line block ×4, first 2 shown]
	v_cmp_ge_u64_e32 vcc, v[6:7], v[8:9]
	s_or_b64 s[6:7], vcc, s[6:7]
	s_andn2_b64 exec, exec, s[6:7]
	s_cbranch_execnz .LBB222_12
; %bb.13:
	s_or_b64 exec, exec, s[6:7]
.LBB222_14:
	v_cmp_ne_u64_e32 vcc, s[12:13], v[6:7]
	s_mov_b64 s[12:13], 0
	s_and_saveexec_b64 s[6:7], vcc
	s_cbranch_execz .LBB222_16
; %bb.15:
	v_lshlrev_b64 v[6:7], 3, v[6:7]
	v_mov_b32_e32 v1, s11
	v_add_co_u32_e32 v6, vcc, s10, v6
	v_addc_co_u32_e32 v7, vcc, v1, v7, vcc
	global_load_dwordx2 v[6:7], v[6:7], off
	s_waitcnt vmcnt(0)
	v_cmp_le_i64_e32 vcc, v[6:7], v[4:5]
	s_and_b64 s[12:13], vcc, exec
.LBB222_16:
	s_or_b64 exec, exec, s[6:7]
	v_cndmask_b32_e64 v1, 0, 1, s[12:13]
.LBB222_17:
	s_or_b64 exec, exec, s[4:5]
.LBB222_18:
	s_and_saveexec_b64 s[4:5], s[0:1]
	s_cbranch_execz .LBB222_20
; %bb.19:
	s_add_u32 s0, s8, s2
	s_addc_u32 s1, s9, s3
	s_add_u32 s0, s0, s16
	s_addc_u32 s1, s1, 0
	v_mov_b32_e32 v4, s1
	v_add_co_u32_e32 v2, vcc, s0, v0
	v_addc_co_u32_e32 v3, vcc, v4, v3, vcc
	global_store_byte v[2:3], v1, off
.LBB222_20:
	s_endpgm
	.section	.rodata,"a",@progbits
	.p2align	6, 0x0
	.amdhsa_kernel _ZN7rocprim17ROCPRIM_400000_NS6detail17trampoline_kernelINS0_14default_configENS1_29binary_search_config_selectorIxbEEZNS1_14transform_implILb0ES3_S5_N6thrust23THRUST_200600_302600_NS17counting_iteratorIxNS8_11use_defaultESA_SA_EEPbZNS1_13binary_searchIS3_S5_PxSB_SC_NS1_16binary_search_opENS8_6detail16wrapped_functionINS0_4lessIvEEbEEEE10hipError_tPvRmT1_T2_T3_mmT4_T5_P12ihipStream_tbEUlRKxE_EESL_SP_SQ_mSR_SU_bEUlT_E_NS1_11comp_targetILNS1_3genE4ELNS1_11target_archE910ELNS1_3gpuE8ELNS1_3repE0EEENS1_30default_config_static_selectorELNS0_4arch9wavefront6targetE1EEEvSO_
		.amdhsa_group_segment_fixed_size 0
		.amdhsa_private_segment_fixed_size 0
		.amdhsa_kernarg_size 312
		.amdhsa_user_sgpr_count 6
		.amdhsa_user_sgpr_private_segment_buffer 1
		.amdhsa_user_sgpr_dispatch_ptr 0
		.amdhsa_user_sgpr_queue_ptr 0
		.amdhsa_user_sgpr_kernarg_segment_ptr 1
		.amdhsa_user_sgpr_dispatch_id 0
		.amdhsa_user_sgpr_flat_scratch_init 0
		.amdhsa_user_sgpr_kernarg_preload_length 0
		.amdhsa_user_sgpr_kernarg_preload_offset 0
		.amdhsa_user_sgpr_private_segment_size 0
		.amdhsa_uses_dynamic_stack 0
		.amdhsa_system_sgpr_private_segment_wavefront_offset 0
		.amdhsa_system_sgpr_workgroup_id_x 1
		.amdhsa_system_sgpr_workgroup_id_y 0
		.amdhsa_system_sgpr_workgroup_id_z 0
		.amdhsa_system_sgpr_workgroup_info 0
		.amdhsa_system_vgpr_workitem_id 0
		.amdhsa_next_free_vgpr 15
		.amdhsa_next_free_sgpr 19
		.amdhsa_accum_offset 16
		.amdhsa_reserve_vcc 1
		.amdhsa_reserve_flat_scratch 0
		.amdhsa_float_round_mode_32 0
		.amdhsa_float_round_mode_16_64 0
		.amdhsa_float_denorm_mode_32 3
		.amdhsa_float_denorm_mode_16_64 3
		.amdhsa_dx10_clamp 1
		.amdhsa_ieee_mode 1
		.amdhsa_fp16_overflow 0
		.amdhsa_tg_split 0
		.amdhsa_exception_fp_ieee_invalid_op 0
		.amdhsa_exception_fp_denorm_src 0
		.amdhsa_exception_fp_ieee_div_zero 0
		.amdhsa_exception_fp_ieee_overflow 0
		.amdhsa_exception_fp_ieee_underflow 0
		.amdhsa_exception_fp_ieee_inexact 0
		.amdhsa_exception_int_div_zero 0
	.end_amdhsa_kernel
	.section	.text._ZN7rocprim17ROCPRIM_400000_NS6detail17trampoline_kernelINS0_14default_configENS1_29binary_search_config_selectorIxbEEZNS1_14transform_implILb0ES3_S5_N6thrust23THRUST_200600_302600_NS17counting_iteratorIxNS8_11use_defaultESA_SA_EEPbZNS1_13binary_searchIS3_S5_PxSB_SC_NS1_16binary_search_opENS8_6detail16wrapped_functionINS0_4lessIvEEbEEEE10hipError_tPvRmT1_T2_T3_mmT4_T5_P12ihipStream_tbEUlRKxE_EESL_SP_SQ_mSR_SU_bEUlT_E_NS1_11comp_targetILNS1_3genE4ELNS1_11target_archE910ELNS1_3gpuE8ELNS1_3repE0EEENS1_30default_config_static_selectorELNS0_4arch9wavefront6targetE1EEEvSO_,"axG",@progbits,_ZN7rocprim17ROCPRIM_400000_NS6detail17trampoline_kernelINS0_14default_configENS1_29binary_search_config_selectorIxbEEZNS1_14transform_implILb0ES3_S5_N6thrust23THRUST_200600_302600_NS17counting_iteratorIxNS8_11use_defaultESA_SA_EEPbZNS1_13binary_searchIS3_S5_PxSB_SC_NS1_16binary_search_opENS8_6detail16wrapped_functionINS0_4lessIvEEbEEEE10hipError_tPvRmT1_T2_T3_mmT4_T5_P12ihipStream_tbEUlRKxE_EESL_SP_SQ_mSR_SU_bEUlT_E_NS1_11comp_targetILNS1_3genE4ELNS1_11target_archE910ELNS1_3gpuE8ELNS1_3repE0EEENS1_30default_config_static_selectorELNS0_4arch9wavefront6targetE1EEEvSO_,comdat
.Lfunc_end222:
	.size	_ZN7rocprim17ROCPRIM_400000_NS6detail17trampoline_kernelINS0_14default_configENS1_29binary_search_config_selectorIxbEEZNS1_14transform_implILb0ES3_S5_N6thrust23THRUST_200600_302600_NS17counting_iteratorIxNS8_11use_defaultESA_SA_EEPbZNS1_13binary_searchIS3_S5_PxSB_SC_NS1_16binary_search_opENS8_6detail16wrapped_functionINS0_4lessIvEEbEEEE10hipError_tPvRmT1_T2_T3_mmT4_T5_P12ihipStream_tbEUlRKxE_EESL_SP_SQ_mSR_SU_bEUlT_E_NS1_11comp_targetILNS1_3genE4ELNS1_11target_archE910ELNS1_3gpuE8ELNS1_3repE0EEENS1_30default_config_static_selectorELNS0_4arch9wavefront6targetE1EEEvSO_, .Lfunc_end222-_ZN7rocprim17ROCPRIM_400000_NS6detail17trampoline_kernelINS0_14default_configENS1_29binary_search_config_selectorIxbEEZNS1_14transform_implILb0ES3_S5_N6thrust23THRUST_200600_302600_NS17counting_iteratorIxNS8_11use_defaultESA_SA_EEPbZNS1_13binary_searchIS3_S5_PxSB_SC_NS1_16binary_search_opENS8_6detail16wrapped_functionINS0_4lessIvEEbEEEE10hipError_tPvRmT1_T2_T3_mmT4_T5_P12ihipStream_tbEUlRKxE_EESL_SP_SQ_mSR_SU_bEUlT_E_NS1_11comp_targetILNS1_3genE4ELNS1_11target_archE910ELNS1_3gpuE8ELNS1_3repE0EEENS1_30default_config_static_selectorELNS0_4arch9wavefront6targetE1EEEvSO_
                                        ; -- End function
	.section	.AMDGPU.csdata,"",@progbits
; Kernel info:
; codeLenInByte = 668
; NumSgprs: 23
; NumVgprs: 15
; NumAgprs: 0
; TotalNumVgprs: 15
; ScratchSize: 0
; MemoryBound: 0
; FloatMode: 240
; IeeeMode: 1
; LDSByteSize: 0 bytes/workgroup (compile time only)
; SGPRBlocks: 2
; VGPRBlocks: 1
; NumSGPRsForWavesPerEU: 23
; NumVGPRsForWavesPerEU: 15
; AccumOffset: 16
; Occupancy: 8
; WaveLimiterHint : 0
; COMPUTE_PGM_RSRC2:SCRATCH_EN: 0
; COMPUTE_PGM_RSRC2:USER_SGPR: 6
; COMPUTE_PGM_RSRC2:TRAP_HANDLER: 0
; COMPUTE_PGM_RSRC2:TGID_X_EN: 1
; COMPUTE_PGM_RSRC2:TGID_Y_EN: 0
; COMPUTE_PGM_RSRC2:TGID_Z_EN: 0
; COMPUTE_PGM_RSRC2:TIDIG_COMP_CNT: 0
; COMPUTE_PGM_RSRC3_GFX90A:ACCUM_OFFSET: 3
; COMPUTE_PGM_RSRC3_GFX90A:TG_SPLIT: 0
	.section	.text._ZN7rocprim17ROCPRIM_400000_NS6detail17trampoline_kernelINS0_14default_configENS1_29binary_search_config_selectorIxbEEZNS1_14transform_implILb0ES3_S5_N6thrust23THRUST_200600_302600_NS17counting_iteratorIxNS8_11use_defaultESA_SA_EEPbZNS1_13binary_searchIS3_S5_PxSB_SC_NS1_16binary_search_opENS8_6detail16wrapped_functionINS0_4lessIvEEbEEEE10hipError_tPvRmT1_T2_T3_mmT4_T5_P12ihipStream_tbEUlRKxE_EESL_SP_SQ_mSR_SU_bEUlT_E_NS1_11comp_targetILNS1_3genE3ELNS1_11target_archE908ELNS1_3gpuE7ELNS1_3repE0EEENS1_30default_config_static_selectorELNS0_4arch9wavefront6targetE1EEEvSO_,"axG",@progbits,_ZN7rocprim17ROCPRIM_400000_NS6detail17trampoline_kernelINS0_14default_configENS1_29binary_search_config_selectorIxbEEZNS1_14transform_implILb0ES3_S5_N6thrust23THRUST_200600_302600_NS17counting_iteratorIxNS8_11use_defaultESA_SA_EEPbZNS1_13binary_searchIS3_S5_PxSB_SC_NS1_16binary_search_opENS8_6detail16wrapped_functionINS0_4lessIvEEbEEEE10hipError_tPvRmT1_T2_T3_mmT4_T5_P12ihipStream_tbEUlRKxE_EESL_SP_SQ_mSR_SU_bEUlT_E_NS1_11comp_targetILNS1_3genE3ELNS1_11target_archE908ELNS1_3gpuE7ELNS1_3repE0EEENS1_30default_config_static_selectorELNS0_4arch9wavefront6targetE1EEEvSO_,comdat
	.protected	_ZN7rocprim17ROCPRIM_400000_NS6detail17trampoline_kernelINS0_14default_configENS1_29binary_search_config_selectorIxbEEZNS1_14transform_implILb0ES3_S5_N6thrust23THRUST_200600_302600_NS17counting_iteratorIxNS8_11use_defaultESA_SA_EEPbZNS1_13binary_searchIS3_S5_PxSB_SC_NS1_16binary_search_opENS8_6detail16wrapped_functionINS0_4lessIvEEbEEEE10hipError_tPvRmT1_T2_T3_mmT4_T5_P12ihipStream_tbEUlRKxE_EESL_SP_SQ_mSR_SU_bEUlT_E_NS1_11comp_targetILNS1_3genE3ELNS1_11target_archE908ELNS1_3gpuE7ELNS1_3repE0EEENS1_30default_config_static_selectorELNS0_4arch9wavefront6targetE1EEEvSO_ ; -- Begin function _ZN7rocprim17ROCPRIM_400000_NS6detail17trampoline_kernelINS0_14default_configENS1_29binary_search_config_selectorIxbEEZNS1_14transform_implILb0ES3_S5_N6thrust23THRUST_200600_302600_NS17counting_iteratorIxNS8_11use_defaultESA_SA_EEPbZNS1_13binary_searchIS3_S5_PxSB_SC_NS1_16binary_search_opENS8_6detail16wrapped_functionINS0_4lessIvEEbEEEE10hipError_tPvRmT1_T2_T3_mmT4_T5_P12ihipStream_tbEUlRKxE_EESL_SP_SQ_mSR_SU_bEUlT_E_NS1_11comp_targetILNS1_3genE3ELNS1_11target_archE908ELNS1_3gpuE7ELNS1_3repE0EEENS1_30default_config_static_selectorELNS0_4arch9wavefront6targetE1EEEvSO_
	.globl	_ZN7rocprim17ROCPRIM_400000_NS6detail17trampoline_kernelINS0_14default_configENS1_29binary_search_config_selectorIxbEEZNS1_14transform_implILb0ES3_S5_N6thrust23THRUST_200600_302600_NS17counting_iteratorIxNS8_11use_defaultESA_SA_EEPbZNS1_13binary_searchIS3_S5_PxSB_SC_NS1_16binary_search_opENS8_6detail16wrapped_functionINS0_4lessIvEEbEEEE10hipError_tPvRmT1_T2_T3_mmT4_T5_P12ihipStream_tbEUlRKxE_EESL_SP_SQ_mSR_SU_bEUlT_E_NS1_11comp_targetILNS1_3genE3ELNS1_11target_archE908ELNS1_3gpuE7ELNS1_3repE0EEENS1_30default_config_static_selectorELNS0_4arch9wavefront6targetE1EEEvSO_
	.p2align	8
	.type	_ZN7rocprim17ROCPRIM_400000_NS6detail17trampoline_kernelINS0_14default_configENS1_29binary_search_config_selectorIxbEEZNS1_14transform_implILb0ES3_S5_N6thrust23THRUST_200600_302600_NS17counting_iteratorIxNS8_11use_defaultESA_SA_EEPbZNS1_13binary_searchIS3_S5_PxSB_SC_NS1_16binary_search_opENS8_6detail16wrapped_functionINS0_4lessIvEEbEEEE10hipError_tPvRmT1_T2_T3_mmT4_T5_P12ihipStream_tbEUlRKxE_EESL_SP_SQ_mSR_SU_bEUlT_E_NS1_11comp_targetILNS1_3genE3ELNS1_11target_archE908ELNS1_3gpuE7ELNS1_3repE0EEENS1_30default_config_static_selectorELNS0_4arch9wavefront6targetE1EEEvSO_,@function
_ZN7rocprim17ROCPRIM_400000_NS6detail17trampoline_kernelINS0_14default_configENS1_29binary_search_config_selectorIxbEEZNS1_14transform_implILb0ES3_S5_N6thrust23THRUST_200600_302600_NS17counting_iteratorIxNS8_11use_defaultESA_SA_EEPbZNS1_13binary_searchIS3_S5_PxSB_SC_NS1_16binary_search_opENS8_6detail16wrapped_functionINS0_4lessIvEEbEEEE10hipError_tPvRmT1_T2_T3_mmT4_T5_P12ihipStream_tbEUlRKxE_EESL_SP_SQ_mSR_SU_bEUlT_E_NS1_11comp_targetILNS1_3genE3ELNS1_11target_archE908ELNS1_3gpuE7ELNS1_3repE0EEENS1_30default_config_static_selectorELNS0_4arch9wavefront6targetE1EEEvSO_: ; @_ZN7rocprim17ROCPRIM_400000_NS6detail17trampoline_kernelINS0_14default_configENS1_29binary_search_config_selectorIxbEEZNS1_14transform_implILb0ES3_S5_N6thrust23THRUST_200600_302600_NS17counting_iteratorIxNS8_11use_defaultESA_SA_EEPbZNS1_13binary_searchIS3_S5_PxSB_SC_NS1_16binary_search_opENS8_6detail16wrapped_functionINS0_4lessIvEEbEEEE10hipError_tPvRmT1_T2_T3_mmT4_T5_P12ihipStream_tbEUlRKxE_EESL_SP_SQ_mSR_SU_bEUlT_E_NS1_11comp_targetILNS1_3genE3ELNS1_11target_archE908ELNS1_3gpuE7ELNS1_3repE0EEENS1_30default_config_static_selectorELNS0_4arch9wavefront6targetE1EEEvSO_
; %bb.0:
	.section	.rodata,"a",@progbits
	.p2align	6, 0x0
	.amdhsa_kernel _ZN7rocprim17ROCPRIM_400000_NS6detail17trampoline_kernelINS0_14default_configENS1_29binary_search_config_selectorIxbEEZNS1_14transform_implILb0ES3_S5_N6thrust23THRUST_200600_302600_NS17counting_iteratorIxNS8_11use_defaultESA_SA_EEPbZNS1_13binary_searchIS3_S5_PxSB_SC_NS1_16binary_search_opENS8_6detail16wrapped_functionINS0_4lessIvEEbEEEE10hipError_tPvRmT1_T2_T3_mmT4_T5_P12ihipStream_tbEUlRKxE_EESL_SP_SQ_mSR_SU_bEUlT_E_NS1_11comp_targetILNS1_3genE3ELNS1_11target_archE908ELNS1_3gpuE7ELNS1_3repE0EEENS1_30default_config_static_selectorELNS0_4arch9wavefront6targetE1EEEvSO_
		.amdhsa_group_segment_fixed_size 0
		.amdhsa_private_segment_fixed_size 0
		.amdhsa_kernarg_size 56
		.amdhsa_user_sgpr_count 6
		.amdhsa_user_sgpr_private_segment_buffer 1
		.amdhsa_user_sgpr_dispatch_ptr 0
		.amdhsa_user_sgpr_queue_ptr 0
		.amdhsa_user_sgpr_kernarg_segment_ptr 1
		.amdhsa_user_sgpr_dispatch_id 0
		.amdhsa_user_sgpr_flat_scratch_init 0
		.amdhsa_user_sgpr_kernarg_preload_length 0
		.amdhsa_user_sgpr_kernarg_preload_offset 0
		.amdhsa_user_sgpr_private_segment_size 0
		.amdhsa_uses_dynamic_stack 0
		.amdhsa_system_sgpr_private_segment_wavefront_offset 0
		.amdhsa_system_sgpr_workgroup_id_x 1
		.amdhsa_system_sgpr_workgroup_id_y 0
		.amdhsa_system_sgpr_workgroup_id_z 0
		.amdhsa_system_sgpr_workgroup_info 0
		.amdhsa_system_vgpr_workitem_id 0
		.amdhsa_next_free_vgpr 1
		.amdhsa_next_free_sgpr 0
		.amdhsa_accum_offset 4
		.amdhsa_reserve_vcc 0
		.amdhsa_reserve_flat_scratch 0
		.amdhsa_float_round_mode_32 0
		.amdhsa_float_round_mode_16_64 0
		.amdhsa_float_denorm_mode_32 3
		.amdhsa_float_denorm_mode_16_64 3
		.amdhsa_dx10_clamp 1
		.amdhsa_ieee_mode 1
		.amdhsa_fp16_overflow 0
		.amdhsa_tg_split 0
		.amdhsa_exception_fp_ieee_invalid_op 0
		.amdhsa_exception_fp_denorm_src 0
		.amdhsa_exception_fp_ieee_div_zero 0
		.amdhsa_exception_fp_ieee_overflow 0
		.amdhsa_exception_fp_ieee_underflow 0
		.amdhsa_exception_fp_ieee_inexact 0
		.amdhsa_exception_int_div_zero 0
	.end_amdhsa_kernel
	.section	.text._ZN7rocprim17ROCPRIM_400000_NS6detail17trampoline_kernelINS0_14default_configENS1_29binary_search_config_selectorIxbEEZNS1_14transform_implILb0ES3_S5_N6thrust23THRUST_200600_302600_NS17counting_iteratorIxNS8_11use_defaultESA_SA_EEPbZNS1_13binary_searchIS3_S5_PxSB_SC_NS1_16binary_search_opENS8_6detail16wrapped_functionINS0_4lessIvEEbEEEE10hipError_tPvRmT1_T2_T3_mmT4_T5_P12ihipStream_tbEUlRKxE_EESL_SP_SQ_mSR_SU_bEUlT_E_NS1_11comp_targetILNS1_3genE3ELNS1_11target_archE908ELNS1_3gpuE7ELNS1_3repE0EEENS1_30default_config_static_selectorELNS0_4arch9wavefront6targetE1EEEvSO_,"axG",@progbits,_ZN7rocprim17ROCPRIM_400000_NS6detail17trampoline_kernelINS0_14default_configENS1_29binary_search_config_selectorIxbEEZNS1_14transform_implILb0ES3_S5_N6thrust23THRUST_200600_302600_NS17counting_iteratorIxNS8_11use_defaultESA_SA_EEPbZNS1_13binary_searchIS3_S5_PxSB_SC_NS1_16binary_search_opENS8_6detail16wrapped_functionINS0_4lessIvEEbEEEE10hipError_tPvRmT1_T2_T3_mmT4_T5_P12ihipStream_tbEUlRKxE_EESL_SP_SQ_mSR_SU_bEUlT_E_NS1_11comp_targetILNS1_3genE3ELNS1_11target_archE908ELNS1_3gpuE7ELNS1_3repE0EEENS1_30default_config_static_selectorELNS0_4arch9wavefront6targetE1EEEvSO_,comdat
.Lfunc_end223:
	.size	_ZN7rocprim17ROCPRIM_400000_NS6detail17trampoline_kernelINS0_14default_configENS1_29binary_search_config_selectorIxbEEZNS1_14transform_implILb0ES3_S5_N6thrust23THRUST_200600_302600_NS17counting_iteratorIxNS8_11use_defaultESA_SA_EEPbZNS1_13binary_searchIS3_S5_PxSB_SC_NS1_16binary_search_opENS8_6detail16wrapped_functionINS0_4lessIvEEbEEEE10hipError_tPvRmT1_T2_T3_mmT4_T5_P12ihipStream_tbEUlRKxE_EESL_SP_SQ_mSR_SU_bEUlT_E_NS1_11comp_targetILNS1_3genE3ELNS1_11target_archE908ELNS1_3gpuE7ELNS1_3repE0EEENS1_30default_config_static_selectorELNS0_4arch9wavefront6targetE1EEEvSO_, .Lfunc_end223-_ZN7rocprim17ROCPRIM_400000_NS6detail17trampoline_kernelINS0_14default_configENS1_29binary_search_config_selectorIxbEEZNS1_14transform_implILb0ES3_S5_N6thrust23THRUST_200600_302600_NS17counting_iteratorIxNS8_11use_defaultESA_SA_EEPbZNS1_13binary_searchIS3_S5_PxSB_SC_NS1_16binary_search_opENS8_6detail16wrapped_functionINS0_4lessIvEEbEEEE10hipError_tPvRmT1_T2_T3_mmT4_T5_P12ihipStream_tbEUlRKxE_EESL_SP_SQ_mSR_SU_bEUlT_E_NS1_11comp_targetILNS1_3genE3ELNS1_11target_archE908ELNS1_3gpuE7ELNS1_3repE0EEENS1_30default_config_static_selectorELNS0_4arch9wavefront6targetE1EEEvSO_
                                        ; -- End function
	.section	.AMDGPU.csdata,"",@progbits
; Kernel info:
; codeLenInByte = 0
; NumSgprs: 4
; NumVgprs: 0
; NumAgprs: 0
; TotalNumVgprs: 0
; ScratchSize: 0
; MemoryBound: 0
; FloatMode: 240
; IeeeMode: 1
; LDSByteSize: 0 bytes/workgroup (compile time only)
; SGPRBlocks: 0
; VGPRBlocks: 0
; NumSGPRsForWavesPerEU: 4
; NumVGPRsForWavesPerEU: 1
; AccumOffset: 4
; Occupancy: 8
; WaveLimiterHint : 0
; COMPUTE_PGM_RSRC2:SCRATCH_EN: 0
; COMPUTE_PGM_RSRC2:USER_SGPR: 6
; COMPUTE_PGM_RSRC2:TRAP_HANDLER: 0
; COMPUTE_PGM_RSRC2:TGID_X_EN: 1
; COMPUTE_PGM_RSRC2:TGID_Y_EN: 0
; COMPUTE_PGM_RSRC2:TGID_Z_EN: 0
; COMPUTE_PGM_RSRC2:TIDIG_COMP_CNT: 0
; COMPUTE_PGM_RSRC3_GFX90A:ACCUM_OFFSET: 0
; COMPUTE_PGM_RSRC3_GFX90A:TG_SPLIT: 0
	.section	.text._ZN7rocprim17ROCPRIM_400000_NS6detail17trampoline_kernelINS0_14default_configENS1_29binary_search_config_selectorIxbEEZNS1_14transform_implILb0ES3_S5_N6thrust23THRUST_200600_302600_NS17counting_iteratorIxNS8_11use_defaultESA_SA_EEPbZNS1_13binary_searchIS3_S5_PxSB_SC_NS1_16binary_search_opENS8_6detail16wrapped_functionINS0_4lessIvEEbEEEE10hipError_tPvRmT1_T2_T3_mmT4_T5_P12ihipStream_tbEUlRKxE_EESL_SP_SQ_mSR_SU_bEUlT_E_NS1_11comp_targetILNS1_3genE2ELNS1_11target_archE906ELNS1_3gpuE6ELNS1_3repE0EEENS1_30default_config_static_selectorELNS0_4arch9wavefront6targetE1EEEvSO_,"axG",@progbits,_ZN7rocprim17ROCPRIM_400000_NS6detail17trampoline_kernelINS0_14default_configENS1_29binary_search_config_selectorIxbEEZNS1_14transform_implILb0ES3_S5_N6thrust23THRUST_200600_302600_NS17counting_iteratorIxNS8_11use_defaultESA_SA_EEPbZNS1_13binary_searchIS3_S5_PxSB_SC_NS1_16binary_search_opENS8_6detail16wrapped_functionINS0_4lessIvEEbEEEE10hipError_tPvRmT1_T2_T3_mmT4_T5_P12ihipStream_tbEUlRKxE_EESL_SP_SQ_mSR_SU_bEUlT_E_NS1_11comp_targetILNS1_3genE2ELNS1_11target_archE906ELNS1_3gpuE6ELNS1_3repE0EEENS1_30default_config_static_selectorELNS0_4arch9wavefront6targetE1EEEvSO_,comdat
	.protected	_ZN7rocprim17ROCPRIM_400000_NS6detail17trampoline_kernelINS0_14default_configENS1_29binary_search_config_selectorIxbEEZNS1_14transform_implILb0ES3_S5_N6thrust23THRUST_200600_302600_NS17counting_iteratorIxNS8_11use_defaultESA_SA_EEPbZNS1_13binary_searchIS3_S5_PxSB_SC_NS1_16binary_search_opENS8_6detail16wrapped_functionINS0_4lessIvEEbEEEE10hipError_tPvRmT1_T2_T3_mmT4_T5_P12ihipStream_tbEUlRKxE_EESL_SP_SQ_mSR_SU_bEUlT_E_NS1_11comp_targetILNS1_3genE2ELNS1_11target_archE906ELNS1_3gpuE6ELNS1_3repE0EEENS1_30default_config_static_selectorELNS0_4arch9wavefront6targetE1EEEvSO_ ; -- Begin function _ZN7rocprim17ROCPRIM_400000_NS6detail17trampoline_kernelINS0_14default_configENS1_29binary_search_config_selectorIxbEEZNS1_14transform_implILb0ES3_S5_N6thrust23THRUST_200600_302600_NS17counting_iteratorIxNS8_11use_defaultESA_SA_EEPbZNS1_13binary_searchIS3_S5_PxSB_SC_NS1_16binary_search_opENS8_6detail16wrapped_functionINS0_4lessIvEEbEEEE10hipError_tPvRmT1_T2_T3_mmT4_T5_P12ihipStream_tbEUlRKxE_EESL_SP_SQ_mSR_SU_bEUlT_E_NS1_11comp_targetILNS1_3genE2ELNS1_11target_archE906ELNS1_3gpuE6ELNS1_3repE0EEENS1_30default_config_static_selectorELNS0_4arch9wavefront6targetE1EEEvSO_
	.globl	_ZN7rocprim17ROCPRIM_400000_NS6detail17trampoline_kernelINS0_14default_configENS1_29binary_search_config_selectorIxbEEZNS1_14transform_implILb0ES3_S5_N6thrust23THRUST_200600_302600_NS17counting_iteratorIxNS8_11use_defaultESA_SA_EEPbZNS1_13binary_searchIS3_S5_PxSB_SC_NS1_16binary_search_opENS8_6detail16wrapped_functionINS0_4lessIvEEbEEEE10hipError_tPvRmT1_T2_T3_mmT4_T5_P12ihipStream_tbEUlRKxE_EESL_SP_SQ_mSR_SU_bEUlT_E_NS1_11comp_targetILNS1_3genE2ELNS1_11target_archE906ELNS1_3gpuE6ELNS1_3repE0EEENS1_30default_config_static_selectorELNS0_4arch9wavefront6targetE1EEEvSO_
	.p2align	8
	.type	_ZN7rocprim17ROCPRIM_400000_NS6detail17trampoline_kernelINS0_14default_configENS1_29binary_search_config_selectorIxbEEZNS1_14transform_implILb0ES3_S5_N6thrust23THRUST_200600_302600_NS17counting_iteratorIxNS8_11use_defaultESA_SA_EEPbZNS1_13binary_searchIS3_S5_PxSB_SC_NS1_16binary_search_opENS8_6detail16wrapped_functionINS0_4lessIvEEbEEEE10hipError_tPvRmT1_T2_T3_mmT4_T5_P12ihipStream_tbEUlRKxE_EESL_SP_SQ_mSR_SU_bEUlT_E_NS1_11comp_targetILNS1_3genE2ELNS1_11target_archE906ELNS1_3gpuE6ELNS1_3repE0EEENS1_30default_config_static_selectorELNS0_4arch9wavefront6targetE1EEEvSO_,@function
_ZN7rocprim17ROCPRIM_400000_NS6detail17trampoline_kernelINS0_14default_configENS1_29binary_search_config_selectorIxbEEZNS1_14transform_implILb0ES3_S5_N6thrust23THRUST_200600_302600_NS17counting_iteratorIxNS8_11use_defaultESA_SA_EEPbZNS1_13binary_searchIS3_S5_PxSB_SC_NS1_16binary_search_opENS8_6detail16wrapped_functionINS0_4lessIvEEbEEEE10hipError_tPvRmT1_T2_T3_mmT4_T5_P12ihipStream_tbEUlRKxE_EESL_SP_SQ_mSR_SU_bEUlT_E_NS1_11comp_targetILNS1_3genE2ELNS1_11target_archE906ELNS1_3gpuE6ELNS1_3repE0EEENS1_30default_config_static_selectorELNS0_4arch9wavefront6targetE1EEEvSO_: ; @_ZN7rocprim17ROCPRIM_400000_NS6detail17trampoline_kernelINS0_14default_configENS1_29binary_search_config_selectorIxbEEZNS1_14transform_implILb0ES3_S5_N6thrust23THRUST_200600_302600_NS17counting_iteratorIxNS8_11use_defaultESA_SA_EEPbZNS1_13binary_searchIS3_S5_PxSB_SC_NS1_16binary_search_opENS8_6detail16wrapped_functionINS0_4lessIvEEbEEEE10hipError_tPvRmT1_T2_T3_mmT4_T5_P12ihipStream_tbEUlRKxE_EESL_SP_SQ_mSR_SU_bEUlT_E_NS1_11comp_targetILNS1_3genE2ELNS1_11target_archE906ELNS1_3gpuE6ELNS1_3repE0EEENS1_30default_config_static_selectorELNS0_4arch9wavefront6targetE1EEEvSO_
; %bb.0:
	.section	.rodata,"a",@progbits
	.p2align	6, 0x0
	.amdhsa_kernel _ZN7rocprim17ROCPRIM_400000_NS6detail17trampoline_kernelINS0_14default_configENS1_29binary_search_config_selectorIxbEEZNS1_14transform_implILb0ES3_S5_N6thrust23THRUST_200600_302600_NS17counting_iteratorIxNS8_11use_defaultESA_SA_EEPbZNS1_13binary_searchIS3_S5_PxSB_SC_NS1_16binary_search_opENS8_6detail16wrapped_functionINS0_4lessIvEEbEEEE10hipError_tPvRmT1_T2_T3_mmT4_T5_P12ihipStream_tbEUlRKxE_EESL_SP_SQ_mSR_SU_bEUlT_E_NS1_11comp_targetILNS1_3genE2ELNS1_11target_archE906ELNS1_3gpuE6ELNS1_3repE0EEENS1_30default_config_static_selectorELNS0_4arch9wavefront6targetE1EEEvSO_
		.amdhsa_group_segment_fixed_size 0
		.amdhsa_private_segment_fixed_size 0
		.amdhsa_kernarg_size 56
		.amdhsa_user_sgpr_count 6
		.amdhsa_user_sgpr_private_segment_buffer 1
		.amdhsa_user_sgpr_dispatch_ptr 0
		.amdhsa_user_sgpr_queue_ptr 0
		.amdhsa_user_sgpr_kernarg_segment_ptr 1
		.amdhsa_user_sgpr_dispatch_id 0
		.amdhsa_user_sgpr_flat_scratch_init 0
		.amdhsa_user_sgpr_kernarg_preload_length 0
		.amdhsa_user_sgpr_kernarg_preload_offset 0
		.amdhsa_user_sgpr_private_segment_size 0
		.amdhsa_uses_dynamic_stack 0
		.amdhsa_system_sgpr_private_segment_wavefront_offset 0
		.amdhsa_system_sgpr_workgroup_id_x 1
		.amdhsa_system_sgpr_workgroup_id_y 0
		.amdhsa_system_sgpr_workgroup_id_z 0
		.amdhsa_system_sgpr_workgroup_info 0
		.amdhsa_system_vgpr_workitem_id 0
		.amdhsa_next_free_vgpr 1
		.amdhsa_next_free_sgpr 0
		.amdhsa_accum_offset 4
		.amdhsa_reserve_vcc 0
		.amdhsa_reserve_flat_scratch 0
		.amdhsa_float_round_mode_32 0
		.amdhsa_float_round_mode_16_64 0
		.amdhsa_float_denorm_mode_32 3
		.amdhsa_float_denorm_mode_16_64 3
		.amdhsa_dx10_clamp 1
		.amdhsa_ieee_mode 1
		.amdhsa_fp16_overflow 0
		.amdhsa_tg_split 0
		.amdhsa_exception_fp_ieee_invalid_op 0
		.amdhsa_exception_fp_denorm_src 0
		.amdhsa_exception_fp_ieee_div_zero 0
		.amdhsa_exception_fp_ieee_overflow 0
		.amdhsa_exception_fp_ieee_underflow 0
		.amdhsa_exception_fp_ieee_inexact 0
		.amdhsa_exception_int_div_zero 0
	.end_amdhsa_kernel
	.section	.text._ZN7rocprim17ROCPRIM_400000_NS6detail17trampoline_kernelINS0_14default_configENS1_29binary_search_config_selectorIxbEEZNS1_14transform_implILb0ES3_S5_N6thrust23THRUST_200600_302600_NS17counting_iteratorIxNS8_11use_defaultESA_SA_EEPbZNS1_13binary_searchIS3_S5_PxSB_SC_NS1_16binary_search_opENS8_6detail16wrapped_functionINS0_4lessIvEEbEEEE10hipError_tPvRmT1_T2_T3_mmT4_T5_P12ihipStream_tbEUlRKxE_EESL_SP_SQ_mSR_SU_bEUlT_E_NS1_11comp_targetILNS1_3genE2ELNS1_11target_archE906ELNS1_3gpuE6ELNS1_3repE0EEENS1_30default_config_static_selectorELNS0_4arch9wavefront6targetE1EEEvSO_,"axG",@progbits,_ZN7rocprim17ROCPRIM_400000_NS6detail17trampoline_kernelINS0_14default_configENS1_29binary_search_config_selectorIxbEEZNS1_14transform_implILb0ES3_S5_N6thrust23THRUST_200600_302600_NS17counting_iteratorIxNS8_11use_defaultESA_SA_EEPbZNS1_13binary_searchIS3_S5_PxSB_SC_NS1_16binary_search_opENS8_6detail16wrapped_functionINS0_4lessIvEEbEEEE10hipError_tPvRmT1_T2_T3_mmT4_T5_P12ihipStream_tbEUlRKxE_EESL_SP_SQ_mSR_SU_bEUlT_E_NS1_11comp_targetILNS1_3genE2ELNS1_11target_archE906ELNS1_3gpuE6ELNS1_3repE0EEENS1_30default_config_static_selectorELNS0_4arch9wavefront6targetE1EEEvSO_,comdat
.Lfunc_end224:
	.size	_ZN7rocprim17ROCPRIM_400000_NS6detail17trampoline_kernelINS0_14default_configENS1_29binary_search_config_selectorIxbEEZNS1_14transform_implILb0ES3_S5_N6thrust23THRUST_200600_302600_NS17counting_iteratorIxNS8_11use_defaultESA_SA_EEPbZNS1_13binary_searchIS3_S5_PxSB_SC_NS1_16binary_search_opENS8_6detail16wrapped_functionINS0_4lessIvEEbEEEE10hipError_tPvRmT1_T2_T3_mmT4_T5_P12ihipStream_tbEUlRKxE_EESL_SP_SQ_mSR_SU_bEUlT_E_NS1_11comp_targetILNS1_3genE2ELNS1_11target_archE906ELNS1_3gpuE6ELNS1_3repE0EEENS1_30default_config_static_selectorELNS0_4arch9wavefront6targetE1EEEvSO_, .Lfunc_end224-_ZN7rocprim17ROCPRIM_400000_NS6detail17trampoline_kernelINS0_14default_configENS1_29binary_search_config_selectorIxbEEZNS1_14transform_implILb0ES3_S5_N6thrust23THRUST_200600_302600_NS17counting_iteratorIxNS8_11use_defaultESA_SA_EEPbZNS1_13binary_searchIS3_S5_PxSB_SC_NS1_16binary_search_opENS8_6detail16wrapped_functionINS0_4lessIvEEbEEEE10hipError_tPvRmT1_T2_T3_mmT4_T5_P12ihipStream_tbEUlRKxE_EESL_SP_SQ_mSR_SU_bEUlT_E_NS1_11comp_targetILNS1_3genE2ELNS1_11target_archE906ELNS1_3gpuE6ELNS1_3repE0EEENS1_30default_config_static_selectorELNS0_4arch9wavefront6targetE1EEEvSO_
                                        ; -- End function
	.section	.AMDGPU.csdata,"",@progbits
; Kernel info:
; codeLenInByte = 0
; NumSgprs: 4
; NumVgprs: 0
; NumAgprs: 0
; TotalNumVgprs: 0
; ScratchSize: 0
; MemoryBound: 0
; FloatMode: 240
; IeeeMode: 1
; LDSByteSize: 0 bytes/workgroup (compile time only)
; SGPRBlocks: 0
; VGPRBlocks: 0
; NumSGPRsForWavesPerEU: 4
; NumVGPRsForWavesPerEU: 1
; AccumOffset: 4
; Occupancy: 8
; WaveLimiterHint : 0
; COMPUTE_PGM_RSRC2:SCRATCH_EN: 0
; COMPUTE_PGM_RSRC2:USER_SGPR: 6
; COMPUTE_PGM_RSRC2:TRAP_HANDLER: 0
; COMPUTE_PGM_RSRC2:TGID_X_EN: 1
; COMPUTE_PGM_RSRC2:TGID_Y_EN: 0
; COMPUTE_PGM_RSRC2:TGID_Z_EN: 0
; COMPUTE_PGM_RSRC2:TIDIG_COMP_CNT: 0
; COMPUTE_PGM_RSRC3_GFX90A:ACCUM_OFFSET: 0
; COMPUTE_PGM_RSRC3_GFX90A:TG_SPLIT: 0
	.section	.text._ZN7rocprim17ROCPRIM_400000_NS6detail17trampoline_kernelINS0_14default_configENS1_29binary_search_config_selectorIxbEEZNS1_14transform_implILb0ES3_S5_N6thrust23THRUST_200600_302600_NS17counting_iteratorIxNS8_11use_defaultESA_SA_EEPbZNS1_13binary_searchIS3_S5_PxSB_SC_NS1_16binary_search_opENS8_6detail16wrapped_functionINS0_4lessIvEEbEEEE10hipError_tPvRmT1_T2_T3_mmT4_T5_P12ihipStream_tbEUlRKxE_EESL_SP_SQ_mSR_SU_bEUlT_E_NS1_11comp_targetILNS1_3genE10ELNS1_11target_archE1201ELNS1_3gpuE5ELNS1_3repE0EEENS1_30default_config_static_selectorELNS0_4arch9wavefront6targetE1EEEvSO_,"axG",@progbits,_ZN7rocprim17ROCPRIM_400000_NS6detail17trampoline_kernelINS0_14default_configENS1_29binary_search_config_selectorIxbEEZNS1_14transform_implILb0ES3_S5_N6thrust23THRUST_200600_302600_NS17counting_iteratorIxNS8_11use_defaultESA_SA_EEPbZNS1_13binary_searchIS3_S5_PxSB_SC_NS1_16binary_search_opENS8_6detail16wrapped_functionINS0_4lessIvEEbEEEE10hipError_tPvRmT1_T2_T3_mmT4_T5_P12ihipStream_tbEUlRKxE_EESL_SP_SQ_mSR_SU_bEUlT_E_NS1_11comp_targetILNS1_3genE10ELNS1_11target_archE1201ELNS1_3gpuE5ELNS1_3repE0EEENS1_30default_config_static_selectorELNS0_4arch9wavefront6targetE1EEEvSO_,comdat
	.protected	_ZN7rocprim17ROCPRIM_400000_NS6detail17trampoline_kernelINS0_14default_configENS1_29binary_search_config_selectorIxbEEZNS1_14transform_implILb0ES3_S5_N6thrust23THRUST_200600_302600_NS17counting_iteratorIxNS8_11use_defaultESA_SA_EEPbZNS1_13binary_searchIS3_S5_PxSB_SC_NS1_16binary_search_opENS8_6detail16wrapped_functionINS0_4lessIvEEbEEEE10hipError_tPvRmT1_T2_T3_mmT4_T5_P12ihipStream_tbEUlRKxE_EESL_SP_SQ_mSR_SU_bEUlT_E_NS1_11comp_targetILNS1_3genE10ELNS1_11target_archE1201ELNS1_3gpuE5ELNS1_3repE0EEENS1_30default_config_static_selectorELNS0_4arch9wavefront6targetE1EEEvSO_ ; -- Begin function _ZN7rocprim17ROCPRIM_400000_NS6detail17trampoline_kernelINS0_14default_configENS1_29binary_search_config_selectorIxbEEZNS1_14transform_implILb0ES3_S5_N6thrust23THRUST_200600_302600_NS17counting_iteratorIxNS8_11use_defaultESA_SA_EEPbZNS1_13binary_searchIS3_S5_PxSB_SC_NS1_16binary_search_opENS8_6detail16wrapped_functionINS0_4lessIvEEbEEEE10hipError_tPvRmT1_T2_T3_mmT4_T5_P12ihipStream_tbEUlRKxE_EESL_SP_SQ_mSR_SU_bEUlT_E_NS1_11comp_targetILNS1_3genE10ELNS1_11target_archE1201ELNS1_3gpuE5ELNS1_3repE0EEENS1_30default_config_static_selectorELNS0_4arch9wavefront6targetE1EEEvSO_
	.globl	_ZN7rocprim17ROCPRIM_400000_NS6detail17trampoline_kernelINS0_14default_configENS1_29binary_search_config_selectorIxbEEZNS1_14transform_implILb0ES3_S5_N6thrust23THRUST_200600_302600_NS17counting_iteratorIxNS8_11use_defaultESA_SA_EEPbZNS1_13binary_searchIS3_S5_PxSB_SC_NS1_16binary_search_opENS8_6detail16wrapped_functionINS0_4lessIvEEbEEEE10hipError_tPvRmT1_T2_T3_mmT4_T5_P12ihipStream_tbEUlRKxE_EESL_SP_SQ_mSR_SU_bEUlT_E_NS1_11comp_targetILNS1_3genE10ELNS1_11target_archE1201ELNS1_3gpuE5ELNS1_3repE0EEENS1_30default_config_static_selectorELNS0_4arch9wavefront6targetE1EEEvSO_
	.p2align	8
	.type	_ZN7rocprim17ROCPRIM_400000_NS6detail17trampoline_kernelINS0_14default_configENS1_29binary_search_config_selectorIxbEEZNS1_14transform_implILb0ES3_S5_N6thrust23THRUST_200600_302600_NS17counting_iteratorIxNS8_11use_defaultESA_SA_EEPbZNS1_13binary_searchIS3_S5_PxSB_SC_NS1_16binary_search_opENS8_6detail16wrapped_functionINS0_4lessIvEEbEEEE10hipError_tPvRmT1_T2_T3_mmT4_T5_P12ihipStream_tbEUlRKxE_EESL_SP_SQ_mSR_SU_bEUlT_E_NS1_11comp_targetILNS1_3genE10ELNS1_11target_archE1201ELNS1_3gpuE5ELNS1_3repE0EEENS1_30default_config_static_selectorELNS0_4arch9wavefront6targetE1EEEvSO_,@function
_ZN7rocprim17ROCPRIM_400000_NS6detail17trampoline_kernelINS0_14default_configENS1_29binary_search_config_selectorIxbEEZNS1_14transform_implILb0ES3_S5_N6thrust23THRUST_200600_302600_NS17counting_iteratorIxNS8_11use_defaultESA_SA_EEPbZNS1_13binary_searchIS3_S5_PxSB_SC_NS1_16binary_search_opENS8_6detail16wrapped_functionINS0_4lessIvEEbEEEE10hipError_tPvRmT1_T2_T3_mmT4_T5_P12ihipStream_tbEUlRKxE_EESL_SP_SQ_mSR_SU_bEUlT_E_NS1_11comp_targetILNS1_3genE10ELNS1_11target_archE1201ELNS1_3gpuE5ELNS1_3repE0EEENS1_30default_config_static_selectorELNS0_4arch9wavefront6targetE1EEEvSO_: ; @_ZN7rocprim17ROCPRIM_400000_NS6detail17trampoline_kernelINS0_14default_configENS1_29binary_search_config_selectorIxbEEZNS1_14transform_implILb0ES3_S5_N6thrust23THRUST_200600_302600_NS17counting_iteratorIxNS8_11use_defaultESA_SA_EEPbZNS1_13binary_searchIS3_S5_PxSB_SC_NS1_16binary_search_opENS8_6detail16wrapped_functionINS0_4lessIvEEbEEEE10hipError_tPvRmT1_T2_T3_mmT4_T5_P12ihipStream_tbEUlRKxE_EESL_SP_SQ_mSR_SU_bEUlT_E_NS1_11comp_targetILNS1_3genE10ELNS1_11target_archE1201ELNS1_3gpuE5ELNS1_3repE0EEENS1_30default_config_static_selectorELNS0_4arch9wavefront6targetE1EEEvSO_
; %bb.0:
	.section	.rodata,"a",@progbits
	.p2align	6, 0x0
	.amdhsa_kernel _ZN7rocprim17ROCPRIM_400000_NS6detail17trampoline_kernelINS0_14default_configENS1_29binary_search_config_selectorIxbEEZNS1_14transform_implILb0ES3_S5_N6thrust23THRUST_200600_302600_NS17counting_iteratorIxNS8_11use_defaultESA_SA_EEPbZNS1_13binary_searchIS3_S5_PxSB_SC_NS1_16binary_search_opENS8_6detail16wrapped_functionINS0_4lessIvEEbEEEE10hipError_tPvRmT1_T2_T3_mmT4_T5_P12ihipStream_tbEUlRKxE_EESL_SP_SQ_mSR_SU_bEUlT_E_NS1_11comp_targetILNS1_3genE10ELNS1_11target_archE1201ELNS1_3gpuE5ELNS1_3repE0EEENS1_30default_config_static_selectorELNS0_4arch9wavefront6targetE1EEEvSO_
		.amdhsa_group_segment_fixed_size 0
		.amdhsa_private_segment_fixed_size 0
		.amdhsa_kernarg_size 56
		.amdhsa_user_sgpr_count 6
		.amdhsa_user_sgpr_private_segment_buffer 1
		.amdhsa_user_sgpr_dispatch_ptr 0
		.amdhsa_user_sgpr_queue_ptr 0
		.amdhsa_user_sgpr_kernarg_segment_ptr 1
		.amdhsa_user_sgpr_dispatch_id 0
		.amdhsa_user_sgpr_flat_scratch_init 0
		.amdhsa_user_sgpr_kernarg_preload_length 0
		.amdhsa_user_sgpr_kernarg_preload_offset 0
		.amdhsa_user_sgpr_private_segment_size 0
		.amdhsa_uses_dynamic_stack 0
		.amdhsa_system_sgpr_private_segment_wavefront_offset 0
		.amdhsa_system_sgpr_workgroup_id_x 1
		.amdhsa_system_sgpr_workgroup_id_y 0
		.amdhsa_system_sgpr_workgroup_id_z 0
		.amdhsa_system_sgpr_workgroup_info 0
		.amdhsa_system_vgpr_workitem_id 0
		.amdhsa_next_free_vgpr 1
		.amdhsa_next_free_sgpr 0
		.amdhsa_accum_offset 4
		.amdhsa_reserve_vcc 0
		.amdhsa_reserve_flat_scratch 0
		.amdhsa_float_round_mode_32 0
		.amdhsa_float_round_mode_16_64 0
		.amdhsa_float_denorm_mode_32 3
		.amdhsa_float_denorm_mode_16_64 3
		.amdhsa_dx10_clamp 1
		.amdhsa_ieee_mode 1
		.amdhsa_fp16_overflow 0
		.amdhsa_tg_split 0
		.amdhsa_exception_fp_ieee_invalid_op 0
		.amdhsa_exception_fp_denorm_src 0
		.amdhsa_exception_fp_ieee_div_zero 0
		.amdhsa_exception_fp_ieee_overflow 0
		.amdhsa_exception_fp_ieee_underflow 0
		.amdhsa_exception_fp_ieee_inexact 0
		.amdhsa_exception_int_div_zero 0
	.end_amdhsa_kernel
	.section	.text._ZN7rocprim17ROCPRIM_400000_NS6detail17trampoline_kernelINS0_14default_configENS1_29binary_search_config_selectorIxbEEZNS1_14transform_implILb0ES3_S5_N6thrust23THRUST_200600_302600_NS17counting_iteratorIxNS8_11use_defaultESA_SA_EEPbZNS1_13binary_searchIS3_S5_PxSB_SC_NS1_16binary_search_opENS8_6detail16wrapped_functionINS0_4lessIvEEbEEEE10hipError_tPvRmT1_T2_T3_mmT4_T5_P12ihipStream_tbEUlRKxE_EESL_SP_SQ_mSR_SU_bEUlT_E_NS1_11comp_targetILNS1_3genE10ELNS1_11target_archE1201ELNS1_3gpuE5ELNS1_3repE0EEENS1_30default_config_static_selectorELNS0_4arch9wavefront6targetE1EEEvSO_,"axG",@progbits,_ZN7rocprim17ROCPRIM_400000_NS6detail17trampoline_kernelINS0_14default_configENS1_29binary_search_config_selectorIxbEEZNS1_14transform_implILb0ES3_S5_N6thrust23THRUST_200600_302600_NS17counting_iteratorIxNS8_11use_defaultESA_SA_EEPbZNS1_13binary_searchIS3_S5_PxSB_SC_NS1_16binary_search_opENS8_6detail16wrapped_functionINS0_4lessIvEEbEEEE10hipError_tPvRmT1_T2_T3_mmT4_T5_P12ihipStream_tbEUlRKxE_EESL_SP_SQ_mSR_SU_bEUlT_E_NS1_11comp_targetILNS1_3genE10ELNS1_11target_archE1201ELNS1_3gpuE5ELNS1_3repE0EEENS1_30default_config_static_selectorELNS0_4arch9wavefront6targetE1EEEvSO_,comdat
.Lfunc_end225:
	.size	_ZN7rocprim17ROCPRIM_400000_NS6detail17trampoline_kernelINS0_14default_configENS1_29binary_search_config_selectorIxbEEZNS1_14transform_implILb0ES3_S5_N6thrust23THRUST_200600_302600_NS17counting_iteratorIxNS8_11use_defaultESA_SA_EEPbZNS1_13binary_searchIS3_S5_PxSB_SC_NS1_16binary_search_opENS8_6detail16wrapped_functionINS0_4lessIvEEbEEEE10hipError_tPvRmT1_T2_T3_mmT4_T5_P12ihipStream_tbEUlRKxE_EESL_SP_SQ_mSR_SU_bEUlT_E_NS1_11comp_targetILNS1_3genE10ELNS1_11target_archE1201ELNS1_3gpuE5ELNS1_3repE0EEENS1_30default_config_static_selectorELNS0_4arch9wavefront6targetE1EEEvSO_, .Lfunc_end225-_ZN7rocprim17ROCPRIM_400000_NS6detail17trampoline_kernelINS0_14default_configENS1_29binary_search_config_selectorIxbEEZNS1_14transform_implILb0ES3_S5_N6thrust23THRUST_200600_302600_NS17counting_iteratorIxNS8_11use_defaultESA_SA_EEPbZNS1_13binary_searchIS3_S5_PxSB_SC_NS1_16binary_search_opENS8_6detail16wrapped_functionINS0_4lessIvEEbEEEE10hipError_tPvRmT1_T2_T3_mmT4_T5_P12ihipStream_tbEUlRKxE_EESL_SP_SQ_mSR_SU_bEUlT_E_NS1_11comp_targetILNS1_3genE10ELNS1_11target_archE1201ELNS1_3gpuE5ELNS1_3repE0EEENS1_30default_config_static_selectorELNS0_4arch9wavefront6targetE1EEEvSO_
                                        ; -- End function
	.section	.AMDGPU.csdata,"",@progbits
; Kernel info:
; codeLenInByte = 0
; NumSgprs: 4
; NumVgprs: 0
; NumAgprs: 0
; TotalNumVgprs: 0
; ScratchSize: 0
; MemoryBound: 0
; FloatMode: 240
; IeeeMode: 1
; LDSByteSize: 0 bytes/workgroup (compile time only)
; SGPRBlocks: 0
; VGPRBlocks: 0
; NumSGPRsForWavesPerEU: 4
; NumVGPRsForWavesPerEU: 1
; AccumOffset: 4
; Occupancy: 8
; WaveLimiterHint : 0
; COMPUTE_PGM_RSRC2:SCRATCH_EN: 0
; COMPUTE_PGM_RSRC2:USER_SGPR: 6
; COMPUTE_PGM_RSRC2:TRAP_HANDLER: 0
; COMPUTE_PGM_RSRC2:TGID_X_EN: 1
; COMPUTE_PGM_RSRC2:TGID_Y_EN: 0
; COMPUTE_PGM_RSRC2:TGID_Z_EN: 0
; COMPUTE_PGM_RSRC2:TIDIG_COMP_CNT: 0
; COMPUTE_PGM_RSRC3_GFX90A:ACCUM_OFFSET: 0
; COMPUTE_PGM_RSRC3_GFX90A:TG_SPLIT: 0
	.section	.text._ZN7rocprim17ROCPRIM_400000_NS6detail17trampoline_kernelINS0_14default_configENS1_29binary_search_config_selectorIxbEEZNS1_14transform_implILb0ES3_S5_N6thrust23THRUST_200600_302600_NS17counting_iteratorIxNS8_11use_defaultESA_SA_EEPbZNS1_13binary_searchIS3_S5_PxSB_SC_NS1_16binary_search_opENS8_6detail16wrapped_functionINS0_4lessIvEEbEEEE10hipError_tPvRmT1_T2_T3_mmT4_T5_P12ihipStream_tbEUlRKxE_EESL_SP_SQ_mSR_SU_bEUlT_E_NS1_11comp_targetILNS1_3genE10ELNS1_11target_archE1200ELNS1_3gpuE4ELNS1_3repE0EEENS1_30default_config_static_selectorELNS0_4arch9wavefront6targetE1EEEvSO_,"axG",@progbits,_ZN7rocprim17ROCPRIM_400000_NS6detail17trampoline_kernelINS0_14default_configENS1_29binary_search_config_selectorIxbEEZNS1_14transform_implILb0ES3_S5_N6thrust23THRUST_200600_302600_NS17counting_iteratorIxNS8_11use_defaultESA_SA_EEPbZNS1_13binary_searchIS3_S5_PxSB_SC_NS1_16binary_search_opENS8_6detail16wrapped_functionINS0_4lessIvEEbEEEE10hipError_tPvRmT1_T2_T3_mmT4_T5_P12ihipStream_tbEUlRKxE_EESL_SP_SQ_mSR_SU_bEUlT_E_NS1_11comp_targetILNS1_3genE10ELNS1_11target_archE1200ELNS1_3gpuE4ELNS1_3repE0EEENS1_30default_config_static_selectorELNS0_4arch9wavefront6targetE1EEEvSO_,comdat
	.protected	_ZN7rocprim17ROCPRIM_400000_NS6detail17trampoline_kernelINS0_14default_configENS1_29binary_search_config_selectorIxbEEZNS1_14transform_implILb0ES3_S5_N6thrust23THRUST_200600_302600_NS17counting_iteratorIxNS8_11use_defaultESA_SA_EEPbZNS1_13binary_searchIS3_S5_PxSB_SC_NS1_16binary_search_opENS8_6detail16wrapped_functionINS0_4lessIvEEbEEEE10hipError_tPvRmT1_T2_T3_mmT4_T5_P12ihipStream_tbEUlRKxE_EESL_SP_SQ_mSR_SU_bEUlT_E_NS1_11comp_targetILNS1_3genE10ELNS1_11target_archE1200ELNS1_3gpuE4ELNS1_3repE0EEENS1_30default_config_static_selectorELNS0_4arch9wavefront6targetE1EEEvSO_ ; -- Begin function _ZN7rocprim17ROCPRIM_400000_NS6detail17trampoline_kernelINS0_14default_configENS1_29binary_search_config_selectorIxbEEZNS1_14transform_implILb0ES3_S5_N6thrust23THRUST_200600_302600_NS17counting_iteratorIxNS8_11use_defaultESA_SA_EEPbZNS1_13binary_searchIS3_S5_PxSB_SC_NS1_16binary_search_opENS8_6detail16wrapped_functionINS0_4lessIvEEbEEEE10hipError_tPvRmT1_T2_T3_mmT4_T5_P12ihipStream_tbEUlRKxE_EESL_SP_SQ_mSR_SU_bEUlT_E_NS1_11comp_targetILNS1_3genE10ELNS1_11target_archE1200ELNS1_3gpuE4ELNS1_3repE0EEENS1_30default_config_static_selectorELNS0_4arch9wavefront6targetE1EEEvSO_
	.globl	_ZN7rocprim17ROCPRIM_400000_NS6detail17trampoline_kernelINS0_14default_configENS1_29binary_search_config_selectorIxbEEZNS1_14transform_implILb0ES3_S5_N6thrust23THRUST_200600_302600_NS17counting_iteratorIxNS8_11use_defaultESA_SA_EEPbZNS1_13binary_searchIS3_S5_PxSB_SC_NS1_16binary_search_opENS8_6detail16wrapped_functionINS0_4lessIvEEbEEEE10hipError_tPvRmT1_T2_T3_mmT4_T5_P12ihipStream_tbEUlRKxE_EESL_SP_SQ_mSR_SU_bEUlT_E_NS1_11comp_targetILNS1_3genE10ELNS1_11target_archE1200ELNS1_3gpuE4ELNS1_3repE0EEENS1_30default_config_static_selectorELNS0_4arch9wavefront6targetE1EEEvSO_
	.p2align	8
	.type	_ZN7rocprim17ROCPRIM_400000_NS6detail17trampoline_kernelINS0_14default_configENS1_29binary_search_config_selectorIxbEEZNS1_14transform_implILb0ES3_S5_N6thrust23THRUST_200600_302600_NS17counting_iteratorIxNS8_11use_defaultESA_SA_EEPbZNS1_13binary_searchIS3_S5_PxSB_SC_NS1_16binary_search_opENS8_6detail16wrapped_functionINS0_4lessIvEEbEEEE10hipError_tPvRmT1_T2_T3_mmT4_T5_P12ihipStream_tbEUlRKxE_EESL_SP_SQ_mSR_SU_bEUlT_E_NS1_11comp_targetILNS1_3genE10ELNS1_11target_archE1200ELNS1_3gpuE4ELNS1_3repE0EEENS1_30default_config_static_selectorELNS0_4arch9wavefront6targetE1EEEvSO_,@function
_ZN7rocprim17ROCPRIM_400000_NS6detail17trampoline_kernelINS0_14default_configENS1_29binary_search_config_selectorIxbEEZNS1_14transform_implILb0ES3_S5_N6thrust23THRUST_200600_302600_NS17counting_iteratorIxNS8_11use_defaultESA_SA_EEPbZNS1_13binary_searchIS3_S5_PxSB_SC_NS1_16binary_search_opENS8_6detail16wrapped_functionINS0_4lessIvEEbEEEE10hipError_tPvRmT1_T2_T3_mmT4_T5_P12ihipStream_tbEUlRKxE_EESL_SP_SQ_mSR_SU_bEUlT_E_NS1_11comp_targetILNS1_3genE10ELNS1_11target_archE1200ELNS1_3gpuE4ELNS1_3repE0EEENS1_30default_config_static_selectorELNS0_4arch9wavefront6targetE1EEEvSO_: ; @_ZN7rocprim17ROCPRIM_400000_NS6detail17trampoline_kernelINS0_14default_configENS1_29binary_search_config_selectorIxbEEZNS1_14transform_implILb0ES3_S5_N6thrust23THRUST_200600_302600_NS17counting_iteratorIxNS8_11use_defaultESA_SA_EEPbZNS1_13binary_searchIS3_S5_PxSB_SC_NS1_16binary_search_opENS8_6detail16wrapped_functionINS0_4lessIvEEbEEEE10hipError_tPvRmT1_T2_T3_mmT4_T5_P12ihipStream_tbEUlRKxE_EESL_SP_SQ_mSR_SU_bEUlT_E_NS1_11comp_targetILNS1_3genE10ELNS1_11target_archE1200ELNS1_3gpuE4ELNS1_3repE0EEENS1_30default_config_static_selectorELNS0_4arch9wavefront6targetE1EEEvSO_
; %bb.0:
	.section	.rodata,"a",@progbits
	.p2align	6, 0x0
	.amdhsa_kernel _ZN7rocprim17ROCPRIM_400000_NS6detail17trampoline_kernelINS0_14default_configENS1_29binary_search_config_selectorIxbEEZNS1_14transform_implILb0ES3_S5_N6thrust23THRUST_200600_302600_NS17counting_iteratorIxNS8_11use_defaultESA_SA_EEPbZNS1_13binary_searchIS3_S5_PxSB_SC_NS1_16binary_search_opENS8_6detail16wrapped_functionINS0_4lessIvEEbEEEE10hipError_tPvRmT1_T2_T3_mmT4_T5_P12ihipStream_tbEUlRKxE_EESL_SP_SQ_mSR_SU_bEUlT_E_NS1_11comp_targetILNS1_3genE10ELNS1_11target_archE1200ELNS1_3gpuE4ELNS1_3repE0EEENS1_30default_config_static_selectorELNS0_4arch9wavefront6targetE1EEEvSO_
		.amdhsa_group_segment_fixed_size 0
		.amdhsa_private_segment_fixed_size 0
		.amdhsa_kernarg_size 56
		.amdhsa_user_sgpr_count 6
		.amdhsa_user_sgpr_private_segment_buffer 1
		.amdhsa_user_sgpr_dispatch_ptr 0
		.amdhsa_user_sgpr_queue_ptr 0
		.amdhsa_user_sgpr_kernarg_segment_ptr 1
		.amdhsa_user_sgpr_dispatch_id 0
		.amdhsa_user_sgpr_flat_scratch_init 0
		.amdhsa_user_sgpr_kernarg_preload_length 0
		.amdhsa_user_sgpr_kernarg_preload_offset 0
		.amdhsa_user_sgpr_private_segment_size 0
		.amdhsa_uses_dynamic_stack 0
		.amdhsa_system_sgpr_private_segment_wavefront_offset 0
		.amdhsa_system_sgpr_workgroup_id_x 1
		.amdhsa_system_sgpr_workgroup_id_y 0
		.amdhsa_system_sgpr_workgroup_id_z 0
		.amdhsa_system_sgpr_workgroup_info 0
		.amdhsa_system_vgpr_workitem_id 0
		.amdhsa_next_free_vgpr 1
		.amdhsa_next_free_sgpr 0
		.amdhsa_accum_offset 4
		.amdhsa_reserve_vcc 0
		.amdhsa_reserve_flat_scratch 0
		.amdhsa_float_round_mode_32 0
		.amdhsa_float_round_mode_16_64 0
		.amdhsa_float_denorm_mode_32 3
		.amdhsa_float_denorm_mode_16_64 3
		.amdhsa_dx10_clamp 1
		.amdhsa_ieee_mode 1
		.amdhsa_fp16_overflow 0
		.amdhsa_tg_split 0
		.amdhsa_exception_fp_ieee_invalid_op 0
		.amdhsa_exception_fp_denorm_src 0
		.amdhsa_exception_fp_ieee_div_zero 0
		.amdhsa_exception_fp_ieee_overflow 0
		.amdhsa_exception_fp_ieee_underflow 0
		.amdhsa_exception_fp_ieee_inexact 0
		.amdhsa_exception_int_div_zero 0
	.end_amdhsa_kernel
	.section	.text._ZN7rocprim17ROCPRIM_400000_NS6detail17trampoline_kernelINS0_14default_configENS1_29binary_search_config_selectorIxbEEZNS1_14transform_implILb0ES3_S5_N6thrust23THRUST_200600_302600_NS17counting_iteratorIxNS8_11use_defaultESA_SA_EEPbZNS1_13binary_searchIS3_S5_PxSB_SC_NS1_16binary_search_opENS8_6detail16wrapped_functionINS0_4lessIvEEbEEEE10hipError_tPvRmT1_T2_T3_mmT4_T5_P12ihipStream_tbEUlRKxE_EESL_SP_SQ_mSR_SU_bEUlT_E_NS1_11comp_targetILNS1_3genE10ELNS1_11target_archE1200ELNS1_3gpuE4ELNS1_3repE0EEENS1_30default_config_static_selectorELNS0_4arch9wavefront6targetE1EEEvSO_,"axG",@progbits,_ZN7rocprim17ROCPRIM_400000_NS6detail17trampoline_kernelINS0_14default_configENS1_29binary_search_config_selectorIxbEEZNS1_14transform_implILb0ES3_S5_N6thrust23THRUST_200600_302600_NS17counting_iteratorIxNS8_11use_defaultESA_SA_EEPbZNS1_13binary_searchIS3_S5_PxSB_SC_NS1_16binary_search_opENS8_6detail16wrapped_functionINS0_4lessIvEEbEEEE10hipError_tPvRmT1_T2_T3_mmT4_T5_P12ihipStream_tbEUlRKxE_EESL_SP_SQ_mSR_SU_bEUlT_E_NS1_11comp_targetILNS1_3genE10ELNS1_11target_archE1200ELNS1_3gpuE4ELNS1_3repE0EEENS1_30default_config_static_selectorELNS0_4arch9wavefront6targetE1EEEvSO_,comdat
.Lfunc_end226:
	.size	_ZN7rocprim17ROCPRIM_400000_NS6detail17trampoline_kernelINS0_14default_configENS1_29binary_search_config_selectorIxbEEZNS1_14transform_implILb0ES3_S5_N6thrust23THRUST_200600_302600_NS17counting_iteratorIxNS8_11use_defaultESA_SA_EEPbZNS1_13binary_searchIS3_S5_PxSB_SC_NS1_16binary_search_opENS8_6detail16wrapped_functionINS0_4lessIvEEbEEEE10hipError_tPvRmT1_T2_T3_mmT4_T5_P12ihipStream_tbEUlRKxE_EESL_SP_SQ_mSR_SU_bEUlT_E_NS1_11comp_targetILNS1_3genE10ELNS1_11target_archE1200ELNS1_3gpuE4ELNS1_3repE0EEENS1_30default_config_static_selectorELNS0_4arch9wavefront6targetE1EEEvSO_, .Lfunc_end226-_ZN7rocprim17ROCPRIM_400000_NS6detail17trampoline_kernelINS0_14default_configENS1_29binary_search_config_selectorIxbEEZNS1_14transform_implILb0ES3_S5_N6thrust23THRUST_200600_302600_NS17counting_iteratorIxNS8_11use_defaultESA_SA_EEPbZNS1_13binary_searchIS3_S5_PxSB_SC_NS1_16binary_search_opENS8_6detail16wrapped_functionINS0_4lessIvEEbEEEE10hipError_tPvRmT1_T2_T3_mmT4_T5_P12ihipStream_tbEUlRKxE_EESL_SP_SQ_mSR_SU_bEUlT_E_NS1_11comp_targetILNS1_3genE10ELNS1_11target_archE1200ELNS1_3gpuE4ELNS1_3repE0EEENS1_30default_config_static_selectorELNS0_4arch9wavefront6targetE1EEEvSO_
                                        ; -- End function
	.section	.AMDGPU.csdata,"",@progbits
; Kernel info:
; codeLenInByte = 0
; NumSgprs: 4
; NumVgprs: 0
; NumAgprs: 0
; TotalNumVgprs: 0
; ScratchSize: 0
; MemoryBound: 0
; FloatMode: 240
; IeeeMode: 1
; LDSByteSize: 0 bytes/workgroup (compile time only)
; SGPRBlocks: 0
; VGPRBlocks: 0
; NumSGPRsForWavesPerEU: 4
; NumVGPRsForWavesPerEU: 1
; AccumOffset: 4
; Occupancy: 8
; WaveLimiterHint : 0
; COMPUTE_PGM_RSRC2:SCRATCH_EN: 0
; COMPUTE_PGM_RSRC2:USER_SGPR: 6
; COMPUTE_PGM_RSRC2:TRAP_HANDLER: 0
; COMPUTE_PGM_RSRC2:TGID_X_EN: 1
; COMPUTE_PGM_RSRC2:TGID_Y_EN: 0
; COMPUTE_PGM_RSRC2:TGID_Z_EN: 0
; COMPUTE_PGM_RSRC2:TIDIG_COMP_CNT: 0
; COMPUTE_PGM_RSRC3_GFX90A:ACCUM_OFFSET: 0
; COMPUTE_PGM_RSRC3_GFX90A:TG_SPLIT: 0
	.section	.text._ZN7rocprim17ROCPRIM_400000_NS6detail17trampoline_kernelINS0_14default_configENS1_29binary_search_config_selectorIxbEEZNS1_14transform_implILb0ES3_S5_N6thrust23THRUST_200600_302600_NS17counting_iteratorIxNS8_11use_defaultESA_SA_EEPbZNS1_13binary_searchIS3_S5_PxSB_SC_NS1_16binary_search_opENS8_6detail16wrapped_functionINS0_4lessIvEEbEEEE10hipError_tPvRmT1_T2_T3_mmT4_T5_P12ihipStream_tbEUlRKxE_EESL_SP_SQ_mSR_SU_bEUlT_E_NS1_11comp_targetILNS1_3genE9ELNS1_11target_archE1100ELNS1_3gpuE3ELNS1_3repE0EEENS1_30default_config_static_selectorELNS0_4arch9wavefront6targetE1EEEvSO_,"axG",@progbits,_ZN7rocprim17ROCPRIM_400000_NS6detail17trampoline_kernelINS0_14default_configENS1_29binary_search_config_selectorIxbEEZNS1_14transform_implILb0ES3_S5_N6thrust23THRUST_200600_302600_NS17counting_iteratorIxNS8_11use_defaultESA_SA_EEPbZNS1_13binary_searchIS3_S5_PxSB_SC_NS1_16binary_search_opENS8_6detail16wrapped_functionINS0_4lessIvEEbEEEE10hipError_tPvRmT1_T2_T3_mmT4_T5_P12ihipStream_tbEUlRKxE_EESL_SP_SQ_mSR_SU_bEUlT_E_NS1_11comp_targetILNS1_3genE9ELNS1_11target_archE1100ELNS1_3gpuE3ELNS1_3repE0EEENS1_30default_config_static_selectorELNS0_4arch9wavefront6targetE1EEEvSO_,comdat
	.protected	_ZN7rocprim17ROCPRIM_400000_NS6detail17trampoline_kernelINS0_14default_configENS1_29binary_search_config_selectorIxbEEZNS1_14transform_implILb0ES3_S5_N6thrust23THRUST_200600_302600_NS17counting_iteratorIxNS8_11use_defaultESA_SA_EEPbZNS1_13binary_searchIS3_S5_PxSB_SC_NS1_16binary_search_opENS8_6detail16wrapped_functionINS0_4lessIvEEbEEEE10hipError_tPvRmT1_T2_T3_mmT4_T5_P12ihipStream_tbEUlRKxE_EESL_SP_SQ_mSR_SU_bEUlT_E_NS1_11comp_targetILNS1_3genE9ELNS1_11target_archE1100ELNS1_3gpuE3ELNS1_3repE0EEENS1_30default_config_static_selectorELNS0_4arch9wavefront6targetE1EEEvSO_ ; -- Begin function _ZN7rocprim17ROCPRIM_400000_NS6detail17trampoline_kernelINS0_14default_configENS1_29binary_search_config_selectorIxbEEZNS1_14transform_implILb0ES3_S5_N6thrust23THRUST_200600_302600_NS17counting_iteratorIxNS8_11use_defaultESA_SA_EEPbZNS1_13binary_searchIS3_S5_PxSB_SC_NS1_16binary_search_opENS8_6detail16wrapped_functionINS0_4lessIvEEbEEEE10hipError_tPvRmT1_T2_T3_mmT4_T5_P12ihipStream_tbEUlRKxE_EESL_SP_SQ_mSR_SU_bEUlT_E_NS1_11comp_targetILNS1_3genE9ELNS1_11target_archE1100ELNS1_3gpuE3ELNS1_3repE0EEENS1_30default_config_static_selectorELNS0_4arch9wavefront6targetE1EEEvSO_
	.globl	_ZN7rocprim17ROCPRIM_400000_NS6detail17trampoline_kernelINS0_14default_configENS1_29binary_search_config_selectorIxbEEZNS1_14transform_implILb0ES3_S5_N6thrust23THRUST_200600_302600_NS17counting_iteratorIxNS8_11use_defaultESA_SA_EEPbZNS1_13binary_searchIS3_S5_PxSB_SC_NS1_16binary_search_opENS8_6detail16wrapped_functionINS0_4lessIvEEbEEEE10hipError_tPvRmT1_T2_T3_mmT4_T5_P12ihipStream_tbEUlRKxE_EESL_SP_SQ_mSR_SU_bEUlT_E_NS1_11comp_targetILNS1_3genE9ELNS1_11target_archE1100ELNS1_3gpuE3ELNS1_3repE0EEENS1_30default_config_static_selectorELNS0_4arch9wavefront6targetE1EEEvSO_
	.p2align	8
	.type	_ZN7rocprim17ROCPRIM_400000_NS6detail17trampoline_kernelINS0_14default_configENS1_29binary_search_config_selectorIxbEEZNS1_14transform_implILb0ES3_S5_N6thrust23THRUST_200600_302600_NS17counting_iteratorIxNS8_11use_defaultESA_SA_EEPbZNS1_13binary_searchIS3_S5_PxSB_SC_NS1_16binary_search_opENS8_6detail16wrapped_functionINS0_4lessIvEEbEEEE10hipError_tPvRmT1_T2_T3_mmT4_T5_P12ihipStream_tbEUlRKxE_EESL_SP_SQ_mSR_SU_bEUlT_E_NS1_11comp_targetILNS1_3genE9ELNS1_11target_archE1100ELNS1_3gpuE3ELNS1_3repE0EEENS1_30default_config_static_selectorELNS0_4arch9wavefront6targetE1EEEvSO_,@function
_ZN7rocprim17ROCPRIM_400000_NS6detail17trampoline_kernelINS0_14default_configENS1_29binary_search_config_selectorIxbEEZNS1_14transform_implILb0ES3_S5_N6thrust23THRUST_200600_302600_NS17counting_iteratorIxNS8_11use_defaultESA_SA_EEPbZNS1_13binary_searchIS3_S5_PxSB_SC_NS1_16binary_search_opENS8_6detail16wrapped_functionINS0_4lessIvEEbEEEE10hipError_tPvRmT1_T2_T3_mmT4_T5_P12ihipStream_tbEUlRKxE_EESL_SP_SQ_mSR_SU_bEUlT_E_NS1_11comp_targetILNS1_3genE9ELNS1_11target_archE1100ELNS1_3gpuE3ELNS1_3repE0EEENS1_30default_config_static_selectorELNS0_4arch9wavefront6targetE1EEEvSO_: ; @_ZN7rocprim17ROCPRIM_400000_NS6detail17trampoline_kernelINS0_14default_configENS1_29binary_search_config_selectorIxbEEZNS1_14transform_implILb0ES3_S5_N6thrust23THRUST_200600_302600_NS17counting_iteratorIxNS8_11use_defaultESA_SA_EEPbZNS1_13binary_searchIS3_S5_PxSB_SC_NS1_16binary_search_opENS8_6detail16wrapped_functionINS0_4lessIvEEbEEEE10hipError_tPvRmT1_T2_T3_mmT4_T5_P12ihipStream_tbEUlRKxE_EESL_SP_SQ_mSR_SU_bEUlT_E_NS1_11comp_targetILNS1_3genE9ELNS1_11target_archE1100ELNS1_3gpuE3ELNS1_3repE0EEENS1_30default_config_static_selectorELNS0_4arch9wavefront6targetE1EEEvSO_
; %bb.0:
	.section	.rodata,"a",@progbits
	.p2align	6, 0x0
	.amdhsa_kernel _ZN7rocprim17ROCPRIM_400000_NS6detail17trampoline_kernelINS0_14default_configENS1_29binary_search_config_selectorIxbEEZNS1_14transform_implILb0ES3_S5_N6thrust23THRUST_200600_302600_NS17counting_iteratorIxNS8_11use_defaultESA_SA_EEPbZNS1_13binary_searchIS3_S5_PxSB_SC_NS1_16binary_search_opENS8_6detail16wrapped_functionINS0_4lessIvEEbEEEE10hipError_tPvRmT1_T2_T3_mmT4_T5_P12ihipStream_tbEUlRKxE_EESL_SP_SQ_mSR_SU_bEUlT_E_NS1_11comp_targetILNS1_3genE9ELNS1_11target_archE1100ELNS1_3gpuE3ELNS1_3repE0EEENS1_30default_config_static_selectorELNS0_4arch9wavefront6targetE1EEEvSO_
		.amdhsa_group_segment_fixed_size 0
		.amdhsa_private_segment_fixed_size 0
		.amdhsa_kernarg_size 56
		.amdhsa_user_sgpr_count 6
		.amdhsa_user_sgpr_private_segment_buffer 1
		.amdhsa_user_sgpr_dispatch_ptr 0
		.amdhsa_user_sgpr_queue_ptr 0
		.amdhsa_user_sgpr_kernarg_segment_ptr 1
		.amdhsa_user_sgpr_dispatch_id 0
		.amdhsa_user_sgpr_flat_scratch_init 0
		.amdhsa_user_sgpr_kernarg_preload_length 0
		.amdhsa_user_sgpr_kernarg_preload_offset 0
		.amdhsa_user_sgpr_private_segment_size 0
		.amdhsa_uses_dynamic_stack 0
		.amdhsa_system_sgpr_private_segment_wavefront_offset 0
		.amdhsa_system_sgpr_workgroup_id_x 1
		.amdhsa_system_sgpr_workgroup_id_y 0
		.amdhsa_system_sgpr_workgroup_id_z 0
		.amdhsa_system_sgpr_workgroup_info 0
		.amdhsa_system_vgpr_workitem_id 0
		.amdhsa_next_free_vgpr 1
		.amdhsa_next_free_sgpr 0
		.amdhsa_accum_offset 4
		.amdhsa_reserve_vcc 0
		.amdhsa_reserve_flat_scratch 0
		.amdhsa_float_round_mode_32 0
		.amdhsa_float_round_mode_16_64 0
		.amdhsa_float_denorm_mode_32 3
		.amdhsa_float_denorm_mode_16_64 3
		.amdhsa_dx10_clamp 1
		.amdhsa_ieee_mode 1
		.amdhsa_fp16_overflow 0
		.amdhsa_tg_split 0
		.amdhsa_exception_fp_ieee_invalid_op 0
		.amdhsa_exception_fp_denorm_src 0
		.amdhsa_exception_fp_ieee_div_zero 0
		.amdhsa_exception_fp_ieee_overflow 0
		.amdhsa_exception_fp_ieee_underflow 0
		.amdhsa_exception_fp_ieee_inexact 0
		.amdhsa_exception_int_div_zero 0
	.end_amdhsa_kernel
	.section	.text._ZN7rocprim17ROCPRIM_400000_NS6detail17trampoline_kernelINS0_14default_configENS1_29binary_search_config_selectorIxbEEZNS1_14transform_implILb0ES3_S5_N6thrust23THRUST_200600_302600_NS17counting_iteratorIxNS8_11use_defaultESA_SA_EEPbZNS1_13binary_searchIS3_S5_PxSB_SC_NS1_16binary_search_opENS8_6detail16wrapped_functionINS0_4lessIvEEbEEEE10hipError_tPvRmT1_T2_T3_mmT4_T5_P12ihipStream_tbEUlRKxE_EESL_SP_SQ_mSR_SU_bEUlT_E_NS1_11comp_targetILNS1_3genE9ELNS1_11target_archE1100ELNS1_3gpuE3ELNS1_3repE0EEENS1_30default_config_static_selectorELNS0_4arch9wavefront6targetE1EEEvSO_,"axG",@progbits,_ZN7rocprim17ROCPRIM_400000_NS6detail17trampoline_kernelINS0_14default_configENS1_29binary_search_config_selectorIxbEEZNS1_14transform_implILb0ES3_S5_N6thrust23THRUST_200600_302600_NS17counting_iteratorIxNS8_11use_defaultESA_SA_EEPbZNS1_13binary_searchIS3_S5_PxSB_SC_NS1_16binary_search_opENS8_6detail16wrapped_functionINS0_4lessIvEEbEEEE10hipError_tPvRmT1_T2_T3_mmT4_T5_P12ihipStream_tbEUlRKxE_EESL_SP_SQ_mSR_SU_bEUlT_E_NS1_11comp_targetILNS1_3genE9ELNS1_11target_archE1100ELNS1_3gpuE3ELNS1_3repE0EEENS1_30default_config_static_selectorELNS0_4arch9wavefront6targetE1EEEvSO_,comdat
.Lfunc_end227:
	.size	_ZN7rocprim17ROCPRIM_400000_NS6detail17trampoline_kernelINS0_14default_configENS1_29binary_search_config_selectorIxbEEZNS1_14transform_implILb0ES3_S5_N6thrust23THRUST_200600_302600_NS17counting_iteratorIxNS8_11use_defaultESA_SA_EEPbZNS1_13binary_searchIS3_S5_PxSB_SC_NS1_16binary_search_opENS8_6detail16wrapped_functionINS0_4lessIvEEbEEEE10hipError_tPvRmT1_T2_T3_mmT4_T5_P12ihipStream_tbEUlRKxE_EESL_SP_SQ_mSR_SU_bEUlT_E_NS1_11comp_targetILNS1_3genE9ELNS1_11target_archE1100ELNS1_3gpuE3ELNS1_3repE0EEENS1_30default_config_static_selectorELNS0_4arch9wavefront6targetE1EEEvSO_, .Lfunc_end227-_ZN7rocprim17ROCPRIM_400000_NS6detail17trampoline_kernelINS0_14default_configENS1_29binary_search_config_selectorIxbEEZNS1_14transform_implILb0ES3_S5_N6thrust23THRUST_200600_302600_NS17counting_iteratorIxNS8_11use_defaultESA_SA_EEPbZNS1_13binary_searchIS3_S5_PxSB_SC_NS1_16binary_search_opENS8_6detail16wrapped_functionINS0_4lessIvEEbEEEE10hipError_tPvRmT1_T2_T3_mmT4_T5_P12ihipStream_tbEUlRKxE_EESL_SP_SQ_mSR_SU_bEUlT_E_NS1_11comp_targetILNS1_3genE9ELNS1_11target_archE1100ELNS1_3gpuE3ELNS1_3repE0EEENS1_30default_config_static_selectorELNS0_4arch9wavefront6targetE1EEEvSO_
                                        ; -- End function
	.section	.AMDGPU.csdata,"",@progbits
; Kernel info:
; codeLenInByte = 0
; NumSgprs: 4
; NumVgprs: 0
; NumAgprs: 0
; TotalNumVgprs: 0
; ScratchSize: 0
; MemoryBound: 0
; FloatMode: 240
; IeeeMode: 1
; LDSByteSize: 0 bytes/workgroup (compile time only)
; SGPRBlocks: 0
; VGPRBlocks: 0
; NumSGPRsForWavesPerEU: 4
; NumVGPRsForWavesPerEU: 1
; AccumOffset: 4
; Occupancy: 8
; WaveLimiterHint : 0
; COMPUTE_PGM_RSRC2:SCRATCH_EN: 0
; COMPUTE_PGM_RSRC2:USER_SGPR: 6
; COMPUTE_PGM_RSRC2:TRAP_HANDLER: 0
; COMPUTE_PGM_RSRC2:TGID_X_EN: 1
; COMPUTE_PGM_RSRC2:TGID_Y_EN: 0
; COMPUTE_PGM_RSRC2:TGID_Z_EN: 0
; COMPUTE_PGM_RSRC2:TIDIG_COMP_CNT: 0
; COMPUTE_PGM_RSRC3_GFX90A:ACCUM_OFFSET: 0
; COMPUTE_PGM_RSRC3_GFX90A:TG_SPLIT: 0
	.section	.text._ZN7rocprim17ROCPRIM_400000_NS6detail17trampoline_kernelINS0_14default_configENS1_29binary_search_config_selectorIxbEEZNS1_14transform_implILb0ES3_S5_N6thrust23THRUST_200600_302600_NS17counting_iteratorIxNS8_11use_defaultESA_SA_EEPbZNS1_13binary_searchIS3_S5_PxSB_SC_NS1_16binary_search_opENS8_6detail16wrapped_functionINS0_4lessIvEEbEEEE10hipError_tPvRmT1_T2_T3_mmT4_T5_P12ihipStream_tbEUlRKxE_EESL_SP_SQ_mSR_SU_bEUlT_E_NS1_11comp_targetILNS1_3genE8ELNS1_11target_archE1030ELNS1_3gpuE2ELNS1_3repE0EEENS1_30default_config_static_selectorELNS0_4arch9wavefront6targetE1EEEvSO_,"axG",@progbits,_ZN7rocprim17ROCPRIM_400000_NS6detail17trampoline_kernelINS0_14default_configENS1_29binary_search_config_selectorIxbEEZNS1_14transform_implILb0ES3_S5_N6thrust23THRUST_200600_302600_NS17counting_iteratorIxNS8_11use_defaultESA_SA_EEPbZNS1_13binary_searchIS3_S5_PxSB_SC_NS1_16binary_search_opENS8_6detail16wrapped_functionINS0_4lessIvEEbEEEE10hipError_tPvRmT1_T2_T3_mmT4_T5_P12ihipStream_tbEUlRKxE_EESL_SP_SQ_mSR_SU_bEUlT_E_NS1_11comp_targetILNS1_3genE8ELNS1_11target_archE1030ELNS1_3gpuE2ELNS1_3repE0EEENS1_30default_config_static_selectorELNS0_4arch9wavefront6targetE1EEEvSO_,comdat
	.protected	_ZN7rocprim17ROCPRIM_400000_NS6detail17trampoline_kernelINS0_14default_configENS1_29binary_search_config_selectorIxbEEZNS1_14transform_implILb0ES3_S5_N6thrust23THRUST_200600_302600_NS17counting_iteratorIxNS8_11use_defaultESA_SA_EEPbZNS1_13binary_searchIS3_S5_PxSB_SC_NS1_16binary_search_opENS8_6detail16wrapped_functionINS0_4lessIvEEbEEEE10hipError_tPvRmT1_T2_T3_mmT4_T5_P12ihipStream_tbEUlRKxE_EESL_SP_SQ_mSR_SU_bEUlT_E_NS1_11comp_targetILNS1_3genE8ELNS1_11target_archE1030ELNS1_3gpuE2ELNS1_3repE0EEENS1_30default_config_static_selectorELNS0_4arch9wavefront6targetE1EEEvSO_ ; -- Begin function _ZN7rocprim17ROCPRIM_400000_NS6detail17trampoline_kernelINS0_14default_configENS1_29binary_search_config_selectorIxbEEZNS1_14transform_implILb0ES3_S5_N6thrust23THRUST_200600_302600_NS17counting_iteratorIxNS8_11use_defaultESA_SA_EEPbZNS1_13binary_searchIS3_S5_PxSB_SC_NS1_16binary_search_opENS8_6detail16wrapped_functionINS0_4lessIvEEbEEEE10hipError_tPvRmT1_T2_T3_mmT4_T5_P12ihipStream_tbEUlRKxE_EESL_SP_SQ_mSR_SU_bEUlT_E_NS1_11comp_targetILNS1_3genE8ELNS1_11target_archE1030ELNS1_3gpuE2ELNS1_3repE0EEENS1_30default_config_static_selectorELNS0_4arch9wavefront6targetE1EEEvSO_
	.globl	_ZN7rocprim17ROCPRIM_400000_NS6detail17trampoline_kernelINS0_14default_configENS1_29binary_search_config_selectorIxbEEZNS1_14transform_implILb0ES3_S5_N6thrust23THRUST_200600_302600_NS17counting_iteratorIxNS8_11use_defaultESA_SA_EEPbZNS1_13binary_searchIS3_S5_PxSB_SC_NS1_16binary_search_opENS8_6detail16wrapped_functionINS0_4lessIvEEbEEEE10hipError_tPvRmT1_T2_T3_mmT4_T5_P12ihipStream_tbEUlRKxE_EESL_SP_SQ_mSR_SU_bEUlT_E_NS1_11comp_targetILNS1_3genE8ELNS1_11target_archE1030ELNS1_3gpuE2ELNS1_3repE0EEENS1_30default_config_static_selectorELNS0_4arch9wavefront6targetE1EEEvSO_
	.p2align	8
	.type	_ZN7rocprim17ROCPRIM_400000_NS6detail17trampoline_kernelINS0_14default_configENS1_29binary_search_config_selectorIxbEEZNS1_14transform_implILb0ES3_S5_N6thrust23THRUST_200600_302600_NS17counting_iteratorIxNS8_11use_defaultESA_SA_EEPbZNS1_13binary_searchIS3_S5_PxSB_SC_NS1_16binary_search_opENS8_6detail16wrapped_functionINS0_4lessIvEEbEEEE10hipError_tPvRmT1_T2_T3_mmT4_T5_P12ihipStream_tbEUlRKxE_EESL_SP_SQ_mSR_SU_bEUlT_E_NS1_11comp_targetILNS1_3genE8ELNS1_11target_archE1030ELNS1_3gpuE2ELNS1_3repE0EEENS1_30default_config_static_selectorELNS0_4arch9wavefront6targetE1EEEvSO_,@function
_ZN7rocprim17ROCPRIM_400000_NS6detail17trampoline_kernelINS0_14default_configENS1_29binary_search_config_selectorIxbEEZNS1_14transform_implILb0ES3_S5_N6thrust23THRUST_200600_302600_NS17counting_iteratorIxNS8_11use_defaultESA_SA_EEPbZNS1_13binary_searchIS3_S5_PxSB_SC_NS1_16binary_search_opENS8_6detail16wrapped_functionINS0_4lessIvEEbEEEE10hipError_tPvRmT1_T2_T3_mmT4_T5_P12ihipStream_tbEUlRKxE_EESL_SP_SQ_mSR_SU_bEUlT_E_NS1_11comp_targetILNS1_3genE8ELNS1_11target_archE1030ELNS1_3gpuE2ELNS1_3repE0EEENS1_30default_config_static_selectorELNS0_4arch9wavefront6targetE1EEEvSO_: ; @_ZN7rocprim17ROCPRIM_400000_NS6detail17trampoline_kernelINS0_14default_configENS1_29binary_search_config_selectorIxbEEZNS1_14transform_implILb0ES3_S5_N6thrust23THRUST_200600_302600_NS17counting_iteratorIxNS8_11use_defaultESA_SA_EEPbZNS1_13binary_searchIS3_S5_PxSB_SC_NS1_16binary_search_opENS8_6detail16wrapped_functionINS0_4lessIvEEbEEEE10hipError_tPvRmT1_T2_T3_mmT4_T5_P12ihipStream_tbEUlRKxE_EESL_SP_SQ_mSR_SU_bEUlT_E_NS1_11comp_targetILNS1_3genE8ELNS1_11target_archE1030ELNS1_3gpuE2ELNS1_3repE0EEENS1_30default_config_static_selectorELNS0_4arch9wavefront6targetE1EEEvSO_
; %bb.0:
	.section	.rodata,"a",@progbits
	.p2align	6, 0x0
	.amdhsa_kernel _ZN7rocprim17ROCPRIM_400000_NS6detail17trampoline_kernelINS0_14default_configENS1_29binary_search_config_selectorIxbEEZNS1_14transform_implILb0ES3_S5_N6thrust23THRUST_200600_302600_NS17counting_iteratorIxNS8_11use_defaultESA_SA_EEPbZNS1_13binary_searchIS3_S5_PxSB_SC_NS1_16binary_search_opENS8_6detail16wrapped_functionINS0_4lessIvEEbEEEE10hipError_tPvRmT1_T2_T3_mmT4_T5_P12ihipStream_tbEUlRKxE_EESL_SP_SQ_mSR_SU_bEUlT_E_NS1_11comp_targetILNS1_3genE8ELNS1_11target_archE1030ELNS1_3gpuE2ELNS1_3repE0EEENS1_30default_config_static_selectorELNS0_4arch9wavefront6targetE1EEEvSO_
		.amdhsa_group_segment_fixed_size 0
		.amdhsa_private_segment_fixed_size 0
		.amdhsa_kernarg_size 56
		.amdhsa_user_sgpr_count 6
		.amdhsa_user_sgpr_private_segment_buffer 1
		.amdhsa_user_sgpr_dispatch_ptr 0
		.amdhsa_user_sgpr_queue_ptr 0
		.amdhsa_user_sgpr_kernarg_segment_ptr 1
		.amdhsa_user_sgpr_dispatch_id 0
		.amdhsa_user_sgpr_flat_scratch_init 0
		.amdhsa_user_sgpr_kernarg_preload_length 0
		.amdhsa_user_sgpr_kernarg_preload_offset 0
		.amdhsa_user_sgpr_private_segment_size 0
		.amdhsa_uses_dynamic_stack 0
		.amdhsa_system_sgpr_private_segment_wavefront_offset 0
		.amdhsa_system_sgpr_workgroup_id_x 1
		.amdhsa_system_sgpr_workgroup_id_y 0
		.amdhsa_system_sgpr_workgroup_id_z 0
		.amdhsa_system_sgpr_workgroup_info 0
		.amdhsa_system_vgpr_workitem_id 0
		.amdhsa_next_free_vgpr 1
		.amdhsa_next_free_sgpr 0
		.amdhsa_accum_offset 4
		.amdhsa_reserve_vcc 0
		.amdhsa_reserve_flat_scratch 0
		.amdhsa_float_round_mode_32 0
		.amdhsa_float_round_mode_16_64 0
		.amdhsa_float_denorm_mode_32 3
		.amdhsa_float_denorm_mode_16_64 3
		.amdhsa_dx10_clamp 1
		.amdhsa_ieee_mode 1
		.amdhsa_fp16_overflow 0
		.amdhsa_tg_split 0
		.amdhsa_exception_fp_ieee_invalid_op 0
		.amdhsa_exception_fp_denorm_src 0
		.amdhsa_exception_fp_ieee_div_zero 0
		.amdhsa_exception_fp_ieee_overflow 0
		.amdhsa_exception_fp_ieee_underflow 0
		.amdhsa_exception_fp_ieee_inexact 0
		.amdhsa_exception_int_div_zero 0
	.end_amdhsa_kernel
	.section	.text._ZN7rocprim17ROCPRIM_400000_NS6detail17trampoline_kernelINS0_14default_configENS1_29binary_search_config_selectorIxbEEZNS1_14transform_implILb0ES3_S5_N6thrust23THRUST_200600_302600_NS17counting_iteratorIxNS8_11use_defaultESA_SA_EEPbZNS1_13binary_searchIS3_S5_PxSB_SC_NS1_16binary_search_opENS8_6detail16wrapped_functionINS0_4lessIvEEbEEEE10hipError_tPvRmT1_T2_T3_mmT4_T5_P12ihipStream_tbEUlRKxE_EESL_SP_SQ_mSR_SU_bEUlT_E_NS1_11comp_targetILNS1_3genE8ELNS1_11target_archE1030ELNS1_3gpuE2ELNS1_3repE0EEENS1_30default_config_static_selectorELNS0_4arch9wavefront6targetE1EEEvSO_,"axG",@progbits,_ZN7rocprim17ROCPRIM_400000_NS6detail17trampoline_kernelINS0_14default_configENS1_29binary_search_config_selectorIxbEEZNS1_14transform_implILb0ES3_S5_N6thrust23THRUST_200600_302600_NS17counting_iteratorIxNS8_11use_defaultESA_SA_EEPbZNS1_13binary_searchIS3_S5_PxSB_SC_NS1_16binary_search_opENS8_6detail16wrapped_functionINS0_4lessIvEEbEEEE10hipError_tPvRmT1_T2_T3_mmT4_T5_P12ihipStream_tbEUlRKxE_EESL_SP_SQ_mSR_SU_bEUlT_E_NS1_11comp_targetILNS1_3genE8ELNS1_11target_archE1030ELNS1_3gpuE2ELNS1_3repE0EEENS1_30default_config_static_selectorELNS0_4arch9wavefront6targetE1EEEvSO_,comdat
.Lfunc_end228:
	.size	_ZN7rocprim17ROCPRIM_400000_NS6detail17trampoline_kernelINS0_14default_configENS1_29binary_search_config_selectorIxbEEZNS1_14transform_implILb0ES3_S5_N6thrust23THRUST_200600_302600_NS17counting_iteratorIxNS8_11use_defaultESA_SA_EEPbZNS1_13binary_searchIS3_S5_PxSB_SC_NS1_16binary_search_opENS8_6detail16wrapped_functionINS0_4lessIvEEbEEEE10hipError_tPvRmT1_T2_T3_mmT4_T5_P12ihipStream_tbEUlRKxE_EESL_SP_SQ_mSR_SU_bEUlT_E_NS1_11comp_targetILNS1_3genE8ELNS1_11target_archE1030ELNS1_3gpuE2ELNS1_3repE0EEENS1_30default_config_static_selectorELNS0_4arch9wavefront6targetE1EEEvSO_, .Lfunc_end228-_ZN7rocprim17ROCPRIM_400000_NS6detail17trampoline_kernelINS0_14default_configENS1_29binary_search_config_selectorIxbEEZNS1_14transform_implILb0ES3_S5_N6thrust23THRUST_200600_302600_NS17counting_iteratorIxNS8_11use_defaultESA_SA_EEPbZNS1_13binary_searchIS3_S5_PxSB_SC_NS1_16binary_search_opENS8_6detail16wrapped_functionINS0_4lessIvEEbEEEE10hipError_tPvRmT1_T2_T3_mmT4_T5_P12ihipStream_tbEUlRKxE_EESL_SP_SQ_mSR_SU_bEUlT_E_NS1_11comp_targetILNS1_3genE8ELNS1_11target_archE1030ELNS1_3gpuE2ELNS1_3repE0EEENS1_30default_config_static_selectorELNS0_4arch9wavefront6targetE1EEEvSO_
                                        ; -- End function
	.section	.AMDGPU.csdata,"",@progbits
; Kernel info:
; codeLenInByte = 0
; NumSgprs: 4
; NumVgprs: 0
; NumAgprs: 0
; TotalNumVgprs: 0
; ScratchSize: 0
; MemoryBound: 0
; FloatMode: 240
; IeeeMode: 1
; LDSByteSize: 0 bytes/workgroup (compile time only)
; SGPRBlocks: 0
; VGPRBlocks: 0
; NumSGPRsForWavesPerEU: 4
; NumVGPRsForWavesPerEU: 1
; AccumOffset: 4
; Occupancy: 8
; WaveLimiterHint : 0
; COMPUTE_PGM_RSRC2:SCRATCH_EN: 0
; COMPUTE_PGM_RSRC2:USER_SGPR: 6
; COMPUTE_PGM_RSRC2:TRAP_HANDLER: 0
; COMPUTE_PGM_RSRC2:TGID_X_EN: 1
; COMPUTE_PGM_RSRC2:TGID_Y_EN: 0
; COMPUTE_PGM_RSRC2:TGID_Z_EN: 0
; COMPUTE_PGM_RSRC2:TIDIG_COMP_CNT: 0
; COMPUTE_PGM_RSRC3_GFX90A:ACCUM_OFFSET: 0
; COMPUTE_PGM_RSRC3_GFX90A:TG_SPLIT: 0
	.section	.text._Z20binary_search_kernelIiEvmPT_Pb,"axG",@progbits,_Z20binary_search_kernelIiEvmPT_Pb,comdat
	.protected	_Z20binary_search_kernelIiEvmPT_Pb ; -- Begin function _Z20binary_search_kernelIiEvmPT_Pb
	.globl	_Z20binary_search_kernelIiEvmPT_Pb
	.p2align	8
	.type	_Z20binary_search_kernelIiEvmPT_Pb,@function
_Z20binary_search_kernelIiEvmPT_Pb:     ; @_Z20binary_search_kernelIiEvmPT_Pb
; %bb.0:
	s_load_dwordx4 s[8:11], s[4:5], 0x0
	s_load_dwordx2 s[2:3], s[4:5], 0x10
	s_waitcnt lgkmcnt(0)
	s_lshl_b64 s[0:1], s[8:9], 2
	s_ashr_i64 s[4:5], s[0:1], 2
	v_cmp_lt_i64_e64 s[6:7], s[4:5], 1
	s_mov_b64 s[0:1], 0
	s_and_b64 vcc, exec, s[6:7]
	s_cbranch_vccnz .LBB229_3
; %bb.1:
	s_mov_b64 s[6:7], s[4:5]
.LBB229_2:                              ; =>This Inner Loop Header: Depth=1
	s_sub_u32 s12, s6, s0
	s_subb_u32 s13, s7, s1
	s_lshr_b32 s14, s13, 31
	s_add_u32 s12, s12, s14
	s_addc_u32 s13, s13, 0
	s_ashr_i64 s[12:13], s[12:13], 1
	s_add_u32 s12, s12, s0
	s_addc_u32 s13, s13, s1
	s_lshl_b64 s[14:15], s[12:13], 2
	s_add_u32 s14, s10, s14
	s_addc_u32 s15, s11, s15
	s_load_dword s14, s[14:15], 0x0
	s_add_u32 s15, s12, 1
	s_addc_u32 s16, s13, 0
	s_waitcnt lgkmcnt(0)
	s_cmp_lt_i32 s14, 0
	s_cselect_b32 s7, s7, s13
	s_cselect_b32 s6, s6, s12
	;; [unrolled: 1-line block ×4, first 2 shown]
	v_pk_mov_b32 v[0:1], s[6:7], s[6:7] op_sel:[0,1]
	v_cmp_lt_i64_e32 vcc, s[0:1], v[0:1]
	s_cbranch_vccnz .LBB229_2
.LBB229_3:
	v_cmp_gt_i64_e64 s[12:13], s[4:5], 0
	s_mov_b64 s[6:7], 0
	s_cmp_eq_u64 s[0:1], s[8:9]
	s_mov_b64 s[14:15], 0
	s_cbranch_scc1 .LBB229_5
; %bb.4:
	s_lshl_b64 s[0:1], s[0:1], 2
	s_add_u32 s0, s10, s0
	s_addc_u32 s1, s11, s1
	s_load_dword s0, s[0:1], 0x0
	s_waitcnt lgkmcnt(0)
	s_cmp_lt_i32 s0, 1
	s_cselect_b64 s[14:15], -1, 0
.LBB229_5:
	v_cndmask_b32_e64 v2, 0, 1, s[12:13]
	v_mov_b32_e32 v0, 0
	v_cndmask_b32_e64 v1, 0, 1, s[14:15]
	v_cmp_ne_u32_e64 s[0:1], 1, v2
	s_andn2_b64 vcc, exec, s[12:13]
	global_store_byte v0, v1, s[2:3]
	s_cbranch_vccnz .LBB229_8
; %bb.6:
	s_mov_b64 s[12:13], s[4:5]
.LBB229_7:                              ; =>This Inner Loop Header: Depth=1
	s_sub_u32 s14, s12, s6
	s_subb_u32 s15, s13, s7
	s_lshr_b32 s16, s15, 31
	s_add_u32 s14, s14, s16
	s_addc_u32 s15, s15, 0
	s_ashr_i64 s[14:15], s[14:15], 1
	s_add_u32 s14, s14, s6
	s_addc_u32 s15, s15, s7
	s_lshl_b64 s[16:17], s[14:15], 2
	s_add_u32 s16, s10, s16
	s_addc_u32 s17, s11, s17
	s_load_dword s16, s[16:17], 0x0
	s_add_u32 s17, s14, 1
	s_addc_u32 s18, s15, 0
	s_waitcnt lgkmcnt(0)
	s_cmp_lt_i32 s16, 1
	s_cselect_b32 s13, s13, s15
	s_cselect_b32 s12, s12, s14
	;; [unrolled: 1-line block ×4, first 2 shown]
	v_pk_mov_b32 v[0:1], s[12:13], s[12:13] op_sel:[0,1]
	v_cmp_lt_i64_e32 vcc, s[6:7], v[0:1]
	s_cbranch_vccnz .LBB229_7
.LBB229_8:
	s_mov_b64 s[12:13], 0
	s_cmp_eq_u64 s[6:7], s[8:9]
	s_mov_b64 s[14:15], 0
	s_cbranch_scc1 .LBB229_10
; %bb.9:
	s_lshl_b64 s[6:7], s[6:7], 2
	s_add_u32 s6, s10, s6
	s_addc_u32 s7, s11, s7
	s_load_dword s6, s[6:7], 0x0
	s_waitcnt lgkmcnt(0)
	s_cmp_lt_i32 s6, 2
	s_cselect_b64 s[14:15], -1, 0
.LBB229_10:
	v_cndmask_b32_e64 v0, 0, 1, s[14:15]
	v_mov_b32_e32 v1, 0
	s_and_b64 vcc, exec, s[0:1]
	global_store_byte v1, v0, s[2:3] offset:1
	s_cbranch_vccnz .LBB229_13
; %bb.11:
	s_mov_b64 s[6:7], s[4:5]
.LBB229_12:                             ; =>This Inner Loop Header: Depth=1
	s_sub_u32 s14, s6, s12
	s_subb_u32 s15, s7, s13
	s_lshr_b32 s16, s15, 31
	s_add_u32 s14, s14, s16
	s_addc_u32 s15, s15, 0
	s_ashr_i64 s[14:15], s[14:15], 1
	s_add_u32 s14, s14, s12
	s_addc_u32 s15, s15, s13
	s_lshl_b64 s[16:17], s[14:15], 2
	s_add_u32 s16, s10, s16
	s_addc_u32 s17, s11, s17
	s_load_dword s16, s[16:17], 0x0
	s_add_u32 s17, s14, 1
	s_addc_u32 s18, s15, 0
	s_waitcnt lgkmcnt(0)
	s_cmp_lt_i32 s16, 2
	s_cselect_b32 s7, s7, s15
	s_cselect_b32 s6, s6, s14
	s_cselect_b32 s13, s18, s13
	s_cselect_b32 s12, s17, s12
	v_pk_mov_b32 v[0:1], s[6:7], s[6:7] op_sel:[0,1]
	v_cmp_lt_i64_e32 vcc, s[12:13], v[0:1]
	s_cbranch_vccnz .LBB229_12
.LBB229_13:
	s_mov_b64 s[6:7], 0
	s_cmp_eq_u64 s[12:13], s[8:9]
	s_mov_b64 s[14:15], 0
	s_cbranch_scc1 .LBB229_15
; %bb.14:
	s_lshl_b64 s[12:13], s[12:13], 2
	s_add_u32 s12, s10, s12
	s_addc_u32 s13, s11, s13
	s_load_dword s12, s[12:13], 0x0
	s_waitcnt lgkmcnt(0)
	s_cmp_lt_i32 s12, 3
	s_cselect_b64 s[14:15], -1, 0
.LBB229_15:
	v_cndmask_b32_e64 v0, 0, 1, s[14:15]
	v_mov_b32_e32 v1, 0
	s_and_b64 vcc, exec, s[0:1]
	global_store_byte v1, v0, s[2:3] offset:2
	s_cbranch_vccnz .LBB229_18
; %bb.16:
	s_mov_b64 s[12:13], s[4:5]
.LBB229_17:                             ; =>This Inner Loop Header: Depth=1
	s_sub_u32 s14, s12, s6
	s_subb_u32 s15, s13, s7
	s_lshr_b32 s16, s15, 31
	s_add_u32 s14, s14, s16
	s_addc_u32 s15, s15, 0
	s_ashr_i64 s[14:15], s[14:15], 1
	s_add_u32 s14, s14, s6
	s_addc_u32 s15, s15, s7
	s_lshl_b64 s[16:17], s[14:15], 2
	s_add_u32 s16, s10, s16
	s_addc_u32 s17, s11, s17
	s_load_dword s16, s[16:17], 0x0
	s_add_u32 s17, s14, 1
	s_addc_u32 s18, s15, 0
	s_waitcnt lgkmcnt(0)
	s_cmp_lt_i32 s16, 3
	s_cselect_b32 s13, s13, s15
	s_cselect_b32 s12, s12, s14
	s_cselect_b32 s7, s18, s7
	s_cselect_b32 s6, s17, s6
	v_pk_mov_b32 v[0:1], s[12:13], s[12:13] op_sel:[0,1]
	v_cmp_lt_i64_e32 vcc, s[6:7], v[0:1]
	s_cbranch_vccnz .LBB229_17
.LBB229_18:
	;; [unrolled: 45-line block ×7, first 2 shown]
	s_mov_b64 s[6:7], 0
	s_cmp_eq_u64 s[12:13], s[8:9]
	s_mov_b64 s[14:15], 0
	s_cbranch_scc1 .LBB229_45
; %bb.44:
	s_lshl_b64 s[12:13], s[12:13], 2
	s_add_u32 s12, s10, s12
	s_addc_u32 s13, s11, s13
	s_load_dword s12, s[12:13], 0x0
	s_waitcnt lgkmcnt(0)
	s_cmp_lt_i32 s12, 9
	s_cselect_b64 s[14:15], -1, 0
.LBB229_45:
	v_cndmask_b32_e64 v0, 0, 1, s[14:15]
	v_mov_b32_e32 v1, 0
	s_and_b64 vcc, exec, s[0:1]
	global_store_byte v1, v0, s[2:3] offset:8
	s_cbranch_vccnz .LBB229_47
.LBB229_46:                             ; =>This Inner Loop Header: Depth=1
	s_sub_u32 s0, s4, s6
	s_subb_u32 s1, s5, s7
	s_lshr_b32 s12, s1, 31
	s_add_u32 s0, s0, s12
	s_addc_u32 s1, s1, 0
	s_ashr_i64 s[0:1], s[0:1], 1
	s_add_u32 s0, s0, s6
	s_addc_u32 s1, s1, s7
	s_lshl_b64 s[12:13], s[0:1], 2
	s_add_u32 s12, s10, s12
	s_addc_u32 s13, s11, s13
	s_load_dword s12, s[12:13], 0x0
	s_add_u32 s13, s0, 1
	s_addc_u32 s14, s1, 0
	s_waitcnt lgkmcnt(0)
	s_cmp_lt_i32 s12, 9
	s_cselect_b32 s5, s5, s1
	s_cselect_b32 s4, s4, s0
	;; [unrolled: 1-line block ×4, first 2 shown]
	v_pk_mov_b32 v[0:1], s[4:5], s[4:5] op_sel:[0,1]
	v_cmp_lt_i64_e32 vcc, s[6:7], v[0:1]
	s_cbranch_vccnz .LBB229_46
.LBB229_47:
	s_cmp_eq_u64 s[6:7], s[8:9]
	s_mov_b64 s[0:1], 0
	s_cbranch_scc1 .LBB229_49
; %bb.48:
	s_lshl_b64 s[0:1], s[6:7], 2
	s_add_u32 s0, s10, s0
	s_addc_u32 s1, s11, s1
	s_load_dword s0, s[0:1], 0x0
	s_waitcnt lgkmcnt(0)
	s_cmp_lt_i32 s0, 10
	s_cselect_b64 s[0:1], -1, 0
.LBB229_49:
	v_mov_b32_e32 v0, 0
	v_cndmask_b32_e64 v1, 0, 1, s[0:1]
	global_store_byte v0, v1, s[2:3] offset:9
	s_endpgm
	.section	.rodata,"a",@progbits
	.p2align	6, 0x0
	.amdhsa_kernel _Z20binary_search_kernelIiEvmPT_Pb
		.amdhsa_group_segment_fixed_size 0
		.amdhsa_private_segment_fixed_size 0
		.amdhsa_kernarg_size 24
		.amdhsa_user_sgpr_count 6
		.amdhsa_user_sgpr_private_segment_buffer 1
		.amdhsa_user_sgpr_dispatch_ptr 0
		.amdhsa_user_sgpr_queue_ptr 0
		.amdhsa_user_sgpr_kernarg_segment_ptr 1
		.amdhsa_user_sgpr_dispatch_id 0
		.amdhsa_user_sgpr_flat_scratch_init 0
		.amdhsa_user_sgpr_kernarg_preload_length 0
		.amdhsa_user_sgpr_kernarg_preload_offset 0
		.amdhsa_user_sgpr_private_segment_size 0
		.amdhsa_uses_dynamic_stack 0
		.amdhsa_system_sgpr_private_segment_wavefront_offset 0
		.amdhsa_system_sgpr_workgroup_id_x 1
		.amdhsa_system_sgpr_workgroup_id_y 0
		.amdhsa_system_sgpr_workgroup_id_z 0
		.amdhsa_system_sgpr_workgroup_info 0
		.amdhsa_system_vgpr_workitem_id 0
		.amdhsa_next_free_vgpr 3
		.amdhsa_next_free_sgpr 19
		.amdhsa_accum_offset 4
		.amdhsa_reserve_vcc 1
		.amdhsa_reserve_flat_scratch 0
		.amdhsa_float_round_mode_32 0
		.amdhsa_float_round_mode_16_64 0
		.amdhsa_float_denorm_mode_32 3
		.amdhsa_float_denorm_mode_16_64 3
		.amdhsa_dx10_clamp 1
		.amdhsa_ieee_mode 1
		.amdhsa_fp16_overflow 0
		.amdhsa_tg_split 0
		.amdhsa_exception_fp_ieee_invalid_op 0
		.amdhsa_exception_fp_denorm_src 0
		.amdhsa_exception_fp_ieee_div_zero 0
		.amdhsa_exception_fp_ieee_overflow 0
		.amdhsa_exception_fp_ieee_underflow 0
		.amdhsa_exception_fp_ieee_inexact 0
		.amdhsa_exception_int_div_zero 0
	.end_amdhsa_kernel
	.section	.text._Z20binary_search_kernelIiEvmPT_Pb,"axG",@progbits,_Z20binary_search_kernelIiEvmPT_Pb,comdat
.Lfunc_end229:
	.size	_Z20binary_search_kernelIiEvmPT_Pb, .Lfunc_end229-_Z20binary_search_kernelIiEvmPT_Pb
                                        ; -- End function
	.section	.AMDGPU.csdata,"",@progbits
; Kernel info:
; codeLenInByte = 1860
; NumSgprs: 23
; NumVgprs: 3
; NumAgprs: 0
; TotalNumVgprs: 3
; ScratchSize: 0
; MemoryBound: 0
; FloatMode: 240
; IeeeMode: 1
; LDSByteSize: 0 bytes/workgroup (compile time only)
; SGPRBlocks: 2
; VGPRBlocks: 0
; NumSGPRsForWavesPerEU: 23
; NumVGPRsForWavesPerEU: 3
; AccumOffset: 4
; Occupancy: 8
; WaveLimiterHint : 0
; COMPUTE_PGM_RSRC2:SCRATCH_EN: 0
; COMPUTE_PGM_RSRC2:USER_SGPR: 6
; COMPUTE_PGM_RSRC2:TRAP_HANDLER: 0
; COMPUTE_PGM_RSRC2:TGID_X_EN: 1
; COMPUTE_PGM_RSRC2:TGID_Y_EN: 0
; COMPUTE_PGM_RSRC2:TGID_Z_EN: 0
; COMPUTE_PGM_RSRC2:TIDIG_COMP_CNT: 0
; COMPUTE_PGM_RSRC3_GFX90A:ACCUM_OFFSET: 0
; COMPUTE_PGM_RSRC3_GFX90A:TG_SPLIT: 0
	.section	.text._ZN7rocprim17ROCPRIM_400000_NS6detail17trampoline_kernelINS0_14default_configENS1_29binary_search_config_selectorIibEEZNS1_14transform_implILb0ES3_S5_N6thrust23THRUST_200600_302600_NS17counting_iteratorIiNS8_11use_defaultESA_SA_EEPbZNS1_13binary_searchIS3_S5_PiSB_SC_NS1_16binary_search_opENS8_6detail16wrapped_functionINS0_4lessIvEEbEEEE10hipError_tPvRmT1_T2_T3_mmT4_T5_P12ihipStream_tbEUlRKiE_EESL_SP_SQ_mSR_SU_bEUlT_E_NS1_11comp_targetILNS1_3genE0ELNS1_11target_archE4294967295ELNS1_3gpuE0ELNS1_3repE0EEENS1_30default_config_static_selectorELNS0_4arch9wavefront6targetE1EEEvSO_,"axG",@progbits,_ZN7rocprim17ROCPRIM_400000_NS6detail17trampoline_kernelINS0_14default_configENS1_29binary_search_config_selectorIibEEZNS1_14transform_implILb0ES3_S5_N6thrust23THRUST_200600_302600_NS17counting_iteratorIiNS8_11use_defaultESA_SA_EEPbZNS1_13binary_searchIS3_S5_PiSB_SC_NS1_16binary_search_opENS8_6detail16wrapped_functionINS0_4lessIvEEbEEEE10hipError_tPvRmT1_T2_T3_mmT4_T5_P12ihipStream_tbEUlRKiE_EESL_SP_SQ_mSR_SU_bEUlT_E_NS1_11comp_targetILNS1_3genE0ELNS1_11target_archE4294967295ELNS1_3gpuE0ELNS1_3repE0EEENS1_30default_config_static_selectorELNS0_4arch9wavefront6targetE1EEEvSO_,comdat
	.protected	_ZN7rocprim17ROCPRIM_400000_NS6detail17trampoline_kernelINS0_14default_configENS1_29binary_search_config_selectorIibEEZNS1_14transform_implILb0ES3_S5_N6thrust23THRUST_200600_302600_NS17counting_iteratorIiNS8_11use_defaultESA_SA_EEPbZNS1_13binary_searchIS3_S5_PiSB_SC_NS1_16binary_search_opENS8_6detail16wrapped_functionINS0_4lessIvEEbEEEE10hipError_tPvRmT1_T2_T3_mmT4_T5_P12ihipStream_tbEUlRKiE_EESL_SP_SQ_mSR_SU_bEUlT_E_NS1_11comp_targetILNS1_3genE0ELNS1_11target_archE4294967295ELNS1_3gpuE0ELNS1_3repE0EEENS1_30default_config_static_selectorELNS0_4arch9wavefront6targetE1EEEvSO_ ; -- Begin function _ZN7rocprim17ROCPRIM_400000_NS6detail17trampoline_kernelINS0_14default_configENS1_29binary_search_config_selectorIibEEZNS1_14transform_implILb0ES3_S5_N6thrust23THRUST_200600_302600_NS17counting_iteratorIiNS8_11use_defaultESA_SA_EEPbZNS1_13binary_searchIS3_S5_PiSB_SC_NS1_16binary_search_opENS8_6detail16wrapped_functionINS0_4lessIvEEbEEEE10hipError_tPvRmT1_T2_T3_mmT4_T5_P12ihipStream_tbEUlRKiE_EESL_SP_SQ_mSR_SU_bEUlT_E_NS1_11comp_targetILNS1_3genE0ELNS1_11target_archE4294967295ELNS1_3gpuE0ELNS1_3repE0EEENS1_30default_config_static_selectorELNS0_4arch9wavefront6targetE1EEEvSO_
	.globl	_ZN7rocprim17ROCPRIM_400000_NS6detail17trampoline_kernelINS0_14default_configENS1_29binary_search_config_selectorIibEEZNS1_14transform_implILb0ES3_S5_N6thrust23THRUST_200600_302600_NS17counting_iteratorIiNS8_11use_defaultESA_SA_EEPbZNS1_13binary_searchIS3_S5_PiSB_SC_NS1_16binary_search_opENS8_6detail16wrapped_functionINS0_4lessIvEEbEEEE10hipError_tPvRmT1_T2_T3_mmT4_T5_P12ihipStream_tbEUlRKiE_EESL_SP_SQ_mSR_SU_bEUlT_E_NS1_11comp_targetILNS1_3genE0ELNS1_11target_archE4294967295ELNS1_3gpuE0ELNS1_3repE0EEENS1_30default_config_static_selectorELNS0_4arch9wavefront6targetE1EEEvSO_
	.p2align	8
	.type	_ZN7rocprim17ROCPRIM_400000_NS6detail17trampoline_kernelINS0_14default_configENS1_29binary_search_config_selectorIibEEZNS1_14transform_implILb0ES3_S5_N6thrust23THRUST_200600_302600_NS17counting_iteratorIiNS8_11use_defaultESA_SA_EEPbZNS1_13binary_searchIS3_S5_PiSB_SC_NS1_16binary_search_opENS8_6detail16wrapped_functionINS0_4lessIvEEbEEEE10hipError_tPvRmT1_T2_T3_mmT4_T5_P12ihipStream_tbEUlRKiE_EESL_SP_SQ_mSR_SU_bEUlT_E_NS1_11comp_targetILNS1_3genE0ELNS1_11target_archE4294967295ELNS1_3gpuE0ELNS1_3repE0EEENS1_30default_config_static_selectorELNS0_4arch9wavefront6targetE1EEEvSO_,@function
_ZN7rocprim17ROCPRIM_400000_NS6detail17trampoline_kernelINS0_14default_configENS1_29binary_search_config_selectorIibEEZNS1_14transform_implILb0ES3_S5_N6thrust23THRUST_200600_302600_NS17counting_iteratorIiNS8_11use_defaultESA_SA_EEPbZNS1_13binary_searchIS3_S5_PiSB_SC_NS1_16binary_search_opENS8_6detail16wrapped_functionINS0_4lessIvEEbEEEE10hipError_tPvRmT1_T2_T3_mmT4_T5_P12ihipStream_tbEUlRKiE_EESL_SP_SQ_mSR_SU_bEUlT_E_NS1_11comp_targetILNS1_3genE0ELNS1_11target_archE4294967295ELNS1_3gpuE0ELNS1_3repE0EEENS1_30default_config_static_selectorELNS0_4arch9wavefront6targetE1EEEvSO_: ; @_ZN7rocprim17ROCPRIM_400000_NS6detail17trampoline_kernelINS0_14default_configENS1_29binary_search_config_selectorIibEEZNS1_14transform_implILb0ES3_S5_N6thrust23THRUST_200600_302600_NS17counting_iteratorIiNS8_11use_defaultESA_SA_EEPbZNS1_13binary_searchIS3_S5_PiSB_SC_NS1_16binary_search_opENS8_6detail16wrapped_functionINS0_4lessIvEEbEEEE10hipError_tPvRmT1_T2_T3_mmT4_T5_P12ihipStream_tbEUlRKiE_EESL_SP_SQ_mSR_SU_bEUlT_E_NS1_11comp_targetILNS1_3genE0ELNS1_11target_archE4294967295ELNS1_3gpuE0ELNS1_3repE0EEENS1_30default_config_static_selectorELNS0_4arch9wavefront6targetE1EEEvSO_
; %bb.0:
	.section	.rodata,"a",@progbits
	.p2align	6, 0x0
	.amdhsa_kernel _ZN7rocprim17ROCPRIM_400000_NS6detail17trampoline_kernelINS0_14default_configENS1_29binary_search_config_selectorIibEEZNS1_14transform_implILb0ES3_S5_N6thrust23THRUST_200600_302600_NS17counting_iteratorIiNS8_11use_defaultESA_SA_EEPbZNS1_13binary_searchIS3_S5_PiSB_SC_NS1_16binary_search_opENS8_6detail16wrapped_functionINS0_4lessIvEEbEEEE10hipError_tPvRmT1_T2_T3_mmT4_T5_P12ihipStream_tbEUlRKiE_EESL_SP_SQ_mSR_SU_bEUlT_E_NS1_11comp_targetILNS1_3genE0ELNS1_11target_archE4294967295ELNS1_3gpuE0ELNS1_3repE0EEENS1_30default_config_static_selectorELNS0_4arch9wavefront6targetE1EEEvSO_
		.amdhsa_group_segment_fixed_size 0
		.amdhsa_private_segment_fixed_size 0
		.amdhsa_kernarg_size 56
		.amdhsa_user_sgpr_count 6
		.amdhsa_user_sgpr_private_segment_buffer 1
		.amdhsa_user_sgpr_dispatch_ptr 0
		.amdhsa_user_sgpr_queue_ptr 0
		.amdhsa_user_sgpr_kernarg_segment_ptr 1
		.amdhsa_user_sgpr_dispatch_id 0
		.amdhsa_user_sgpr_flat_scratch_init 0
		.amdhsa_user_sgpr_kernarg_preload_length 0
		.amdhsa_user_sgpr_kernarg_preload_offset 0
		.amdhsa_user_sgpr_private_segment_size 0
		.amdhsa_uses_dynamic_stack 0
		.amdhsa_system_sgpr_private_segment_wavefront_offset 0
		.amdhsa_system_sgpr_workgroup_id_x 1
		.amdhsa_system_sgpr_workgroup_id_y 0
		.amdhsa_system_sgpr_workgroup_id_z 0
		.amdhsa_system_sgpr_workgroup_info 0
		.amdhsa_system_vgpr_workitem_id 0
		.amdhsa_next_free_vgpr 1
		.amdhsa_next_free_sgpr 0
		.amdhsa_accum_offset 4
		.amdhsa_reserve_vcc 0
		.amdhsa_reserve_flat_scratch 0
		.amdhsa_float_round_mode_32 0
		.amdhsa_float_round_mode_16_64 0
		.amdhsa_float_denorm_mode_32 3
		.amdhsa_float_denorm_mode_16_64 3
		.amdhsa_dx10_clamp 1
		.amdhsa_ieee_mode 1
		.amdhsa_fp16_overflow 0
		.amdhsa_tg_split 0
		.amdhsa_exception_fp_ieee_invalid_op 0
		.amdhsa_exception_fp_denorm_src 0
		.amdhsa_exception_fp_ieee_div_zero 0
		.amdhsa_exception_fp_ieee_overflow 0
		.amdhsa_exception_fp_ieee_underflow 0
		.amdhsa_exception_fp_ieee_inexact 0
		.amdhsa_exception_int_div_zero 0
	.end_amdhsa_kernel
	.section	.text._ZN7rocprim17ROCPRIM_400000_NS6detail17trampoline_kernelINS0_14default_configENS1_29binary_search_config_selectorIibEEZNS1_14transform_implILb0ES3_S5_N6thrust23THRUST_200600_302600_NS17counting_iteratorIiNS8_11use_defaultESA_SA_EEPbZNS1_13binary_searchIS3_S5_PiSB_SC_NS1_16binary_search_opENS8_6detail16wrapped_functionINS0_4lessIvEEbEEEE10hipError_tPvRmT1_T2_T3_mmT4_T5_P12ihipStream_tbEUlRKiE_EESL_SP_SQ_mSR_SU_bEUlT_E_NS1_11comp_targetILNS1_3genE0ELNS1_11target_archE4294967295ELNS1_3gpuE0ELNS1_3repE0EEENS1_30default_config_static_selectorELNS0_4arch9wavefront6targetE1EEEvSO_,"axG",@progbits,_ZN7rocprim17ROCPRIM_400000_NS6detail17trampoline_kernelINS0_14default_configENS1_29binary_search_config_selectorIibEEZNS1_14transform_implILb0ES3_S5_N6thrust23THRUST_200600_302600_NS17counting_iteratorIiNS8_11use_defaultESA_SA_EEPbZNS1_13binary_searchIS3_S5_PiSB_SC_NS1_16binary_search_opENS8_6detail16wrapped_functionINS0_4lessIvEEbEEEE10hipError_tPvRmT1_T2_T3_mmT4_T5_P12ihipStream_tbEUlRKiE_EESL_SP_SQ_mSR_SU_bEUlT_E_NS1_11comp_targetILNS1_3genE0ELNS1_11target_archE4294967295ELNS1_3gpuE0ELNS1_3repE0EEENS1_30default_config_static_selectorELNS0_4arch9wavefront6targetE1EEEvSO_,comdat
.Lfunc_end230:
	.size	_ZN7rocprim17ROCPRIM_400000_NS6detail17trampoline_kernelINS0_14default_configENS1_29binary_search_config_selectorIibEEZNS1_14transform_implILb0ES3_S5_N6thrust23THRUST_200600_302600_NS17counting_iteratorIiNS8_11use_defaultESA_SA_EEPbZNS1_13binary_searchIS3_S5_PiSB_SC_NS1_16binary_search_opENS8_6detail16wrapped_functionINS0_4lessIvEEbEEEE10hipError_tPvRmT1_T2_T3_mmT4_T5_P12ihipStream_tbEUlRKiE_EESL_SP_SQ_mSR_SU_bEUlT_E_NS1_11comp_targetILNS1_3genE0ELNS1_11target_archE4294967295ELNS1_3gpuE0ELNS1_3repE0EEENS1_30default_config_static_selectorELNS0_4arch9wavefront6targetE1EEEvSO_, .Lfunc_end230-_ZN7rocprim17ROCPRIM_400000_NS6detail17trampoline_kernelINS0_14default_configENS1_29binary_search_config_selectorIibEEZNS1_14transform_implILb0ES3_S5_N6thrust23THRUST_200600_302600_NS17counting_iteratorIiNS8_11use_defaultESA_SA_EEPbZNS1_13binary_searchIS3_S5_PiSB_SC_NS1_16binary_search_opENS8_6detail16wrapped_functionINS0_4lessIvEEbEEEE10hipError_tPvRmT1_T2_T3_mmT4_T5_P12ihipStream_tbEUlRKiE_EESL_SP_SQ_mSR_SU_bEUlT_E_NS1_11comp_targetILNS1_3genE0ELNS1_11target_archE4294967295ELNS1_3gpuE0ELNS1_3repE0EEENS1_30default_config_static_selectorELNS0_4arch9wavefront6targetE1EEEvSO_
                                        ; -- End function
	.section	.AMDGPU.csdata,"",@progbits
; Kernel info:
; codeLenInByte = 0
; NumSgprs: 4
; NumVgprs: 0
; NumAgprs: 0
; TotalNumVgprs: 0
; ScratchSize: 0
; MemoryBound: 0
; FloatMode: 240
; IeeeMode: 1
; LDSByteSize: 0 bytes/workgroup (compile time only)
; SGPRBlocks: 0
; VGPRBlocks: 0
; NumSGPRsForWavesPerEU: 4
; NumVGPRsForWavesPerEU: 1
; AccumOffset: 4
; Occupancy: 8
; WaveLimiterHint : 0
; COMPUTE_PGM_RSRC2:SCRATCH_EN: 0
; COMPUTE_PGM_RSRC2:USER_SGPR: 6
; COMPUTE_PGM_RSRC2:TRAP_HANDLER: 0
; COMPUTE_PGM_RSRC2:TGID_X_EN: 1
; COMPUTE_PGM_RSRC2:TGID_Y_EN: 0
; COMPUTE_PGM_RSRC2:TGID_Z_EN: 0
; COMPUTE_PGM_RSRC2:TIDIG_COMP_CNT: 0
; COMPUTE_PGM_RSRC3_GFX90A:ACCUM_OFFSET: 0
; COMPUTE_PGM_RSRC3_GFX90A:TG_SPLIT: 0
	.section	.text._ZN7rocprim17ROCPRIM_400000_NS6detail17trampoline_kernelINS0_14default_configENS1_29binary_search_config_selectorIibEEZNS1_14transform_implILb0ES3_S5_N6thrust23THRUST_200600_302600_NS17counting_iteratorIiNS8_11use_defaultESA_SA_EEPbZNS1_13binary_searchIS3_S5_PiSB_SC_NS1_16binary_search_opENS8_6detail16wrapped_functionINS0_4lessIvEEbEEEE10hipError_tPvRmT1_T2_T3_mmT4_T5_P12ihipStream_tbEUlRKiE_EESL_SP_SQ_mSR_SU_bEUlT_E_NS1_11comp_targetILNS1_3genE5ELNS1_11target_archE942ELNS1_3gpuE9ELNS1_3repE0EEENS1_30default_config_static_selectorELNS0_4arch9wavefront6targetE1EEEvSO_,"axG",@progbits,_ZN7rocprim17ROCPRIM_400000_NS6detail17trampoline_kernelINS0_14default_configENS1_29binary_search_config_selectorIibEEZNS1_14transform_implILb0ES3_S5_N6thrust23THRUST_200600_302600_NS17counting_iteratorIiNS8_11use_defaultESA_SA_EEPbZNS1_13binary_searchIS3_S5_PiSB_SC_NS1_16binary_search_opENS8_6detail16wrapped_functionINS0_4lessIvEEbEEEE10hipError_tPvRmT1_T2_T3_mmT4_T5_P12ihipStream_tbEUlRKiE_EESL_SP_SQ_mSR_SU_bEUlT_E_NS1_11comp_targetILNS1_3genE5ELNS1_11target_archE942ELNS1_3gpuE9ELNS1_3repE0EEENS1_30default_config_static_selectorELNS0_4arch9wavefront6targetE1EEEvSO_,comdat
	.protected	_ZN7rocprim17ROCPRIM_400000_NS6detail17trampoline_kernelINS0_14default_configENS1_29binary_search_config_selectorIibEEZNS1_14transform_implILb0ES3_S5_N6thrust23THRUST_200600_302600_NS17counting_iteratorIiNS8_11use_defaultESA_SA_EEPbZNS1_13binary_searchIS3_S5_PiSB_SC_NS1_16binary_search_opENS8_6detail16wrapped_functionINS0_4lessIvEEbEEEE10hipError_tPvRmT1_T2_T3_mmT4_T5_P12ihipStream_tbEUlRKiE_EESL_SP_SQ_mSR_SU_bEUlT_E_NS1_11comp_targetILNS1_3genE5ELNS1_11target_archE942ELNS1_3gpuE9ELNS1_3repE0EEENS1_30default_config_static_selectorELNS0_4arch9wavefront6targetE1EEEvSO_ ; -- Begin function _ZN7rocprim17ROCPRIM_400000_NS6detail17trampoline_kernelINS0_14default_configENS1_29binary_search_config_selectorIibEEZNS1_14transform_implILb0ES3_S5_N6thrust23THRUST_200600_302600_NS17counting_iteratorIiNS8_11use_defaultESA_SA_EEPbZNS1_13binary_searchIS3_S5_PiSB_SC_NS1_16binary_search_opENS8_6detail16wrapped_functionINS0_4lessIvEEbEEEE10hipError_tPvRmT1_T2_T3_mmT4_T5_P12ihipStream_tbEUlRKiE_EESL_SP_SQ_mSR_SU_bEUlT_E_NS1_11comp_targetILNS1_3genE5ELNS1_11target_archE942ELNS1_3gpuE9ELNS1_3repE0EEENS1_30default_config_static_selectorELNS0_4arch9wavefront6targetE1EEEvSO_
	.globl	_ZN7rocprim17ROCPRIM_400000_NS6detail17trampoline_kernelINS0_14default_configENS1_29binary_search_config_selectorIibEEZNS1_14transform_implILb0ES3_S5_N6thrust23THRUST_200600_302600_NS17counting_iteratorIiNS8_11use_defaultESA_SA_EEPbZNS1_13binary_searchIS3_S5_PiSB_SC_NS1_16binary_search_opENS8_6detail16wrapped_functionINS0_4lessIvEEbEEEE10hipError_tPvRmT1_T2_T3_mmT4_T5_P12ihipStream_tbEUlRKiE_EESL_SP_SQ_mSR_SU_bEUlT_E_NS1_11comp_targetILNS1_3genE5ELNS1_11target_archE942ELNS1_3gpuE9ELNS1_3repE0EEENS1_30default_config_static_selectorELNS0_4arch9wavefront6targetE1EEEvSO_
	.p2align	8
	.type	_ZN7rocprim17ROCPRIM_400000_NS6detail17trampoline_kernelINS0_14default_configENS1_29binary_search_config_selectorIibEEZNS1_14transform_implILb0ES3_S5_N6thrust23THRUST_200600_302600_NS17counting_iteratorIiNS8_11use_defaultESA_SA_EEPbZNS1_13binary_searchIS3_S5_PiSB_SC_NS1_16binary_search_opENS8_6detail16wrapped_functionINS0_4lessIvEEbEEEE10hipError_tPvRmT1_T2_T3_mmT4_T5_P12ihipStream_tbEUlRKiE_EESL_SP_SQ_mSR_SU_bEUlT_E_NS1_11comp_targetILNS1_3genE5ELNS1_11target_archE942ELNS1_3gpuE9ELNS1_3repE0EEENS1_30default_config_static_selectorELNS0_4arch9wavefront6targetE1EEEvSO_,@function
_ZN7rocprim17ROCPRIM_400000_NS6detail17trampoline_kernelINS0_14default_configENS1_29binary_search_config_selectorIibEEZNS1_14transform_implILb0ES3_S5_N6thrust23THRUST_200600_302600_NS17counting_iteratorIiNS8_11use_defaultESA_SA_EEPbZNS1_13binary_searchIS3_S5_PiSB_SC_NS1_16binary_search_opENS8_6detail16wrapped_functionINS0_4lessIvEEbEEEE10hipError_tPvRmT1_T2_T3_mmT4_T5_P12ihipStream_tbEUlRKiE_EESL_SP_SQ_mSR_SU_bEUlT_E_NS1_11comp_targetILNS1_3genE5ELNS1_11target_archE942ELNS1_3gpuE9ELNS1_3repE0EEENS1_30default_config_static_selectorELNS0_4arch9wavefront6targetE1EEEvSO_: ; @_ZN7rocprim17ROCPRIM_400000_NS6detail17trampoline_kernelINS0_14default_configENS1_29binary_search_config_selectorIibEEZNS1_14transform_implILb0ES3_S5_N6thrust23THRUST_200600_302600_NS17counting_iteratorIiNS8_11use_defaultESA_SA_EEPbZNS1_13binary_searchIS3_S5_PiSB_SC_NS1_16binary_search_opENS8_6detail16wrapped_functionINS0_4lessIvEEbEEEE10hipError_tPvRmT1_T2_T3_mmT4_T5_P12ihipStream_tbEUlRKiE_EESL_SP_SQ_mSR_SU_bEUlT_E_NS1_11comp_targetILNS1_3genE5ELNS1_11target_archE942ELNS1_3gpuE9ELNS1_3repE0EEENS1_30default_config_static_selectorELNS0_4arch9wavefront6targetE1EEEvSO_
; %bb.0:
	.section	.rodata,"a",@progbits
	.p2align	6, 0x0
	.amdhsa_kernel _ZN7rocprim17ROCPRIM_400000_NS6detail17trampoline_kernelINS0_14default_configENS1_29binary_search_config_selectorIibEEZNS1_14transform_implILb0ES3_S5_N6thrust23THRUST_200600_302600_NS17counting_iteratorIiNS8_11use_defaultESA_SA_EEPbZNS1_13binary_searchIS3_S5_PiSB_SC_NS1_16binary_search_opENS8_6detail16wrapped_functionINS0_4lessIvEEbEEEE10hipError_tPvRmT1_T2_T3_mmT4_T5_P12ihipStream_tbEUlRKiE_EESL_SP_SQ_mSR_SU_bEUlT_E_NS1_11comp_targetILNS1_3genE5ELNS1_11target_archE942ELNS1_3gpuE9ELNS1_3repE0EEENS1_30default_config_static_selectorELNS0_4arch9wavefront6targetE1EEEvSO_
		.amdhsa_group_segment_fixed_size 0
		.amdhsa_private_segment_fixed_size 0
		.amdhsa_kernarg_size 56
		.amdhsa_user_sgpr_count 6
		.amdhsa_user_sgpr_private_segment_buffer 1
		.amdhsa_user_sgpr_dispatch_ptr 0
		.amdhsa_user_sgpr_queue_ptr 0
		.amdhsa_user_sgpr_kernarg_segment_ptr 1
		.amdhsa_user_sgpr_dispatch_id 0
		.amdhsa_user_sgpr_flat_scratch_init 0
		.amdhsa_user_sgpr_kernarg_preload_length 0
		.amdhsa_user_sgpr_kernarg_preload_offset 0
		.amdhsa_user_sgpr_private_segment_size 0
		.amdhsa_uses_dynamic_stack 0
		.amdhsa_system_sgpr_private_segment_wavefront_offset 0
		.amdhsa_system_sgpr_workgroup_id_x 1
		.amdhsa_system_sgpr_workgroup_id_y 0
		.amdhsa_system_sgpr_workgroup_id_z 0
		.amdhsa_system_sgpr_workgroup_info 0
		.amdhsa_system_vgpr_workitem_id 0
		.amdhsa_next_free_vgpr 1
		.amdhsa_next_free_sgpr 0
		.amdhsa_accum_offset 4
		.amdhsa_reserve_vcc 0
		.amdhsa_reserve_flat_scratch 0
		.amdhsa_float_round_mode_32 0
		.amdhsa_float_round_mode_16_64 0
		.amdhsa_float_denorm_mode_32 3
		.amdhsa_float_denorm_mode_16_64 3
		.amdhsa_dx10_clamp 1
		.amdhsa_ieee_mode 1
		.amdhsa_fp16_overflow 0
		.amdhsa_tg_split 0
		.amdhsa_exception_fp_ieee_invalid_op 0
		.amdhsa_exception_fp_denorm_src 0
		.amdhsa_exception_fp_ieee_div_zero 0
		.amdhsa_exception_fp_ieee_overflow 0
		.amdhsa_exception_fp_ieee_underflow 0
		.amdhsa_exception_fp_ieee_inexact 0
		.amdhsa_exception_int_div_zero 0
	.end_amdhsa_kernel
	.section	.text._ZN7rocprim17ROCPRIM_400000_NS6detail17trampoline_kernelINS0_14default_configENS1_29binary_search_config_selectorIibEEZNS1_14transform_implILb0ES3_S5_N6thrust23THRUST_200600_302600_NS17counting_iteratorIiNS8_11use_defaultESA_SA_EEPbZNS1_13binary_searchIS3_S5_PiSB_SC_NS1_16binary_search_opENS8_6detail16wrapped_functionINS0_4lessIvEEbEEEE10hipError_tPvRmT1_T2_T3_mmT4_T5_P12ihipStream_tbEUlRKiE_EESL_SP_SQ_mSR_SU_bEUlT_E_NS1_11comp_targetILNS1_3genE5ELNS1_11target_archE942ELNS1_3gpuE9ELNS1_3repE0EEENS1_30default_config_static_selectorELNS0_4arch9wavefront6targetE1EEEvSO_,"axG",@progbits,_ZN7rocprim17ROCPRIM_400000_NS6detail17trampoline_kernelINS0_14default_configENS1_29binary_search_config_selectorIibEEZNS1_14transform_implILb0ES3_S5_N6thrust23THRUST_200600_302600_NS17counting_iteratorIiNS8_11use_defaultESA_SA_EEPbZNS1_13binary_searchIS3_S5_PiSB_SC_NS1_16binary_search_opENS8_6detail16wrapped_functionINS0_4lessIvEEbEEEE10hipError_tPvRmT1_T2_T3_mmT4_T5_P12ihipStream_tbEUlRKiE_EESL_SP_SQ_mSR_SU_bEUlT_E_NS1_11comp_targetILNS1_3genE5ELNS1_11target_archE942ELNS1_3gpuE9ELNS1_3repE0EEENS1_30default_config_static_selectorELNS0_4arch9wavefront6targetE1EEEvSO_,comdat
.Lfunc_end231:
	.size	_ZN7rocprim17ROCPRIM_400000_NS6detail17trampoline_kernelINS0_14default_configENS1_29binary_search_config_selectorIibEEZNS1_14transform_implILb0ES3_S5_N6thrust23THRUST_200600_302600_NS17counting_iteratorIiNS8_11use_defaultESA_SA_EEPbZNS1_13binary_searchIS3_S5_PiSB_SC_NS1_16binary_search_opENS8_6detail16wrapped_functionINS0_4lessIvEEbEEEE10hipError_tPvRmT1_T2_T3_mmT4_T5_P12ihipStream_tbEUlRKiE_EESL_SP_SQ_mSR_SU_bEUlT_E_NS1_11comp_targetILNS1_3genE5ELNS1_11target_archE942ELNS1_3gpuE9ELNS1_3repE0EEENS1_30default_config_static_selectorELNS0_4arch9wavefront6targetE1EEEvSO_, .Lfunc_end231-_ZN7rocprim17ROCPRIM_400000_NS6detail17trampoline_kernelINS0_14default_configENS1_29binary_search_config_selectorIibEEZNS1_14transform_implILb0ES3_S5_N6thrust23THRUST_200600_302600_NS17counting_iteratorIiNS8_11use_defaultESA_SA_EEPbZNS1_13binary_searchIS3_S5_PiSB_SC_NS1_16binary_search_opENS8_6detail16wrapped_functionINS0_4lessIvEEbEEEE10hipError_tPvRmT1_T2_T3_mmT4_T5_P12ihipStream_tbEUlRKiE_EESL_SP_SQ_mSR_SU_bEUlT_E_NS1_11comp_targetILNS1_3genE5ELNS1_11target_archE942ELNS1_3gpuE9ELNS1_3repE0EEENS1_30default_config_static_selectorELNS0_4arch9wavefront6targetE1EEEvSO_
                                        ; -- End function
	.section	.AMDGPU.csdata,"",@progbits
; Kernel info:
; codeLenInByte = 0
; NumSgprs: 4
; NumVgprs: 0
; NumAgprs: 0
; TotalNumVgprs: 0
; ScratchSize: 0
; MemoryBound: 0
; FloatMode: 240
; IeeeMode: 1
; LDSByteSize: 0 bytes/workgroup (compile time only)
; SGPRBlocks: 0
; VGPRBlocks: 0
; NumSGPRsForWavesPerEU: 4
; NumVGPRsForWavesPerEU: 1
; AccumOffset: 4
; Occupancy: 8
; WaveLimiterHint : 0
; COMPUTE_PGM_RSRC2:SCRATCH_EN: 0
; COMPUTE_PGM_RSRC2:USER_SGPR: 6
; COMPUTE_PGM_RSRC2:TRAP_HANDLER: 0
; COMPUTE_PGM_RSRC2:TGID_X_EN: 1
; COMPUTE_PGM_RSRC2:TGID_Y_EN: 0
; COMPUTE_PGM_RSRC2:TGID_Z_EN: 0
; COMPUTE_PGM_RSRC2:TIDIG_COMP_CNT: 0
; COMPUTE_PGM_RSRC3_GFX90A:ACCUM_OFFSET: 0
; COMPUTE_PGM_RSRC3_GFX90A:TG_SPLIT: 0
	.section	.text._ZN7rocprim17ROCPRIM_400000_NS6detail17trampoline_kernelINS0_14default_configENS1_29binary_search_config_selectorIibEEZNS1_14transform_implILb0ES3_S5_N6thrust23THRUST_200600_302600_NS17counting_iteratorIiNS8_11use_defaultESA_SA_EEPbZNS1_13binary_searchIS3_S5_PiSB_SC_NS1_16binary_search_opENS8_6detail16wrapped_functionINS0_4lessIvEEbEEEE10hipError_tPvRmT1_T2_T3_mmT4_T5_P12ihipStream_tbEUlRKiE_EESL_SP_SQ_mSR_SU_bEUlT_E_NS1_11comp_targetILNS1_3genE4ELNS1_11target_archE910ELNS1_3gpuE8ELNS1_3repE0EEENS1_30default_config_static_selectorELNS0_4arch9wavefront6targetE1EEEvSO_,"axG",@progbits,_ZN7rocprim17ROCPRIM_400000_NS6detail17trampoline_kernelINS0_14default_configENS1_29binary_search_config_selectorIibEEZNS1_14transform_implILb0ES3_S5_N6thrust23THRUST_200600_302600_NS17counting_iteratorIiNS8_11use_defaultESA_SA_EEPbZNS1_13binary_searchIS3_S5_PiSB_SC_NS1_16binary_search_opENS8_6detail16wrapped_functionINS0_4lessIvEEbEEEE10hipError_tPvRmT1_T2_T3_mmT4_T5_P12ihipStream_tbEUlRKiE_EESL_SP_SQ_mSR_SU_bEUlT_E_NS1_11comp_targetILNS1_3genE4ELNS1_11target_archE910ELNS1_3gpuE8ELNS1_3repE0EEENS1_30default_config_static_selectorELNS0_4arch9wavefront6targetE1EEEvSO_,comdat
	.protected	_ZN7rocprim17ROCPRIM_400000_NS6detail17trampoline_kernelINS0_14default_configENS1_29binary_search_config_selectorIibEEZNS1_14transform_implILb0ES3_S5_N6thrust23THRUST_200600_302600_NS17counting_iteratorIiNS8_11use_defaultESA_SA_EEPbZNS1_13binary_searchIS3_S5_PiSB_SC_NS1_16binary_search_opENS8_6detail16wrapped_functionINS0_4lessIvEEbEEEE10hipError_tPvRmT1_T2_T3_mmT4_T5_P12ihipStream_tbEUlRKiE_EESL_SP_SQ_mSR_SU_bEUlT_E_NS1_11comp_targetILNS1_3genE4ELNS1_11target_archE910ELNS1_3gpuE8ELNS1_3repE0EEENS1_30default_config_static_selectorELNS0_4arch9wavefront6targetE1EEEvSO_ ; -- Begin function _ZN7rocprim17ROCPRIM_400000_NS6detail17trampoline_kernelINS0_14default_configENS1_29binary_search_config_selectorIibEEZNS1_14transform_implILb0ES3_S5_N6thrust23THRUST_200600_302600_NS17counting_iteratorIiNS8_11use_defaultESA_SA_EEPbZNS1_13binary_searchIS3_S5_PiSB_SC_NS1_16binary_search_opENS8_6detail16wrapped_functionINS0_4lessIvEEbEEEE10hipError_tPvRmT1_T2_T3_mmT4_T5_P12ihipStream_tbEUlRKiE_EESL_SP_SQ_mSR_SU_bEUlT_E_NS1_11comp_targetILNS1_3genE4ELNS1_11target_archE910ELNS1_3gpuE8ELNS1_3repE0EEENS1_30default_config_static_selectorELNS0_4arch9wavefront6targetE1EEEvSO_
	.globl	_ZN7rocprim17ROCPRIM_400000_NS6detail17trampoline_kernelINS0_14default_configENS1_29binary_search_config_selectorIibEEZNS1_14transform_implILb0ES3_S5_N6thrust23THRUST_200600_302600_NS17counting_iteratorIiNS8_11use_defaultESA_SA_EEPbZNS1_13binary_searchIS3_S5_PiSB_SC_NS1_16binary_search_opENS8_6detail16wrapped_functionINS0_4lessIvEEbEEEE10hipError_tPvRmT1_T2_T3_mmT4_T5_P12ihipStream_tbEUlRKiE_EESL_SP_SQ_mSR_SU_bEUlT_E_NS1_11comp_targetILNS1_3genE4ELNS1_11target_archE910ELNS1_3gpuE8ELNS1_3repE0EEENS1_30default_config_static_selectorELNS0_4arch9wavefront6targetE1EEEvSO_
	.p2align	8
	.type	_ZN7rocprim17ROCPRIM_400000_NS6detail17trampoline_kernelINS0_14default_configENS1_29binary_search_config_selectorIibEEZNS1_14transform_implILb0ES3_S5_N6thrust23THRUST_200600_302600_NS17counting_iteratorIiNS8_11use_defaultESA_SA_EEPbZNS1_13binary_searchIS3_S5_PiSB_SC_NS1_16binary_search_opENS8_6detail16wrapped_functionINS0_4lessIvEEbEEEE10hipError_tPvRmT1_T2_T3_mmT4_T5_P12ihipStream_tbEUlRKiE_EESL_SP_SQ_mSR_SU_bEUlT_E_NS1_11comp_targetILNS1_3genE4ELNS1_11target_archE910ELNS1_3gpuE8ELNS1_3repE0EEENS1_30default_config_static_selectorELNS0_4arch9wavefront6targetE1EEEvSO_,@function
_ZN7rocprim17ROCPRIM_400000_NS6detail17trampoline_kernelINS0_14default_configENS1_29binary_search_config_selectorIibEEZNS1_14transform_implILb0ES3_S5_N6thrust23THRUST_200600_302600_NS17counting_iteratorIiNS8_11use_defaultESA_SA_EEPbZNS1_13binary_searchIS3_S5_PiSB_SC_NS1_16binary_search_opENS8_6detail16wrapped_functionINS0_4lessIvEEbEEEE10hipError_tPvRmT1_T2_T3_mmT4_T5_P12ihipStream_tbEUlRKiE_EESL_SP_SQ_mSR_SU_bEUlT_E_NS1_11comp_targetILNS1_3genE4ELNS1_11target_archE910ELNS1_3gpuE8ELNS1_3repE0EEENS1_30default_config_static_selectorELNS0_4arch9wavefront6targetE1EEEvSO_: ; @_ZN7rocprim17ROCPRIM_400000_NS6detail17trampoline_kernelINS0_14default_configENS1_29binary_search_config_selectorIibEEZNS1_14transform_implILb0ES3_S5_N6thrust23THRUST_200600_302600_NS17counting_iteratorIiNS8_11use_defaultESA_SA_EEPbZNS1_13binary_searchIS3_S5_PiSB_SC_NS1_16binary_search_opENS8_6detail16wrapped_functionINS0_4lessIvEEbEEEE10hipError_tPvRmT1_T2_T3_mmT4_T5_P12ihipStream_tbEUlRKiE_EESL_SP_SQ_mSR_SU_bEUlT_E_NS1_11comp_targetILNS1_3genE4ELNS1_11target_archE910ELNS1_3gpuE8ELNS1_3repE0EEENS1_30default_config_static_selectorELNS0_4arch9wavefront6targetE1EEEvSO_
; %bb.0:
	s_load_dword s17, s[4:5], 0x0
	s_load_dwordx2 s[8:9], s[4:5], 0x8
	s_load_dword s7, s[4:5], 0x38
	s_load_dwordx4 s[0:3], s[4:5], 0x18
	s_load_dwordx2 s[10:11], s[4:5], 0x28
	s_lshl_b32 s16, s6, 8
	s_waitcnt lgkmcnt(0)
	s_add_i32 s17, s17, s8
	s_add_i32 s7, s7, -1
	s_cmp_lg_u32 s6, s7
	s_cbranch_scc0 .LBB232_8
; %bb.1:
	s_add_i32 s6, s17, s16
	v_add_u32_e32 v1, s6, v0
	s_mov_b64 s[6:7], 0
	s_cmp_eq_u64 s[10:11], 0
	v_pk_mov_b32 v[2:3], 0, 0
	s_cbranch_scc1 .LBB232_5
; %bb.2:
	v_pk_mov_b32 v[2:3], 0, 0
	v_pk_mov_b32 v[4:5], s[10:11], s[10:11] op_sel:[0,1]
	v_mov_b32_e32 v6, s3
.LBB232_3:                              ; =>This Inner Loop Header: Depth=1
	v_sub_co_u32_e32 v8, vcc, v4, v2
	v_subb_co_u32_e32 v9, vcc, v5, v3, vcc
	v_lshrrev_b64 v[10:11], 1, v[8:9]
	v_add_co_u32_e32 v7, vcc, v10, v2
	v_lshrrev_b64 v[8:9], 6, v[8:9]
	v_addc_co_u32_e32 v10, vcc, v11, v3, vcc
	v_add_co_u32_e32 v8, vcc, v7, v8
	v_addc_co_u32_e32 v9, vcc, v10, v9, vcc
	v_lshlrev_b64 v[10:11], 2, v[8:9]
	v_add_co_u32_e32 v10, vcc, s2, v10
	v_addc_co_u32_e32 v11, vcc, v6, v11, vcc
	global_load_dword v7, v[10:11], off
	v_add_co_u32_e32 v10, vcc, 1, v8
	v_addc_co_u32_e32 v11, vcc, 0, v9, vcc
	s_waitcnt vmcnt(0)
	v_cmp_lt_i32_e32 vcc, v7, v1
	v_cndmask_b32_e32 v5, v9, v5, vcc
	v_cndmask_b32_e32 v4, v8, v4, vcc
	;; [unrolled: 1-line block ×4, first 2 shown]
	v_cmp_ge_u64_e32 vcc, v[2:3], v[4:5]
	s_or_b64 s[6:7], vcc, s[6:7]
	s_andn2_b64 exec, exec, s[6:7]
	s_cbranch_execnz .LBB232_3
; %bb.4:
	s_or_b64 exec, exec, s[6:7]
.LBB232_5:
	v_cmp_ne_u64_e32 vcc, s[10:11], v[2:3]
	s_mov_b64 s[12:13], 0
	s_mov_b64 s[14:15], 0
	s_and_saveexec_b64 s[6:7], vcc
	s_cbranch_execz .LBB232_7
; %bb.6:
	v_lshlrev_b64 v[2:3], 2, v[2:3]
	v_mov_b32_e32 v4, s3
	v_add_co_u32_e32 v2, vcc, s2, v2
	v_addc_co_u32_e32 v3, vcc, v4, v3, vcc
	global_load_dword v2, v[2:3], off
	s_waitcnt vmcnt(0)
	v_cmp_le_i32_e32 vcc, v2, v1
	s_and_b64 s[14:15], vcc, exec
.LBB232_7:
	s_or_b64 exec, exec, s[6:7]
	v_cndmask_b32_e64 v1, 0, 1, s[14:15]
	s_mov_b64 s[6:7], -1
	s_and_b64 vcc, exec, s[12:13]
	s_cbranch_vccnz .LBB232_9
	s_branch .LBB232_18
.LBB232_8:
	s_mov_b64 s[6:7], 0
                                        ; implicit-def: $vgpr1
	s_cbranch_execz .LBB232_18
.LBB232_9:
	s_load_dword s4, s[4:5], 0x10
                                        ; implicit-def: $vgpr1
	s_waitcnt lgkmcnt(0)
	s_sub_i32 s4, s4, s16
	v_cmp_gt_u32_e64 s[6:7], s4, v0
	s_and_saveexec_b64 s[4:5], s[6:7]
	s_cbranch_execz .LBB232_17
; %bb.10:
	s_add_i32 s17, s17, s16
	v_add_u32_e32 v1, s17, v0
	s_mov_b64 s[12:13], 0
	s_cmp_eq_u64 s[10:11], 0
	v_pk_mov_b32 v[2:3], 0, 0
	s_cbranch_scc1 .LBB232_14
; %bb.11:
	v_pk_mov_b32 v[2:3], 0, 0
	v_pk_mov_b32 v[4:5], s[10:11], s[10:11] op_sel:[0,1]
	v_mov_b32_e32 v6, s3
.LBB232_12:                             ; =>This Inner Loop Header: Depth=1
	v_sub_co_u32_e32 v8, vcc, v4, v2
	v_subb_co_u32_e32 v9, vcc, v5, v3, vcc
	v_lshrrev_b64 v[10:11], 1, v[8:9]
	v_add_co_u32_e32 v7, vcc, v10, v2
	v_lshrrev_b64 v[8:9], 6, v[8:9]
	v_addc_co_u32_e32 v10, vcc, v11, v3, vcc
	v_add_co_u32_e32 v8, vcc, v7, v8
	v_addc_co_u32_e32 v9, vcc, v10, v9, vcc
	v_lshlrev_b64 v[10:11], 2, v[8:9]
	v_add_co_u32_e32 v10, vcc, s2, v10
	v_addc_co_u32_e32 v11, vcc, v6, v11, vcc
	global_load_dword v7, v[10:11], off
	v_add_co_u32_e32 v10, vcc, 1, v8
	v_addc_co_u32_e32 v11, vcc, 0, v9, vcc
	s_waitcnt vmcnt(0)
	v_cmp_lt_i32_e32 vcc, v7, v1
	v_cndmask_b32_e32 v5, v9, v5, vcc
	v_cndmask_b32_e32 v4, v8, v4, vcc
	;; [unrolled: 1-line block ×4, first 2 shown]
	v_cmp_ge_u64_e32 vcc, v[2:3], v[4:5]
	s_or_b64 s[12:13], vcc, s[12:13]
	s_andn2_b64 exec, exec, s[12:13]
	s_cbranch_execnz .LBB232_12
; %bb.13:
	s_or_b64 exec, exec, s[12:13]
.LBB232_14:
	v_cmp_ne_u64_e32 vcc, s[10:11], v[2:3]
	s_mov_b64 s[12:13], 0
	s_and_saveexec_b64 s[10:11], vcc
	s_cbranch_execz .LBB232_16
; %bb.15:
	v_lshlrev_b64 v[2:3], 2, v[2:3]
	v_mov_b32_e32 v4, s3
	v_add_co_u32_e32 v2, vcc, s2, v2
	v_addc_co_u32_e32 v3, vcc, v4, v3, vcc
	global_load_dword v2, v[2:3], off
	s_waitcnt vmcnt(0)
	v_cmp_le_i32_e32 vcc, v2, v1
	s_and_b64 s[12:13], vcc, exec
.LBB232_16:
	s_or_b64 exec, exec, s[10:11]
	v_cndmask_b32_e64 v1, 0, 1, s[12:13]
.LBB232_17:
	s_or_b64 exec, exec, s[4:5]
.LBB232_18:
	s_and_saveexec_b64 s[2:3], s[6:7]
	s_cbranch_execz .LBB232_20
; %bb.19:
	s_add_u32 s0, s0, s8
	s_addc_u32 s1, s1, s9
	s_add_u32 s0, s0, s16
	s_addc_u32 s1, s1, 0
	global_store_byte v0, v1, s[0:1]
.LBB232_20:
	s_endpgm
	.section	.rodata,"a",@progbits
	.p2align	6, 0x0
	.amdhsa_kernel _ZN7rocprim17ROCPRIM_400000_NS6detail17trampoline_kernelINS0_14default_configENS1_29binary_search_config_selectorIibEEZNS1_14transform_implILb0ES3_S5_N6thrust23THRUST_200600_302600_NS17counting_iteratorIiNS8_11use_defaultESA_SA_EEPbZNS1_13binary_searchIS3_S5_PiSB_SC_NS1_16binary_search_opENS8_6detail16wrapped_functionINS0_4lessIvEEbEEEE10hipError_tPvRmT1_T2_T3_mmT4_T5_P12ihipStream_tbEUlRKiE_EESL_SP_SQ_mSR_SU_bEUlT_E_NS1_11comp_targetILNS1_3genE4ELNS1_11target_archE910ELNS1_3gpuE8ELNS1_3repE0EEENS1_30default_config_static_selectorELNS0_4arch9wavefront6targetE1EEEvSO_
		.amdhsa_group_segment_fixed_size 0
		.amdhsa_private_segment_fixed_size 0
		.amdhsa_kernarg_size 312
		.amdhsa_user_sgpr_count 6
		.amdhsa_user_sgpr_private_segment_buffer 1
		.amdhsa_user_sgpr_dispatch_ptr 0
		.amdhsa_user_sgpr_queue_ptr 0
		.amdhsa_user_sgpr_kernarg_segment_ptr 1
		.amdhsa_user_sgpr_dispatch_id 0
		.amdhsa_user_sgpr_flat_scratch_init 0
		.amdhsa_user_sgpr_kernarg_preload_length 0
		.amdhsa_user_sgpr_kernarg_preload_offset 0
		.amdhsa_user_sgpr_private_segment_size 0
		.amdhsa_uses_dynamic_stack 0
		.amdhsa_system_sgpr_private_segment_wavefront_offset 0
		.amdhsa_system_sgpr_workgroup_id_x 1
		.amdhsa_system_sgpr_workgroup_id_y 0
		.amdhsa_system_sgpr_workgroup_id_z 0
		.amdhsa_system_sgpr_workgroup_info 0
		.amdhsa_system_vgpr_workitem_id 0
		.amdhsa_next_free_vgpr 12
		.amdhsa_next_free_sgpr 18
		.amdhsa_accum_offset 12
		.amdhsa_reserve_vcc 1
		.amdhsa_reserve_flat_scratch 0
		.amdhsa_float_round_mode_32 0
		.amdhsa_float_round_mode_16_64 0
		.amdhsa_float_denorm_mode_32 3
		.amdhsa_float_denorm_mode_16_64 3
		.amdhsa_dx10_clamp 1
		.amdhsa_ieee_mode 1
		.amdhsa_fp16_overflow 0
		.amdhsa_tg_split 0
		.amdhsa_exception_fp_ieee_invalid_op 0
		.amdhsa_exception_fp_denorm_src 0
		.amdhsa_exception_fp_ieee_div_zero 0
		.amdhsa_exception_fp_ieee_overflow 0
		.amdhsa_exception_fp_ieee_underflow 0
		.amdhsa_exception_fp_ieee_inexact 0
		.amdhsa_exception_int_div_zero 0
	.end_amdhsa_kernel
	.section	.text._ZN7rocprim17ROCPRIM_400000_NS6detail17trampoline_kernelINS0_14default_configENS1_29binary_search_config_selectorIibEEZNS1_14transform_implILb0ES3_S5_N6thrust23THRUST_200600_302600_NS17counting_iteratorIiNS8_11use_defaultESA_SA_EEPbZNS1_13binary_searchIS3_S5_PiSB_SC_NS1_16binary_search_opENS8_6detail16wrapped_functionINS0_4lessIvEEbEEEE10hipError_tPvRmT1_T2_T3_mmT4_T5_P12ihipStream_tbEUlRKiE_EESL_SP_SQ_mSR_SU_bEUlT_E_NS1_11comp_targetILNS1_3genE4ELNS1_11target_archE910ELNS1_3gpuE8ELNS1_3repE0EEENS1_30default_config_static_selectorELNS0_4arch9wavefront6targetE1EEEvSO_,"axG",@progbits,_ZN7rocprim17ROCPRIM_400000_NS6detail17trampoline_kernelINS0_14default_configENS1_29binary_search_config_selectorIibEEZNS1_14transform_implILb0ES3_S5_N6thrust23THRUST_200600_302600_NS17counting_iteratorIiNS8_11use_defaultESA_SA_EEPbZNS1_13binary_searchIS3_S5_PiSB_SC_NS1_16binary_search_opENS8_6detail16wrapped_functionINS0_4lessIvEEbEEEE10hipError_tPvRmT1_T2_T3_mmT4_T5_P12ihipStream_tbEUlRKiE_EESL_SP_SQ_mSR_SU_bEUlT_E_NS1_11comp_targetILNS1_3genE4ELNS1_11target_archE910ELNS1_3gpuE8ELNS1_3repE0EEENS1_30default_config_static_selectorELNS0_4arch9wavefront6targetE1EEEvSO_,comdat
.Lfunc_end232:
	.size	_ZN7rocprim17ROCPRIM_400000_NS6detail17trampoline_kernelINS0_14default_configENS1_29binary_search_config_selectorIibEEZNS1_14transform_implILb0ES3_S5_N6thrust23THRUST_200600_302600_NS17counting_iteratorIiNS8_11use_defaultESA_SA_EEPbZNS1_13binary_searchIS3_S5_PiSB_SC_NS1_16binary_search_opENS8_6detail16wrapped_functionINS0_4lessIvEEbEEEE10hipError_tPvRmT1_T2_T3_mmT4_T5_P12ihipStream_tbEUlRKiE_EESL_SP_SQ_mSR_SU_bEUlT_E_NS1_11comp_targetILNS1_3genE4ELNS1_11target_archE910ELNS1_3gpuE8ELNS1_3repE0EEENS1_30default_config_static_selectorELNS0_4arch9wavefront6targetE1EEEvSO_, .Lfunc_end232-_ZN7rocprim17ROCPRIM_400000_NS6detail17trampoline_kernelINS0_14default_configENS1_29binary_search_config_selectorIibEEZNS1_14transform_implILb0ES3_S5_N6thrust23THRUST_200600_302600_NS17counting_iteratorIiNS8_11use_defaultESA_SA_EEPbZNS1_13binary_searchIS3_S5_PiSB_SC_NS1_16binary_search_opENS8_6detail16wrapped_functionINS0_4lessIvEEbEEEE10hipError_tPvRmT1_T2_T3_mmT4_T5_P12ihipStream_tbEUlRKiE_EESL_SP_SQ_mSR_SU_bEUlT_E_NS1_11comp_targetILNS1_3genE4ELNS1_11target_archE910ELNS1_3gpuE8ELNS1_3repE0EEENS1_30default_config_static_selectorELNS0_4arch9wavefront6targetE1EEEvSO_
                                        ; -- End function
	.section	.AMDGPU.csdata,"",@progbits
; Kernel info:
; codeLenInByte = 628
; NumSgprs: 22
; NumVgprs: 12
; NumAgprs: 0
; TotalNumVgprs: 12
; ScratchSize: 0
; MemoryBound: 0
; FloatMode: 240
; IeeeMode: 1
; LDSByteSize: 0 bytes/workgroup (compile time only)
; SGPRBlocks: 2
; VGPRBlocks: 1
; NumSGPRsForWavesPerEU: 22
; NumVGPRsForWavesPerEU: 12
; AccumOffset: 12
; Occupancy: 8
; WaveLimiterHint : 0
; COMPUTE_PGM_RSRC2:SCRATCH_EN: 0
; COMPUTE_PGM_RSRC2:USER_SGPR: 6
; COMPUTE_PGM_RSRC2:TRAP_HANDLER: 0
; COMPUTE_PGM_RSRC2:TGID_X_EN: 1
; COMPUTE_PGM_RSRC2:TGID_Y_EN: 0
; COMPUTE_PGM_RSRC2:TGID_Z_EN: 0
; COMPUTE_PGM_RSRC2:TIDIG_COMP_CNT: 0
; COMPUTE_PGM_RSRC3_GFX90A:ACCUM_OFFSET: 2
; COMPUTE_PGM_RSRC3_GFX90A:TG_SPLIT: 0
	.section	.text._ZN7rocprim17ROCPRIM_400000_NS6detail17trampoline_kernelINS0_14default_configENS1_29binary_search_config_selectorIibEEZNS1_14transform_implILb0ES3_S5_N6thrust23THRUST_200600_302600_NS17counting_iteratorIiNS8_11use_defaultESA_SA_EEPbZNS1_13binary_searchIS3_S5_PiSB_SC_NS1_16binary_search_opENS8_6detail16wrapped_functionINS0_4lessIvEEbEEEE10hipError_tPvRmT1_T2_T3_mmT4_T5_P12ihipStream_tbEUlRKiE_EESL_SP_SQ_mSR_SU_bEUlT_E_NS1_11comp_targetILNS1_3genE3ELNS1_11target_archE908ELNS1_3gpuE7ELNS1_3repE0EEENS1_30default_config_static_selectorELNS0_4arch9wavefront6targetE1EEEvSO_,"axG",@progbits,_ZN7rocprim17ROCPRIM_400000_NS6detail17trampoline_kernelINS0_14default_configENS1_29binary_search_config_selectorIibEEZNS1_14transform_implILb0ES3_S5_N6thrust23THRUST_200600_302600_NS17counting_iteratorIiNS8_11use_defaultESA_SA_EEPbZNS1_13binary_searchIS3_S5_PiSB_SC_NS1_16binary_search_opENS8_6detail16wrapped_functionINS0_4lessIvEEbEEEE10hipError_tPvRmT1_T2_T3_mmT4_T5_P12ihipStream_tbEUlRKiE_EESL_SP_SQ_mSR_SU_bEUlT_E_NS1_11comp_targetILNS1_3genE3ELNS1_11target_archE908ELNS1_3gpuE7ELNS1_3repE0EEENS1_30default_config_static_selectorELNS0_4arch9wavefront6targetE1EEEvSO_,comdat
	.protected	_ZN7rocprim17ROCPRIM_400000_NS6detail17trampoline_kernelINS0_14default_configENS1_29binary_search_config_selectorIibEEZNS1_14transform_implILb0ES3_S5_N6thrust23THRUST_200600_302600_NS17counting_iteratorIiNS8_11use_defaultESA_SA_EEPbZNS1_13binary_searchIS3_S5_PiSB_SC_NS1_16binary_search_opENS8_6detail16wrapped_functionINS0_4lessIvEEbEEEE10hipError_tPvRmT1_T2_T3_mmT4_T5_P12ihipStream_tbEUlRKiE_EESL_SP_SQ_mSR_SU_bEUlT_E_NS1_11comp_targetILNS1_3genE3ELNS1_11target_archE908ELNS1_3gpuE7ELNS1_3repE0EEENS1_30default_config_static_selectorELNS0_4arch9wavefront6targetE1EEEvSO_ ; -- Begin function _ZN7rocprim17ROCPRIM_400000_NS6detail17trampoline_kernelINS0_14default_configENS1_29binary_search_config_selectorIibEEZNS1_14transform_implILb0ES3_S5_N6thrust23THRUST_200600_302600_NS17counting_iteratorIiNS8_11use_defaultESA_SA_EEPbZNS1_13binary_searchIS3_S5_PiSB_SC_NS1_16binary_search_opENS8_6detail16wrapped_functionINS0_4lessIvEEbEEEE10hipError_tPvRmT1_T2_T3_mmT4_T5_P12ihipStream_tbEUlRKiE_EESL_SP_SQ_mSR_SU_bEUlT_E_NS1_11comp_targetILNS1_3genE3ELNS1_11target_archE908ELNS1_3gpuE7ELNS1_3repE0EEENS1_30default_config_static_selectorELNS0_4arch9wavefront6targetE1EEEvSO_
	.globl	_ZN7rocprim17ROCPRIM_400000_NS6detail17trampoline_kernelINS0_14default_configENS1_29binary_search_config_selectorIibEEZNS1_14transform_implILb0ES3_S5_N6thrust23THRUST_200600_302600_NS17counting_iteratorIiNS8_11use_defaultESA_SA_EEPbZNS1_13binary_searchIS3_S5_PiSB_SC_NS1_16binary_search_opENS8_6detail16wrapped_functionINS0_4lessIvEEbEEEE10hipError_tPvRmT1_T2_T3_mmT4_T5_P12ihipStream_tbEUlRKiE_EESL_SP_SQ_mSR_SU_bEUlT_E_NS1_11comp_targetILNS1_3genE3ELNS1_11target_archE908ELNS1_3gpuE7ELNS1_3repE0EEENS1_30default_config_static_selectorELNS0_4arch9wavefront6targetE1EEEvSO_
	.p2align	8
	.type	_ZN7rocprim17ROCPRIM_400000_NS6detail17trampoline_kernelINS0_14default_configENS1_29binary_search_config_selectorIibEEZNS1_14transform_implILb0ES3_S5_N6thrust23THRUST_200600_302600_NS17counting_iteratorIiNS8_11use_defaultESA_SA_EEPbZNS1_13binary_searchIS3_S5_PiSB_SC_NS1_16binary_search_opENS8_6detail16wrapped_functionINS0_4lessIvEEbEEEE10hipError_tPvRmT1_T2_T3_mmT4_T5_P12ihipStream_tbEUlRKiE_EESL_SP_SQ_mSR_SU_bEUlT_E_NS1_11comp_targetILNS1_3genE3ELNS1_11target_archE908ELNS1_3gpuE7ELNS1_3repE0EEENS1_30default_config_static_selectorELNS0_4arch9wavefront6targetE1EEEvSO_,@function
_ZN7rocprim17ROCPRIM_400000_NS6detail17trampoline_kernelINS0_14default_configENS1_29binary_search_config_selectorIibEEZNS1_14transform_implILb0ES3_S5_N6thrust23THRUST_200600_302600_NS17counting_iteratorIiNS8_11use_defaultESA_SA_EEPbZNS1_13binary_searchIS3_S5_PiSB_SC_NS1_16binary_search_opENS8_6detail16wrapped_functionINS0_4lessIvEEbEEEE10hipError_tPvRmT1_T2_T3_mmT4_T5_P12ihipStream_tbEUlRKiE_EESL_SP_SQ_mSR_SU_bEUlT_E_NS1_11comp_targetILNS1_3genE3ELNS1_11target_archE908ELNS1_3gpuE7ELNS1_3repE0EEENS1_30default_config_static_selectorELNS0_4arch9wavefront6targetE1EEEvSO_: ; @_ZN7rocprim17ROCPRIM_400000_NS6detail17trampoline_kernelINS0_14default_configENS1_29binary_search_config_selectorIibEEZNS1_14transform_implILb0ES3_S5_N6thrust23THRUST_200600_302600_NS17counting_iteratorIiNS8_11use_defaultESA_SA_EEPbZNS1_13binary_searchIS3_S5_PiSB_SC_NS1_16binary_search_opENS8_6detail16wrapped_functionINS0_4lessIvEEbEEEE10hipError_tPvRmT1_T2_T3_mmT4_T5_P12ihipStream_tbEUlRKiE_EESL_SP_SQ_mSR_SU_bEUlT_E_NS1_11comp_targetILNS1_3genE3ELNS1_11target_archE908ELNS1_3gpuE7ELNS1_3repE0EEENS1_30default_config_static_selectorELNS0_4arch9wavefront6targetE1EEEvSO_
; %bb.0:
	.section	.rodata,"a",@progbits
	.p2align	6, 0x0
	.amdhsa_kernel _ZN7rocprim17ROCPRIM_400000_NS6detail17trampoline_kernelINS0_14default_configENS1_29binary_search_config_selectorIibEEZNS1_14transform_implILb0ES3_S5_N6thrust23THRUST_200600_302600_NS17counting_iteratorIiNS8_11use_defaultESA_SA_EEPbZNS1_13binary_searchIS3_S5_PiSB_SC_NS1_16binary_search_opENS8_6detail16wrapped_functionINS0_4lessIvEEbEEEE10hipError_tPvRmT1_T2_T3_mmT4_T5_P12ihipStream_tbEUlRKiE_EESL_SP_SQ_mSR_SU_bEUlT_E_NS1_11comp_targetILNS1_3genE3ELNS1_11target_archE908ELNS1_3gpuE7ELNS1_3repE0EEENS1_30default_config_static_selectorELNS0_4arch9wavefront6targetE1EEEvSO_
		.amdhsa_group_segment_fixed_size 0
		.amdhsa_private_segment_fixed_size 0
		.amdhsa_kernarg_size 56
		.amdhsa_user_sgpr_count 6
		.amdhsa_user_sgpr_private_segment_buffer 1
		.amdhsa_user_sgpr_dispatch_ptr 0
		.amdhsa_user_sgpr_queue_ptr 0
		.amdhsa_user_sgpr_kernarg_segment_ptr 1
		.amdhsa_user_sgpr_dispatch_id 0
		.amdhsa_user_sgpr_flat_scratch_init 0
		.amdhsa_user_sgpr_kernarg_preload_length 0
		.amdhsa_user_sgpr_kernarg_preload_offset 0
		.amdhsa_user_sgpr_private_segment_size 0
		.amdhsa_uses_dynamic_stack 0
		.amdhsa_system_sgpr_private_segment_wavefront_offset 0
		.amdhsa_system_sgpr_workgroup_id_x 1
		.amdhsa_system_sgpr_workgroup_id_y 0
		.amdhsa_system_sgpr_workgroup_id_z 0
		.amdhsa_system_sgpr_workgroup_info 0
		.amdhsa_system_vgpr_workitem_id 0
		.amdhsa_next_free_vgpr 1
		.amdhsa_next_free_sgpr 0
		.amdhsa_accum_offset 4
		.amdhsa_reserve_vcc 0
		.amdhsa_reserve_flat_scratch 0
		.amdhsa_float_round_mode_32 0
		.amdhsa_float_round_mode_16_64 0
		.amdhsa_float_denorm_mode_32 3
		.amdhsa_float_denorm_mode_16_64 3
		.amdhsa_dx10_clamp 1
		.amdhsa_ieee_mode 1
		.amdhsa_fp16_overflow 0
		.amdhsa_tg_split 0
		.amdhsa_exception_fp_ieee_invalid_op 0
		.amdhsa_exception_fp_denorm_src 0
		.amdhsa_exception_fp_ieee_div_zero 0
		.amdhsa_exception_fp_ieee_overflow 0
		.amdhsa_exception_fp_ieee_underflow 0
		.amdhsa_exception_fp_ieee_inexact 0
		.amdhsa_exception_int_div_zero 0
	.end_amdhsa_kernel
	.section	.text._ZN7rocprim17ROCPRIM_400000_NS6detail17trampoline_kernelINS0_14default_configENS1_29binary_search_config_selectorIibEEZNS1_14transform_implILb0ES3_S5_N6thrust23THRUST_200600_302600_NS17counting_iteratorIiNS8_11use_defaultESA_SA_EEPbZNS1_13binary_searchIS3_S5_PiSB_SC_NS1_16binary_search_opENS8_6detail16wrapped_functionINS0_4lessIvEEbEEEE10hipError_tPvRmT1_T2_T3_mmT4_T5_P12ihipStream_tbEUlRKiE_EESL_SP_SQ_mSR_SU_bEUlT_E_NS1_11comp_targetILNS1_3genE3ELNS1_11target_archE908ELNS1_3gpuE7ELNS1_3repE0EEENS1_30default_config_static_selectorELNS0_4arch9wavefront6targetE1EEEvSO_,"axG",@progbits,_ZN7rocprim17ROCPRIM_400000_NS6detail17trampoline_kernelINS0_14default_configENS1_29binary_search_config_selectorIibEEZNS1_14transform_implILb0ES3_S5_N6thrust23THRUST_200600_302600_NS17counting_iteratorIiNS8_11use_defaultESA_SA_EEPbZNS1_13binary_searchIS3_S5_PiSB_SC_NS1_16binary_search_opENS8_6detail16wrapped_functionINS0_4lessIvEEbEEEE10hipError_tPvRmT1_T2_T3_mmT4_T5_P12ihipStream_tbEUlRKiE_EESL_SP_SQ_mSR_SU_bEUlT_E_NS1_11comp_targetILNS1_3genE3ELNS1_11target_archE908ELNS1_3gpuE7ELNS1_3repE0EEENS1_30default_config_static_selectorELNS0_4arch9wavefront6targetE1EEEvSO_,comdat
.Lfunc_end233:
	.size	_ZN7rocprim17ROCPRIM_400000_NS6detail17trampoline_kernelINS0_14default_configENS1_29binary_search_config_selectorIibEEZNS1_14transform_implILb0ES3_S5_N6thrust23THRUST_200600_302600_NS17counting_iteratorIiNS8_11use_defaultESA_SA_EEPbZNS1_13binary_searchIS3_S5_PiSB_SC_NS1_16binary_search_opENS8_6detail16wrapped_functionINS0_4lessIvEEbEEEE10hipError_tPvRmT1_T2_T3_mmT4_T5_P12ihipStream_tbEUlRKiE_EESL_SP_SQ_mSR_SU_bEUlT_E_NS1_11comp_targetILNS1_3genE3ELNS1_11target_archE908ELNS1_3gpuE7ELNS1_3repE0EEENS1_30default_config_static_selectorELNS0_4arch9wavefront6targetE1EEEvSO_, .Lfunc_end233-_ZN7rocprim17ROCPRIM_400000_NS6detail17trampoline_kernelINS0_14default_configENS1_29binary_search_config_selectorIibEEZNS1_14transform_implILb0ES3_S5_N6thrust23THRUST_200600_302600_NS17counting_iteratorIiNS8_11use_defaultESA_SA_EEPbZNS1_13binary_searchIS3_S5_PiSB_SC_NS1_16binary_search_opENS8_6detail16wrapped_functionINS0_4lessIvEEbEEEE10hipError_tPvRmT1_T2_T3_mmT4_T5_P12ihipStream_tbEUlRKiE_EESL_SP_SQ_mSR_SU_bEUlT_E_NS1_11comp_targetILNS1_3genE3ELNS1_11target_archE908ELNS1_3gpuE7ELNS1_3repE0EEENS1_30default_config_static_selectorELNS0_4arch9wavefront6targetE1EEEvSO_
                                        ; -- End function
	.section	.AMDGPU.csdata,"",@progbits
; Kernel info:
; codeLenInByte = 0
; NumSgprs: 4
; NumVgprs: 0
; NumAgprs: 0
; TotalNumVgprs: 0
; ScratchSize: 0
; MemoryBound: 0
; FloatMode: 240
; IeeeMode: 1
; LDSByteSize: 0 bytes/workgroup (compile time only)
; SGPRBlocks: 0
; VGPRBlocks: 0
; NumSGPRsForWavesPerEU: 4
; NumVGPRsForWavesPerEU: 1
; AccumOffset: 4
; Occupancy: 8
; WaveLimiterHint : 0
; COMPUTE_PGM_RSRC2:SCRATCH_EN: 0
; COMPUTE_PGM_RSRC2:USER_SGPR: 6
; COMPUTE_PGM_RSRC2:TRAP_HANDLER: 0
; COMPUTE_PGM_RSRC2:TGID_X_EN: 1
; COMPUTE_PGM_RSRC2:TGID_Y_EN: 0
; COMPUTE_PGM_RSRC2:TGID_Z_EN: 0
; COMPUTE_PGM_RSRC2:TIDIG_COMP_CNT: 0
; COMPUTE_PGM_RSRC3_GFX90A:ACCUM_OFFSET: 0
; COMPUTE_PGM_RSRC3_GFX90A:TG_SPLIT: 0
	.section	.text._ZN7rocprim17ROCPRIM_400000_NS6detail17trampoline_kernelINS0_14default_configENS1_29binary_search_config_selectorIibEEZNS1_14transform_implILb0ES3_S5_N6thrust23THRUST_200600_302600_NS17counting_iteratorIiNS8_11use_defaultESA_SA_EEPbZNS1_13binary_searchIS3_S5_PiSB_SC_NS1_16binary_search_opENS8_6detail16wrapped_functionINS0_4lessIvEEbEEEE10hipError_tPvRmT1_T2_T3_mmT4_T5_P12ihipStream_tbEUlRKiE_EESL_SP_SQ_mSR_SU_bEUlT_E_NS1_11comp_targetILNS1_3genE2ELNS1_11target_archE906ELNS1_3gpuE6ELNS1_3repE0EEENS1_30default_config_static_selectorELNS0_4arch9wavefront6targetE1EEEvSO_,"axG",@progbits,_ZN7rocprim17ROCPRIM_400000_NS6detail17trampoline_kernelINS0_14default_configENS1_29binary_search_config_selectorIibEEZNS1_14transform_implILb0ES3_S5_N6thrust23THRUST_200600_302600_NS17counting_iteratorIiNS8_11use_defaultESA_SA_EEPbZNS1_13binary_searchIS3_S5_PiSB_SC_NS1_16binary_search_opENS8_6detail16wrapped_functionINS0_4lessIvEEbEEEE10hipError_tPvRmT1_T2_T3_mmT4_T5_P12ihipStream_tbEUlRKiE_EESL_SP_SQ_mSR_SU_bEUlT_E_NS1_11comp_targetILNS1_3genE2ELNS1_11target_archE906ELNS1_3gpuE6ELNS1_3repE0EEENS1_30default_config_static_selectorELNS0_4arch9wavefront6targetE1EEEvSO_,comdat
	.protected	_ZN7rocprim17ROCPRIM_400000_NS6detail17trampoline_kernelINS0_14default_configENS1_29binary_search_config_selectorIibEEZNS1_14transform_implILb0ES3_S5_N6thrust23THRUST_200600_302600_NS17counting_iteratorIiNS8_11use_defaultESA_SA_EEPbZNS1_13binary_searchIS3_S5_PiSB_SC_NS1_16binary_search_opENS8_6detail16wrapped_functionINS0_4lessIvEEbEEEE10hipError_tPvRmT1_T2_T3_mmT4_T5_P12ihipStream_tbEUlRKiE_EESL_SP_SQ_mSR_SU_bEUlT_E_NS1_11comp_targetILNS1_3genE2ELNS1_11target_archE906ELNS1_3gpuE6ELNS1_3repE0EEENS1_30default_config_static_selectorELNS0_4arch9wavefront6targetE1EEEvSO_ ; -- Begin function _ZN7rocprim17ROCPRIM_400000_NS6detail17trampoline_kernelINS0_14default_configENS1_29binary_search_config_selectorIibEEZNS1_14transform_implILb0ES3_S5_N6thrust23THRUST_200600_302600_NS17counting_iteratorIiNS8_11use_defaultESA_SA_EEPbZNS1_13binary_searchIS3_S5_PiSB_SC_NS1_16binary_search_opENS8_6detail16wrapped_functionINS0_4lessIvEEbEEEE10hipError_tPvRmT1_T2_T3_mmT4_T5_P12ihipStream_tbEUlRKiE_EESL_SP_SQ_mSR_SU_bEUlT_E_NS1_11comp_targetILNS1_3genE2ELNS1_11target_archE906ELNS1_3gpuE6ELNS1_3repE0EEENS1_30default_config_static_selectorELNS0_4arch9wavefront6targetE1EEEvSO_
	.globl	_ZN7rocprim17ROCPRIM_400000_NS6detail17trampoline_kernelINS0_14default_configENS1_29binary_search_config_selectorIibEEZNS1_14transform_implILb0ES3_S5_N6thrust23THRUST_200600_302600_NS17counting_iteratorIiNS8_11use_defaultESA_SA_EEPbZNS1_13binary_searchIS3_S5_PiSB_SC_NS1_16binary_search_opENS8_6detail16wrapped_functionINS0_4lessIvEEbEEEE10hipError_tPvRmT1_T2_T3_mmT4_T5_P12ihipStream_tbEUlRKiE_EESL_SP_SQ_mSR_SU_bEUlT_E_NS1_11comp_targetILNS1_3genE2ELNS1_11target_archE906ELNS1_3gpuE6ELNS1_3repE0EEENS1_30default_config_static_selectorELNS0_4arch9wavefront6targetE1EEEvSO_
	.p2align	8
	.type	_ZN7rocprim17ROCPRIM_400000_NS6detail17trampoline_kernelINS0_14default_configENS1_29binary_search_config_selectorIibEEZNS1_14transform_implILb0ES3_S5_N6thrust23THRUST_200600_302600_NS17counting_iteratorIiNS8_11use_defaultESA_SA_EEPbZNS1_13binary_searchIS3_S5_PiSB_SC_NS1_16binary_search_opENS8_6detail16wrapped_functionINS0_4lessIvEEbEEEE10hipError_tPvRmT1_T2_T3_mmT4_T5_P12ihipStream_tbEUlRKiE_EESL_SP_SQ_mSR_SU_bEUlT_E_NS1_11comp_targetILNS1_3genE2ELNS1_11target_archE906ELNS1_3gpuE6ELNS1_3repE0EEENS1_30default_config_static_selectorELNS0_4arch9wavefront6targetE1EEEvSO_,@function
_ZN7rocprim17ROCPRIM_400000_NS6detail17trampoline_kernelINS0_14default_configENS1_29binary_search_config_selectorIibEEZNS1_14transform_implILb0ES3_S5_N6thrust23THRUST_200600_302600_NS17counting_iteratorIiNS8_11use_defaultESA_SA_EEPbZNS1_13binary_searchIS3_S5_PiSB_SC_NS1_16binary_search_opENS8_6detail16wrapped_functionINS0_4lessIvEEbEEEE10hipError_tPvRmT1_T2_T3_mmT4_T5_P12ihipStream_tbEUlRKiE_EESL_SP_SQ_mSR_SU_bEUlT_E_NS1_11comp_targetILNS1_3genE2ELNS1_11target_archE906ELNS1_3gpuE6ELNS1_3repE0EEENS1_30default_config_static_selectorELNS0_4arch9wavefront6targetE1EEEvSO_: ; @_ZN7rocprim17ROCPRIM_400000_NS6detail17trampoline_kernelINS0_14default_configENS1_29binary_search_config_selectorIibEEZNS1_14transform_implILb0ES3_S5_N6thrust23THRUST_200600_302600_NS17counting_iteratorIiNS8_11use_defaultESA_SA_EEPbZNS1_13binary_searchIS3_S5_PiSB_SC_NS1_16binary_search_opENS8_6detail16wrapped_functionINS0_4lessIvEEbEEEE10hipError_tPvRmT1_T2_T3_mmT4_T5_P12ihipStream_tbEUlRKiE_EESL_SP_SQ_mSR_SU_bEUlT_E_NS1_11comp_targetILNS1_3genE2ELNS1_11target_archE906ELNS1_3gpuE6ELNS1_3repE0EEENS1_30default_config_static_selectorELNS0_4arch9wavefront6targetE1EEEvSO_
; %bb.0:
	.section	.rodata,"a",@progbits
	.p2align	6, 0x0
	.amdhsa_kernel _ZN7rocprim17ROCPRIM_400000_NS6detail17trampoline_kernelINS0_14default_configENS1_29binary_search_config_selectorIibEEZNS1_14transform_implILb0ES3_S5_N6thrust23THRUST_200600_302600_NS17counting_iteratorIiNS8_11use_defaultESA_SA_EEPbZNS1_13binary_searchIS3_S5_PiSB_SC_NS1_16binary_search_opENS8_6detail16wrapped_functionINS0_4lessIvEEbEEEE10hipError_tPvRmT1_T2_T3_mmT4_T5_P12ihipStream_tbEUlRKiE_EESL_SP_SQ_mSR_SU_bEUlT_E_NS1_11comp_targetILNS1_3genE2ELNS1_11target_archE906ELNS1_3gpuE6ELNS1_3repE0EEENS1_30default_config_static_selectorELNS0_4arch9wavefront6targetE1EEEvSO_
		.amdhsa_group_segment_fixed_size 0
		.amdhsa_private_segment_fixed_size 0
		.amdhsa_kernarg_size 56
		.amdhsa_user_sgpr_count 6
		.amdhsa_user_sgpr_private_segment_buffer 1
		.amdhsa_user_sgpr_dispatch_ptr 0
		.amdhsa_user_sgpr_queue_ptr 0
		.amdhsa_user_sgpr_kernarg_segment_ptr 1
		.amdhsa_user_sgpr_dispatch_id 0
		.amdhsa_user_sgpr_flat_scratch_init 0
		.amdhsa_user_sgpr_kernarg_preload_length 0
		.amdhsa_user_sgpr_kernarg_preload_offset 0
		.amdhsa_user_sgpr_private_segment_size 0
		.amdhsa_uses_dynamic_stack 0
		.amdhsa_system_sgpr_private_segment_wavefront_offset 0
		.amdhsa_system_sgpr_workgroup_id_x 1
		.amdhsa_system_sgpr_workgroup_id_y 0
		.amdhsa_system_sgpr_workgroup_id_z 0
		.amdhsa_system_sgpr_workgroup_info 0
		.amdhsa_system_vgpr_workitem_id 0
		.amdhsa_next_free_vgpr 1
		.amdhsa_next_free_sgpr 0
		.amdhsa_accum_offset 4
		.amdhsa_reserve_vcc 0
		.amdhsa_reserve_flat_scratch 0
		.amdhsa_float_round_mode_32 0
		.amdhsa_float_round_mode_16_64 0
		.amdhsa_float_denorm_mode_32 3
		.amdhsa_float_denorm_mode_16_64 3
		.amdhsa_dx10_clamp 1
		.amdhsa_ieee_mode 1
		.amdhsa_fp16_overflow 0
		.amdhsa_tg_split 0
		.amdhsa_exception_fp_ieee_invalid_op 0
		.amdhsa_exception_fp_denorm_src 0
		.amdhsa_exception_fp_ieee_div_zero 0
		.amdhsa_exception_fp_ieee_overflow 0
		.amdhsa_exception_fp_ieee_underflow 0
		.amdhsa_exception_fp_ieee_inexact 0
		.amdhsa_exception_int_div_zero 0
	.end_amdhsa_kernel
	.section	.text._ZN7rocprim17ROCPRIM_400000_NS6detail17trampoline_kernelINS0_14default_configENS1_29binary_search_config_selectorIibEEZNS1_14transform_implILb0ES3_S5_N6thrust23THRUST_200600_302600_NS17counting_iteratorIiNS8_11use_defaultESA_SA_EEPbZNS1_13binary_searchIS3_S5_PiSB_SC_NS1_16binary_search_opENS8_6detail16wrapped_functionINS0_4lessIvEEbEEEE10hipError_tPvRmT1_T2_T3_mmT4_T5_P12ihipStream_tbEUlRKiE_EESL_SP_SQ_mSR_SU_bEUlT_E_NS1_11comp_targetILNS1_3genE2ELNS1_11target_archE906ELNS1_3gpuE6ELNS1_3repE0EEENS1_30default_config_static_selectorELNS0_4arch9wavefront6targetE1EEEvSO_,"axG",@progbits,_ZN7rocprim17ROCPRIM_400000_NS6detail17trampoline_kernelINS0_14default_configENS1_29binary_search_config_selectorIibEEZNS1_14transform_implILb0ES3_S5_N6thrust23THRUST_200600_302600_NS17counting_iteratorIiNS8_11use_defaultESA_SA_EEPbZNS1_13binary_searchIS3_S5_PiSB_SC_NS1_16binary_search_opENS8_6detail16wrapped_functionINS0_4lessIvEEbEEEE10hipError_tPvRmT1_T2_T3_mmT4_T5_P12ihipStream_tbEUlRKiE_EESL_SP_SQ_mSR_SU_bEUlT_E_NS1_11comp_targetILNS1_3genE2ELNS1_11target_archE906ELNS1_3gpuE6ELNS1_3repE0EEENS1_30default_config_static_selectorELNS0_4arch9wavefront6targetE1EEEvSO_,comdat
.Lfunc_end234:
	.size	_ZN7rocprim17ROCPRIM_400000_NS6detail17trampoline_kernelINS0_14default_configENS1_29binary_search_config_selectorIibEEZNS1_14transform_implILb0ES3_S5_N6thrust23THRUST_200600_302600_NS17counting_iteratorIiNS8_11use_defaultESA_SA_EEPbZNS1_13binary_searchIS3_S5_PiSB_SC_NS1_16binary_search_opENS8_6detail16wrapped_functionINS0_4lessIvEEbEEEE10hipError_tPvRmT1_T2_T3_mmT4_T5_P12ihipStream_tbEUlRKiE_EESL_SP_SQ_mSR_SU_bEUlT_E_NS1_11comp_targetILNS1_3genE2ELNS1_11target_archE906ELNS1_3gpuE6ELNS1_3repE0EEENS1_30default_config_static_selectorELNS0_4arch9wavefront6targetE1EEEvSO_, .Lfunc_end234-_ZN7rocprim17ROCPRIM_400000_NS6detail17trampoline_kernelINS0_14default_configENS1_29binary_search_config_selectorIibEEZNS1_14transform_implILb0ES3_S5_N6thrust23THRUST_200600_302600_NS17counting_iteratorIiNS8_11use_defaultESA_SA_EEPbZNS1_13binary_searchIS3_S5_PiSB_SC_NS1_16binary_search_opENS8_6detail16wrapped_functionINS0_4lessIvEEbEEEE10hipError_tPvRmT1_T2_T3_mmT4_T5_P12ihipStream_tbEUlRKiE_EESL_SP_SQ_mSR_SU_bEUlT_E_NS1_11comp_targetILNS1_3genE2ELNS1_11target_archE906ELNS1_3gpuE6ELNS1_3repE0EEENS1_30default_config_static_selectorELNS0_4arch9wavefront6targetE1EEEvSO_
                                        ; -- End function
	.section	.AMDGPU.csdata,"",@progbits
; Kernel info:
; codeLenInByte = 0
; NumSgprs: 4
; NumVgprs: 0
; NumAgprs: 0
; TotalNumVgprs: 0
; ScratchSize: 0
; MemoryBound: 0
; FloatMode: 240
; IeeeMode: 1
; LDSByteSize: 0 bytes/workgroup (compile time only)
; SGPRBlocks: 0
; VGPRBlocks: 0
; NumSGPRsForWavesPerEU: 4
; NumVGPRsForWavesPerEU: 1
; AccumOffset: 4
; Occupancy: 8
; WaveLimiterHint : 0
; COMPUTE_PGM_RSRC2:SCRATCH_EN: 0
; COMPUTE_PGM_RSRC2:USER_SGPR: 6
; COMPUTE_PGM_RSRC2:TRAP_HANDLER: 0
; COMPUTE_PGM_RSRC2:TGID_X_EN: 1
; COMPUTE_PGM_RSRC2:TGID_Y_EN: 0
; COMPUTE_PGM_RSRC2:TGID_Z_EN: 0
; COMPUTE_PGM_RSRC2:TIDIG_COMP_CNT: 0
; COMPUTE_PGM_RSRC3_GFX90A:ACCUM_OFFSET: 0
; COMPUTE_PGM_RSRC3_GFX90A:TG_SPLIT: 0
	.section	.text._ZN7rocprim17ROCPRIM_400000_NS6detail17trampoline_kernelINS0_14default_configENS1_29binary_search_config_selectorIibEEZNS1_14transform_implILb0ES3_S5_N6thrust23THRUST_200600_302600_NS17counting_iteratorIiNS8_11use_defaultESA_SA_EEPbZNS1_13binary_searchIS3_S5_PiSB_SC_NS1_16binary_search_opENS8_6detail16wrapped_functionINS0_4lessIvEEbEEEE10hipError_tPvRmT1_T2_T3_mmT4_T5_P12ihipStream_tbEUlRKiE_EESL_SP_SQ_mSR_SU_bEUlT_E_NS1_11comp_targetILNS1_3genE10ELNS1_11target_archE1201ELNS1_3gpuE5ELNS1_3repE0EEENS1_30default_config_static_selectorELNS0_4arch9wavefront6targetE1EEEvSO_,"axG",@progbits,_ZN7rocprim17ROCPRIM_400000_NS6detail17trampoline_kernelINS0_14default_configENS1_29binary_search_config_selectorIibEEZNS1_14transform_implILb0ES3_S5_N6thrust23THRUST_200600_302600_NS17counting_iteratorIiNS8_11use_defaultESA_SA_EEPbZNS1_13binary_searchIS3_S5_PiSB_SC_NS1_16binary_search_opENS8_6detail16wrapped_functionINS0_4lessIvEEbEEEE10hipError_tPvRmT1_T2_T3_mmT4_T5_P12ihipStream_tbEUlRKiE_EESL_SP_SQ_mSR_SU_bEUlT_E_NS1_11comp_targetILNS1_3genE10ELNS1_11target_archE1201ELNS1_3gpuE5ELNS1_3repE0EEENS1_30default_config_static_selectorELNS0_4arch9wavefront6targetE1EEEvSO_,comdat
	.protected	_ZN7rocprim17ROCPRIM_400000_NS6detail17trampoline_kernelINS0_14default_configENS1_29binary_search_config_selectorIibEEZNS1_14transform_implILb0ES3_S5_N6thrust23THRUST_200600_302600_NS17counting_iteratorIiNS8_11use_defaultESA_SA_EEPbZNS1_13binary_searchIS3_S5_PiSB_SC_NS1_16binary_search_opENS8_6detail16wrapped_functionINS0_4lessIvEEbEEEE10hipError_tPvRmT1_T2_T3_mmT4_T5_P12ihipStream_tbEUlRKiE_EESL_SP_SQ_mSR_SU_bEUlT_E_NS1_11comp_targetILNS1_3genE10ELNS1_11target_archE1201ELNS1_3gpuE5ELNS1_3repE0EEENS1_30default_config_static_selectorELNS0_4arch9wavefront6targetE1EEEvSO_ ; -- Begin function _ZN7rocprim17ROCPRIM_400000_NS6detail17trampoline_kernelINS0_14default_configENS1_29binary_search_config_selectorIibEEZNS1_14transform_implILb0ES3_S5_N6thrust23THRUST_200600_302600_NS17counting_iteratorIiNS8_11use_defaultESA_SA_EEPbZNS1_13binary_searchIS3_S5_PiSB_SC_NS1_16binary_search_opENS8_6detail16wrapped_functionINS0_4lessIvEEbEEEE10hipError_tPvRmT1_T2_T3_mmT4_T5_P12ihipStream_tbEUlRKiE_EESL_SP_SQ_mSR_SU_bEUlT_E_NS1_11comp_targetILNS1_3genE10ELNS1_11target_archE1201ELNS1_3gpuE5ELNS1_3repE0EEENS1_30default_config_static_selectorELNS0_4arch9wavefront6targetE1EEEvSO_
	.globl	_ZN7rocprim17ROCPRIM_400000_NS6detail17trampoline_kernelINS0_14default_configENS1_29binary_search_config_selectorIibEEZNS1_14transform_implILb0ES3_S5_N6thrust23THRUST_200600_302600_NS17counting_iteratorIiNS8_11use_defaultESA_SA_EEPbZNS1_13binary_searchIS3_S5_PiSB_SC_NS1_16binary_search_opENS8_6detail16wrapped_functionINS0_4lessIvEEbEEEE10hipError_tPvRmT1_T2_T3_mmT4_T5_P12ihipStream_tbEUlRKiE_EESL_SP_SQ_mSR_SU_bEUlT_E_NS1_11comp_targetILNS1_3genE10ELNS1_11target_archE1201ELNS1_3gpuE5ELNS1_3repE0EEENS1_30default_config_static_selectorELNS0_4arch9wavefront6targetE1EEEvSO_
	.p2align	8
	.type	_ZN7rocprim17ROCPRIM_400000_NS6detail17trampoline_kernelINS0_14default_configENS1_29binary_search_config_selectorIibEEZNS1_14transform_implILb0ES3_S5_N6thrust23THRUST_200600_302600_NS17counting_iteratorIiNS8_11use_defaultESA_SA_EEPbZNS1_13binary_searchIS3_S5_PiSB_SC_NS1_16binary_search_opENS8_6detail16wrapped_functionINS0_4lessIvEEbEEEE10hipError_tPvRmT1_T2_T3_mmT4_T5_P12ihipStream_tbEUlRKiE_EESL_SP_SQ_mSR_SU_bEUlT_E_NS1_11comp_targetILNS1_3genE10ELNS1_11target_archE1201ELNS1_3gpuE5ELNS1_3repE0EEENS1_30default_config_static_selectorELNS0_4arch9wavefront6targetE1EEEvSO_,@function
_ZN7rocprim17ROCPRIM_400000_NS6detail17trampoline_kernelINS0_14default_configENS1_29binary_search_config_selectorIibEEZNS1_14transform_implILb0ES3_S5_N6thrust23THRUST_200600_302600_NS17counting_iteratorIiNS8_11use_defaultESA_SA_EEPbZNS1_13binary_searchIS3_S5_PiSB_SC_NS1_16binary_search_opENS8_6detail16wrapped_functionINS0_4lessIvEEbEEEE10hipError_tPvRmT1_T2_T3_mmT4_T5_P12ihipStream_tbEUlRKiE_EESL_SP_SQ_mSR_SU_bEUlT_E_NS1_11comp_targetILNS1_3genE10ELNS1_11target_archE1201ELNS1_3gpuE5ELNS1_3repE0EEENS1_30default_config_static_selectorELNS0_4arch9wavefront6targetE1EEEvSO_: ; @_ZN7rocprim17ROCPRIM_400000_NS6detail17trampoline_kernelINS0_14default_configENS1_29binary_search_config_selectorIibEEZNS1_14transform_implILb0ES3_S5_N6thrust23THRUST_200600_302600_NS17counting_iteratorIiNS8_11use_defaultESA_SA_EEPbZNS1_13binary_searchIS3_S5_PiSB_SC_NS1_16binary_search_opENS8_6detail16wrapped_functionINS0_4lessIvEEbEEEE10hipError_tPvRmT1_T2_T3_mmT4_T5_P12ihipStream_tbEUlRKiE_EESL_SP_SQ_mSR_SU_bEUlT_E_NS1_11comp_targetILNS1_3genE10ELNS1_11target_archE1201ELNS1_3gpuE5ELNS1_3repE0EEENS1_30default_config_static_selectorELNS0_4arch9wavefront6targetE1EEEvSO_
; %bb.0:
	.section	.rodata,"a",@progbits
	.p2align	6, 0x0
	.amdhsa_kernel _ZN7rocprim17ROCPRIM_400000_NS6detail17trampoline_kernelINS0_14default_configENS1_29binary_search_config_selectorIibEEZNS1_14transform_implILb0ES3_S5_N6thrust23THRUST_200600_302600_NS17counting_iteratorIiNS8_11use_defaultESA_SA_EEPbZNS1_13binary_searchIS3_S5_PiSB_SC_NS1_16binary_search_opENS8_6detail16wrapped_functionINS0_4lessIvEEbEEEE10hipError_tPvRmT1_T2_T3_mmT4_T5_P12ihipStream_tbEUlRKiE_EESL_SP_SQ_mSR_SU_bEUlT_E_NS1_11comp_targetILNS1_3genE10ELNS1_11target_archE1201ELNS1_3gpuE5ELNS1_3repE0EEENS1_30default_config_static_selectorELNS0_4arch9wavefront6targetE1EEEvSO_
		.amdhsa_group_segment_fixed_size 0
		.amdhsa_private_segment_fixed_size 0
		.amdhsa_kernarg_size 56
		.amdhsa_user_sgpr_count 6
		.amdhsa_user_sgpr_private_segment_buffer 1
		.amdhsa_user_sgpr_dispatch_ptr 0
		.amdhsa_user_sgpr_queue_ptr 0
		.amdhsa_user_sgpr_kernarg_segment_ptr 1
		.amdhsa_user_sgpr_dispatch_id 0
		.amdhsa_user_sgpr_flat_scratch_init 0
		.amdhsa_user_sgpr_kernarg_preload_length 0
		.amdhsa_user_sgpr_kernarg_preload_offset 0
		.amdhsa_user_sgpr_private_segment_size 0
		.amdhsa_uses_dynamic_stack 0
		.amdhsa_system_sgpr_private_segment_wavefront_offset 0
		.amdhsa_system_sgpr_workgroup_id_x 1
		.amdhsa_system_sgpr_workgroup_id_y 0
		.amdhsa_system_sgpr_workgroup_id_z 0
		.amdhsa_system_sgpr_workgroup_info 0
		.amdhsa_system_vgpr_workitem_id 0
		.amdhsa_next_free_vgpr 1
		.amdhsa_next_free_sgpr 0
		.amdhsa_accum_offset 4
		.amdhsa_reserve_vcc 0
		.amdhsa_reserve_flat_scratch 0
		.amdhsa_float_round_mode_32 0
		.amdhsa_float_round_mode_16_64 0
		.amdhsa_float_denorm_mode_32 3
		.amdhsa_float_denorm_mode_16_64 3
		.amdhsa_dx10_clamp 1
		.amdhsa_ieee_mode 1
		.amdhsa_fp16_overflow 0
		.amdhsa_tg_split 0
		.amdhsa_exception_fp_ieee_invalid_op 0
		.amdhsa_exception_fp_denorm_src 0
		.amdhsa_exception_fp_ieee_div_zero 0
		.amdhsa_exception_fp_ieee_overflow 0
		.amdhsa_exception_fp_ieee_underflow 0
		.amdhsa_exception_fp_ieee_inexact 0
		.amdhsa_exception_int_div_zero 0
	.end_amdhsa_kernel
	.section	.text._ZN7rocprim17ROCPRIM_400000_NS6detail17trampoline_kernelINS0_14default_configENS1_29binary_search_config_selectorIibEEZNS1_14transform_implILb0ES3_S5_N6thrust23THRUST_200600_302600_NS17counting_iteratorIiNS8_11use_defaultESA_SA_EEPbZNS1_13binary_searchIS3_S5_PiSB_SC_NS1_16binary_search_opENS8_6detail16wrapped_functionINS0_4lessIvEEbEEEE10hipError_tPvRmT1_T2_T3_mmT4_T5_P12ihipStream_tbEUlRKiE_EESL_SP_SQ_mSR_SU_bEUlT_E_NS1_11comp_targetILNS1_3genE10ELNS1_11target_archE1201ELNS1_3gpuE5ELNS1_3repE0EEENS1_30default_config_static_selectorELNS0_4arch9wavefront6targetE1EEEvSO_,"axG",@progbits,_ZN7rocprim17ROCPRIM_400000_NS6detail17trampoline_kernelINS0_14default_configENS1_29binary_search_config_selectorIibEEZNS1_14transform_implILb0ES3_S5_N6thrust23THRUST_200600_302600_NS17counting_iteratorIiNS8_11use_defaultESA_SA_EEPbZNS1_13binary_searchIS3_S5_PiSB_SC_NS1_16binary_search_opENS8_6detail16wrapped_functionINS0_4lessIvEEbEEEE10hipError_tPvRmT1_T2_T3_mmT4_T5_P12ihipStream_tbEUlRKiE_EESL_SP_SQ_mSR_SU_bEUlT_E_NS1_11comp_targetILNS1_3genE10ELNS1_11target_archE1201ELNS1_3gpuE5ELNS1_3repE0EEENS1_30default_config_static_selectorELNS0_4arch9wavefront6targetE1EEEvSO_,comdat
.Lfunc_end235:
	.size	_ZN7rocprim17ROCPRIM_400000_NS6detail17trampoline_kernelINS0_14default_configENS1_29binary_search_config_selectorIibEEZNS1_14transform_implILb0ES3_S5_N6thrust23THRUST_200600_302600_NS17counting_iteratorIiNS8_11use_defaultESA_SA_EEPbZNS1_13binary_searchIS3_S5_PiSB_SC_NS1_16binary_search_opENS8_6detail16wrapped_functionINS0_4lessIvEEbEEEE10hipError_tPvRmT1_T2_T3_mmT4_T5_P12ihipStream_tbEUlRKiE_EESL_SP_SQ_mSR_SU_bEUlT_E_NS1_11comp_targetILNS1_3genE10ELNS1_11target_archE1201ELNS1_3gpuE5ELNS1_3repE0EEENS1_30default_config_static_selectorELNS0_4arch9wavefront6targetE1EEEvSO_, .Lfunc_end235-_ZN7rocprim17ROCPRIM_400000_NS6detail17trampoline_kernelINS0_14default_configENS1_29binary_search_config_selectorIibEEZNS1_14transform_implILb0ES3_S5_N6thrust23THRUST_200600_302600_NS17counting_iteratorIiNS8_11use_defaultESA_SA_EEPbZNS1_13binary_searchIS3_S5_PiSB_SC_NS1_16binary_search_opENS8_6detail16wrapped_functionINS0_4lessIvEEbEEEE10hipError_tPvRmT1_T2_T3_mmT4_T5_P12ihipStream_tbEUlRKiE_EESL_SP_SQ_mSR_SU_bEUlT_E_NS1_11comp_targetILNS1_3genE10ELNS1_11target_archE1201ELNS1_3gpuE5ELNS1_3repE0EEENS1_30default_config_static_selectorELNS0_4arch9wavefront6targetE1EEEvSO_
                                        ; -- End function
	.section	.AMDGPU.csdata,"",@progbits
; Kernel info:
; codeLenInByte = 0
; NumSgprs: 4
; NumVgprs: 0
; NumAgprs: 0
; TotalNumVgprs: 0
; ScratchSize: 0
; MemoryBound: 0
; FloatMode: 240
; IeeeMode: 1
; LDSByteSize: 0 bytes/workgroup (compile time only)
; SGPRBlocks: 0
; VGPRBlocks: 0
; NumSGPRsForWavesPerEU: 4
; NumVGPRsForWavesPerEU: 1
; AccumOffset: 4
; Occupancy: 8
; WaveLimiterHint : 0
; COMPUTE_PGM_RSRC2:SCRATCH_EN: 0
; COMPUTE_PGM_RSRC2:USER_SGPR: 6
; COMPUTE_PGM_RSRC2:TRAP_HANDLER: 0
; COMPUTE_PGM_RSRC2:TGID_X_EN: 1
; COMPUTE_PGM_RSRC2:TGID_Y_EN: 0
; COMPUTE_PGM_RSRC2:TGID_Z_EN: 0
; COMPUTE_PGM_RSRC2:TIDIG_COMP_CNT: 0
; COMPUTE_PGM_RSRC3_GFX90A:ACCUM_OFFSET: 0
; COMPUTE_PGM_RSRC3_GFX90A:TG_SPLIT: 0
	.section	.text._ZN7rocprim17ROCPRIM_400000_NS6detail17trampoline_kernelINS0_14default_configENS1_29binary_search_config_selectorIibEEZNS1_14transform_implILb0ES3_S5_N6thrust23THRUST_200600_302600_NS17counting_iteratorIiNS8_11use_defaultESA_SA_EEPbZNS1_13binary_searchIS3_S5_PiSB_SC_NS1_16binary_search_opENS8_6detail16wrapped_functionINS0_4lessIvEEbEEEE10hipError_tPvRmT1_T2_T3_mmT4_T5_P12ihipStream_tbEUlRKiE_EESL_SP_SQ_mSR_SU_bEUlT_E_NS1_11comp_targetILNS1_3genE10ELNS1_11target_archE1200ELNS1_3gpuE4ELNS1_3repE0EEENS1_30default_config_static_selectorELNS0_4arch9wavefront6targetE1EEEvSO_,"axG",@progbits,_ZN7rocprim17ROCPRIM_400000_NS6detail17trampoline_kernelINS0_14default_configENS1_29binary_search_config_selectorIibEEZNS1_14transform_implILb0ES3_S5_N6thrust23THRUST_200600_302600_NS17counting_iteratorIiNS8_11use_defaultESA_SA_EEPbZNS1_13binary_searchIS3_S5_PiSB_SC_NS1_16binary_search_opENS8_6detail16wrapped_functionINS0_4lessIvEEbEEEE10hipError_tPvRmT1_T2_T3_mmT4_T5_P12ihipStream_tbEUlRKiE_EESL_SP_SQ_mSR_SU_bEUlT_E_NS1_11comp_targetILNS1_3genE10ELNS1_11target_archE1200ELNS1_3gpuE4ELNS1_3repE0EEENS1_30default_config_static_selectorELNS0_4arch9wavefront6targetE1EEEvSO_,comdat
	.protected	_ZN7rocprim17ROCPRIM_400000_NS6detail17trampoline_kernelINS0_14default_configENS1_29binary_search_config_selectorIibEEZNS1_14transform_implILb0ES3_S5_N6thrust23THRUST_200600_302600_NS17counting_iteratorIiNS8_11use_defaultESA_SA_EEPbZNS1_13binary_searchIS3_S5_PiSB_SC_NS1_16binary_search_opENS8_6detail16wrapped_functionINS0_4lessIvEEbEEEE10hipError_tPvRmT1_T2_T3_mmT4_T5_P12ihipStream_tbEUlRKiE_EESL_SP_SQ_mSR_SU_bEUlT_E_NS1_11comp_targetILNS1_3genE10ELNS1_11target_archE1200ELNS1_3gpuE4ELNS1_3repE0EEENS1_30default_config_static_selectorELNS0_4arch9wavefront6targetE1EEEvSO_ ; -- Begin function _ZN7rocprim17ROCPRIM_400000_NS6detail17trampoline_kernelINS0_14default_configENS1_29binary_search_config_selectorIibEEZNS1_14transform_implILb0ES3_S5_N6thrust23THRUST_200600_302600_NS17counting_iteratorIiNS8_11use_defaultESA_SA_EEPbZNS1_13binary_searchIS3_S5_PiSB_SC_NS1_16binary_search_opENS8_6detail16wrapped_functionINS0_4lessIvEEbEEEE10hipError_tPvRmT1_T2_T3_mmT4_T5_P12ihipStream_tbEUlRKiE_EESL_SP_SQ_mSR_SU_bEUlT_E_NS1_11comp_targetILNS1_3genE10ELNS1_11target_archE1200ELNS1_3gpuE4ELNS1_3repE0EEENS1_30default_config_static_selectorELNS0_4arch9wavefront6targetE1EEEvSO_
	.globl	_ZN7rocprim17ROCPRIM_400000_NS6detail17trampoline_kernelINS0_14default_configENS1_29binary_search_config_selectorIibEEZNS1_14transform_implILb0ES3_S5_N6thrust23THRUST_200600_302600_NS17counting_iteratorIiNS8_11use_defaultESA_SA_EEPbZNS1_13binary_searchIS3_S5_PiSB_SC_NS1_16binary_search_opENS8_6detail16wrapped_functionINS0_4lessIvEEbEEEE10hipError_tPvRmT1_T2_T3_mmT4_T5_P12ihipStream_tbEUlRKiE_EESL_SP_SQ_mSR_SU_bEUlT_E_NS1_11comp_targetILNS1_3genE10ELNS1_11target_archE1200ELNS1_3gpuE4ELNS1_3repE0EEENS1_30default_config_static_selectorELNS0_4arch9wavefront6targetE1EEEvSO_
	.p2align	8
	.type	_ZN7rocprim17ROCPRIM_400000_NS6detail17trampoline_kernelINS0_14default_configENS1_29binary_search_config_selectorIibEEZNS1_14transform_implILb0ES3_S5_N6thrust23THRUST_200600_302600_NS17counting_iteratorIiNS8_11use_defaultESA_SA_EEPbZNS1_13binary_searchIS3_S5_PiSB_SC_NS1_16binary_search_opENS8_6detail16wrapped_functionINS0_4lessIvEEbEEEE10hipError_tPvRmT1_T2_T3_mmT4_T5_P12ihipStream_tbEUlRKiE_EESL_SP_SQ_mSR_SU_bEUlT_E_NS1_11comp_targetILNS1_3genE10ELNS1_11target_archE1200ELNS1_3gpuE4ELNS1_3repE0EEENS1_30default_config_static_selectorELNS0_4arch9wavefront6targetE1EEEvSO_,@function
_ZN7rocprim17ROCPRIM_400000_NS6detail17trampoline_kernelINS0_14default_configENS1_29binary_search_config_selectorIibEEZNS1_14transform_implILb0ES3_S5_N6thrust23THRUST_200600_302600_NS17counting_iteratorIiNS8_11use_defaultESA_SA_EEPbZNS1_13binary_searchIS3_S5_PiSB_SC_NS1_16binary_search_opENS8_6detail16wrapped_functionINS0_4lessIvEEbEEEE10hipError_tPvRmT1_T2_T3_mmT4_T5_P12ihipStream_tbEUlRKiE_EESL_SP_SQ_mSR_SU_bEUlT_E_NS1_11comp_targetILNS1_3genE10ELNS1_11target_archE1200ELNS1_3gpuE4ELNS1_3repE0EEENS1_30default_config_static_selectorELNS0_4arch9wavefront6targetE1EEEvSO_: ; @_ZN7rocprim17ROCPRIM_400000_NS6detail17trampoline_kernelINS0_14default_configENS1_29binary_search_config_selectorIibEEZNS1_14transform_implILb0ES3_S5_N6thrust23THRUST_200600_302600_NS17counting_iteratorIiNS8_11use_defaultESA_SA_EEPbZNS1_13binary_searchIS3_S5_PiSB_SC_NS1_16binary_search_opENS8_6detail16wrapped_functionINS0_4lessIvEEbEEEE10hipError_tPvRmT1_T2_T3_mmT4_T5_P12ihipStream_tbEUlRKiE_EESL_SP_SQ_mSR_SU_bEUlT_E_NS1_11comp_targetILNS1_3genE10ELNS1_11target_archE1200ELNS1_3gpuE4ELNS1_3repE0EEENS1_30default_config_static_selectorELNS0_4arch9wavefront6targetE1EEEvSO_
; %bb.0:
	.section	.rodata,"a",@progbits
	.p2align	6, 0x0
	.amdhsa_kernel _ZN7rocprim17ROCPRIM_400000_NS6detail17trampoline_kernelINS0_14default_configENS1_29binary_search_config_selectorIibEEZNS1_14transform_implILb0ES3_S5_N6thrust23THRUST_200600_302600_NS17counting_iteratorIiNS8_11use_defaultESA_SA_EEPbZNS1_13binary_searchIS3_S5_PiSB_SC_NS1_16binary_search_opENS8_6detail16wrapped_functionINS0_4lessIvEEbEEEE10hipError_tPvRmT1_T2_T3_mmT4_T5_P12ihipStream_tbEUlRKiE_EESL_SP_SQ_mSR_SU_bEUlT_E_NS1_11comp_targetILNS1_3genE10ELNS1_11target_archE1200ELNS1_3gpuE4ELNS1_3repE0EEENS1_30default_config_static_selectorELNS0_4arch9wavefront6targetE1EEEvSO_
		.amdhsa_group_segment_fixed_size 0
		.amdhsa_private_segment_fixed_size 0
		.amdhsa_kernarg_size 56
		.amdhsa_user_sgpr_count 6
		.amdhsa_user_sgpr_private_segment_buffer 1
		.amdhsa_user_sgpr_dispatch_ptr 0
		.amdhsa_user_sgpr_queue_ptr 0
		.amdhsa_user_sgpr_kernarg_segment_ptr 1
		.amdhsa_user_sgpr_dispatch_id 0
		.amdhsa_user_sgpr_flat_scratch_init 0
		.amdhsa_user_sgpr_kernarg_preload_length 0
		.amdhsa_user_sgpr_kernarg_preload_offset 0
		.amdhsa_user_sgpr_private_segment_size 0
		.amdhsa_uses_dynamic_stack 0
		.amdhsa_system_sgpr_private_segment_wavefront_offset 0
		.amdhsa_system_sgpr_workgroup_id_x 1
		.amdhsa_system_sgpr_workgroup_id_y 0
		.amdhsa_system_sgpr_workgroup_id_z 0
		.amdhsa_system_sgpr_workgroup_info 0
		.amdhsa_system_vgpr_workitem_id 0
		.amdhsa_next_free_vgpr 1
		.amdhsa_next_free_sgpr 0
		.amdhsa_accum_offset 4
		.amdhsa_reserve_vcc 0
		.amdhsa_reserve_flat_scratch 0
		.amdhsa_float_round_mode_32 0
		.amdhsa_float_round_mode_16_64 0
		.amdhsa_float_denorm_mode_32 3
		.amdhsa_float_denorm_mode_16_64 3
		.amdhsa_dx10_clamp 1
		.amdhsa_ieee_mode 1
		.amdhsa_fp16_overflow 0
		.amdhsa_tg_split 0
		.amdhsa_exception_fp_ieee_invalid_op 0
		.amdhsa_exception_fp_denorm_src 0
		.amdhsa_exception_fp_ieee_div_zero 0
		.amdhsa_exception_fp_ieee_overflow 0
		.amdhsa_exception_fp_ieee_underflow 0
		.amdhsa_exception_fp_ieee_inexact 0
		.amdhsa_exception_int_div_zero 0
	.end_amdhsa_kernel
	.section	.text._ZN7rocprim17ROCPRIM_400000_NS6detail17trampoline_kernelINS0_14default_configENS1_29binary_search_config_selectorIibEEZNS1_14transform_implILb0ES3_S5_N6thrust23THRUST_200600_302600_NS17counting_iteratorIiNS8_11use_defaultESA_SA_EEPbZNS1_13binary_searchIS3_S5_PiSB_SC_NS1_16binary_search_opENS8_6detail16wrapped_functionINS0_4lessIvEEbEEEE10hipError_tPvRmT1_T2_T3_mmT4_T5_P12ihipStream_tbEUlRKiE_EESL_SP_SQ_mSR_SU_bEUlT_E_NS1_11comp_targetILNS1_3genE10ELNS1_11target_archE1200ELNS1_3gpuE4ELNS1_3repE0EEENS1_30default_config_static_selectorELNS0_4arch9wavefront6targetE1EEEvSO_,"axG",@progbits,_ZN7rocprim17ROCPRIM_400000_NS6detail17trampoline_kernelINS0_14default_configENS1_29binary_search_config_selectorIibEEZNS1_14transform_implILb0ES3_S5_N6thrust23THRUST_200600_302600_NS17counting_iteratorIiNS8_11use_defaultESA_SA_EEPbZNS1_13binary_searchIS3_S5_PiSB_SC_NS1_16binary_search_opENS8_6detail16wrapped_functionINS0_4lessIvEEbEEEE10hipError_tPvRmT1_T2_T3_mmT4_T5_P12ihipStream_tbEUlRKiE_EESL_SP_SQ_mSR_SU_bEUlT_E_NS1_11comp_targetILNS1_3genE10ELNS1_11target_archE1200ELNS1_3gpuE4ELNS1_3repE0EEENS1_30default_config_static_selectorELNS0_4arch9wavefront6targetE1EEEvSO_,comdat
.Lfunc_end236:
	.size	_ZN7rocprim17ROCPRIM_400000_NS6detail17trampoline_kernelINS0_14default_configENS1_29binary_search_config_selectorIibEEZNS1_14transform_implILb0ES3_S5_N6thrust23THRUST_200600_302600_NS17counting_iteratorIiNS8_11use_defaultESA_SA_EEPbZNS1_13binary_searchIS3_S5_PiSB_SC_NS1_16binary_search_opENS8_6detail16wrapped_functionINS0_4lessIvEEbEEEE10hipError_tPvRmT1_T2_T3_mmT4_T5_P12ihipStream_tbEUlRKiE_EESL_SP_SQ_mSR_SU_bEUlT_E_NS1_11comp_targetILNS1_3genE10ELNS1_11target_archE1200ELNS1_3gpuE4ELNS1_3repE0EEENS1_30default_config_static_selectorELNS0_4arch9wavefront6targetE1EEEvSO_, .Lfunc_end236-_ZN7rocprim17ROCPRIM_400000_NS6detail17trampoline_kernelINS0_14default_configENS1_29binary_search_config_selectorIibEEZNS1_14transform_implILb0ES3_S5_N6thrust23THRUST_200600_302600_NS17counting_iteratorIiNS8_11use_defaultESA_SA_EEPbZNS1_13binary_searchIS3_S5_PiSB_SC_NS1_16binary_search_opENS8_6detail16wrapped_functionINS0_4lessIvEEbEEEE10hipError_tPvRmT1_T2_T3_mmT4_T5_P12ihipStream_tbEUlRKiE_EESL_SP_SQ_mSR_SU_bEUlT_E_NS1_11comp_targetILNS1_3genE10ELNS1_11target_archE1200ELNS1_3gpuE4ELNS1_3repE0EEENS1_30default_config_static_selectorELNS0_4arch9wavefront6targetE1EEEvSO_
                                        ; -- End function
	.section	.AMDGPU.csdata,"",@progbits
; Kernel info:
; codeLenInByte = 0
; NumSgprs: 4
; NumVgprs: 0
; NumAgprs: 0
; TotalNumVgprs: 0
; ScratchSize: 0
; MemoryBound: 0
; FloatMode: 240
; IeeeMode: 1
; LDSByteSize: 0 bytes/workgroup (compile time only)
; SGPRBlocks: 0
; VGPRBlocks: 0
; NumSGPRsForWavesPerEU: 4
; NumVGPRsForWavesPerEU: 1
; AccumOffset: 4
; Occupancy: 8
; WaveLimiterHint : 0
; COMPUTE_PGM_RSRC2:SCRATCH_EN: 0
; COMPUTE_PGM_RSRC2:USER_SGPR: 6
; COMPUTE_PGM_RSRC2:TRAP_HANDLER: 0
; COMPUTE_PGM_RSRC2:TGID_X_EN: 1
; COMPUTE_PGM_RSRC2:TGID_Y_EN: 0
; COMPUTE_PGM_RSRC2:TGID_Z_EN: 0
; COMPUTE_PGM_RSRC2:TIDIG_COMP_CNT: 0
; COMPUTE_PGM_RSRC3_GFX90A:ACCUM_OFFSET: 0
; COMPUTE_PGM_RSRC3_GFX90A:TG_SPLIT: 0
	.section	.text._ZN7rocprim17ROCPRIM_400000_NS6detail17trampoline_kernelINS0_14default_configENS1_29binary_search_config_selectorIibEEZNS1_14transform_implILb0ES3_S5_N6thrust23THRUST_200600_302600_NS17counting_iteratorIiNS8_11use_defaultESA_SA_EEPbZNS1_13binary_searchIS3_S5_PiSB_SC_NS1_16binary_search_opENS8_6detail16wrapped_functionINS0_4lessIvEEbEEEE10hipError_tPvRmT1_T2_T3_mmT4_T5_P12ihipStream_tbEUlRKiE_EESL_SP_SQ_mSR_SU_bEUlT_E_NS1_11comp_targetILNS1_3genE9ELNS1_11target_archE1100ELNS1_3gpuE3ELNS1_3repE0EEENS1_30default_config_static_selectorELNS0_4arch9wavefront6targetE1EEEvSO_,"axG",@progbits,_ZN7rocprim17ROCPRIM_400000_NS6detail17trampoline_kernelINS0_14default_configENS1_29binary_search_config_selectorIibEEZNS1_14transform_implILb0ES3_S5_N6thrust23THRUST_200600_302600_NS17counting_iteratorIiNS8_11use_defaultESA_SA_EEPbZNS1_13binary_searchIS3_S5_PiSB_SC_NS1_16binary_search_opENS8_6detail16wrapped_functionINS0_4lessIvEEbEEEE10hipError_tPvRmT1_T2_T3_mmT4_T5_P12ihipStream_tbEUlRKiE_EESL_SP_SQ_mSR_SU_bEUlT_E_NS1_11comp_targetILNS1_3genE9ELNS1_11target_archE1100ELNS1_3gpuE3ELNS1_3repE0EEENS1_30default_config_static_selectorELNS0_4arch9wavefront6targetE1EEEvSO_,comdat
	.protected	_ZN7rocprim17ROCPRIM_400000_NS6detail17trampoline_kernelINS0_14default_configENS1_29binary_search_config_selectorIibEEZNS1_14transform_implILb0ES3_S5_N6thrust23THRUST_200600_302600_NS17counting_iteratorIiNS8_11use_defaultESA_SA_EEPbZNS1_13binary_searchIS3_S5_PiSB_SC_NS1_16binary_search_opENS8_6detail16wrapped_functionINS0_4lessIvEEbEEEE10hipError_tPvRmT1_T2_T3_mmT4_T5_P12ihipStream_tbEUlRKiE_EESL_SP_SQ_mSR_SU_bEUlT_E_NS1_11comp_targetILNS1_3genE9ELNS1_11target_archE1100ELNS1_3gpuE3ELNS1_3repE0EEENS1_30default_config_static_selectorELNS0_4arch9wavefront6targetE1EEEvSO_ ; -- Begin function _ZN7rocprim17ROCPRIM_400000_NS6detail17trampoline_kernelINS0_14default_configENS1_29binary_search_config_selectorIibEEZNS1_14transform_implILb0ES3_S5_N6thrust23THRUST_200600_302600_NS17counting_iteratorIiNS8_11use_defaultESA_SA_EEPbZNS1_13binary_searchIS3_S5_PiSB_SC_NS1_16binary_search_opENS8_6detail16wrapped_functionINS0_4lessIvEEbEEEE10hipError_tPvRmT1_T2_T3_mmT4_T5_P12ihipStream_tbEUlRKiE_EESL_SP_SQ_mSR_SU_bEUlT_E_NS1_11comp_targetILNS1_3genE9ELNS1_11target_archE1100ELNS1_3gpuE3ELNS1_3repE0EEENS1_30default_config_static_selectorELNS0_4arch9wavefront6targetE1EEEvSO_
	.globl	_ZN7rocprim17ROCPRIM_400000_NS6detail17trampoline_kernelINS0_14default_configENS1_29binary_search_config_selectorIibEEZNS1_14transform_implILb0ES3_S5_N6thrust23THRUST_200600_302600_NS17counting_iteratorIiNS8_11use_defaultESA_SA_EEPbZNS1_13binary_searchIS3_S5_PiSB_SC_NS1_16binary_search_opENS8_6detail16wrapped_functionINS0_4lessIvEEbEEEE10hipError_tPvRmT1_T2_T3_mmT4_T5_P12ihipStream_tbEUlRKiE_EESL_SP_SQ_mSR_SU_bEUlT_E_NS1_11comp_targetILNS1_3genE9ELNS1_11target_archE1100ELNS1_3gpuE3ELNS1_3repE0EEENS1_30default_config_static_selectorELNS0_4arch9wavefront6targetE1EEEvSO_
	.p2align	8
	.type	_ZN7rocprim17ROCPRIM_400000_NS6detail17trampoline_kernelINS0_14default_configENS1_29binary_search_config_selectorIibEEZNS1_14transform_implILb0ES3_S5_N6thrust23THRUST_200600_302600_NS17counting_iteratorIiNS8_11use_defaultESA_SA_EEPbZNS1_13binary_searchIS3_S5_PiSB_SC_NS1_16binary_search_opENS8_6detail16wrapped_functionINS0_4lessIvEEbEEEE10hipError_tPvRmT1_T2_T3_mmT4_T5_P12ihipStream_tbEUlRKiE_EESL_SP_SQ_mSR_SU_bEUlT_E_NS1_11comp_targetILNS1_3genE9ELNS1_11target_archE1100ELNS1_3gpuE3ELNS1_3repE0EEENS1_30default_config_static_selectorELNS0_4arch9wavefront6targetE1EEEvSO_,@function
_ZN7rocprim17ROCPRIM_400000_NS6detail17trampoline_kernelINS0_14default_configENS1_29binary_search_config_selectorIibEEZNS1_14transform_implILb0ES3_S5_N6thrust23THRUST_200600_302600_NS17counting_iteratorIiNS8_11use_defaultESA_SA_EEPbZNS1_13binary_searchIS3_S5_PiSB_SC_NS1_16binary_search_opENS8_6detail16wrapped_functionINS0_4lessIvEEbEEEE10hipError_tPvRmT1_T2_T3_mmT4_T5_P12ihipStream_tbEUlRKiE_EESL_SP_SQ_mSR_SU_bEUlT_E_NS1_11comp_targetILNS1_3genE9ELNS1_11target_archE1100ELNS1_3gpuE3ELNS1_3repE0EEENS1_30default_config_static_selectorELNS0_4arch9wavefront6targetE1EEEvSO_: ; @_ZN7rocprim17ROCPRIM_400000_NS6detail17trampoline_kernelINS0_14default_configENS1_29binary_search_config_selectorIibEEZNS1_14transform_implILb0ES3_S5_N6thrust23THRUST_200600_302600_NS17counting_iteratorIiNS8_11use_defaultESA_SA_EEPbZNS1_13binary_searchIS3_S5_PiSB_SC_NS1_16binary_search_opENS8_6detail16wrapped_functionINS0_4lessIvEEbEEEE10hipError_tPvRmT1_T2_T3_mmT4_T5_P12ihipStream_tbEUlRKiE_EESL_SP_SQ_mSR_SU_bEUlT_E_NS1_11comp_targetILNS1_3genE9ELNS1_11target_archE1100ELNS1_3gpuE3ELNS1_3repE0EEENS1_30default_config_static_selectorELNS0_4arch9wavefront6targetE1EEEvSO_
; %bb.0:
	.section	.rodata,"a",@progbits
	.p2align	6, 0x0
	.amdhsa_kernel _ZN7rocprim17ROCPRIM_400000_NS6detail17trampoline_kernelINS0_14default_configENS1_29binary_search_config_selectorIibEEZNS1_14transform_implILb0ES3_S5_N6thrust23THRUST_200600_302600_NS17counting_iteratorIiNS8_11use_defaultESA_SA_EEPbZNS1_13binary_searchIS3_S5_PiSB_SC_NS1_16binary_search_opENS8_6detail16wrapped_functionINS0_4lessIvEEbEEEE10hipError_tPvRmT1_T2_T3_mmT4_T5_P12ihipStream_tbEUlRKiE_EESL_SP_SQ_mSR_SU_bEUlT_E_NS1_11comp_targetILNS1_3genE9ELNS1_11target_archE1100ELNS1_3gpuE3ELNS1_3repE0EEENS1_30default_config_static_selectorELNS0_4arch9wavefront6targetE1EEEvSO_
		.amdhsa_group_segment_fixed_size 0
		.amdhsa_private_segment_fixed_size 0
		.amdhsa_kernarg_size 56
		.amdhsa_user_sgpr_count 6
		.amdhsa_user_sgpr_private_segment_buffer 1
		.amdhsa_user_sgpr_dispatch_ptr 0
		.amdhsa_user_sgpr_queue_ptr 0
		.amdhsa_user_sgpr_kernarg_segment_ptr 1
		.amdhsa_user_sgpr_dispatch_id 0
		.amdhsa_user_sgpr_flat_scratch_init 0
		.amdhsa_user_sgpr_kernarg_preload_length 0
		.amdhsa_user_sgpr_kernarg_preload_offset 0
		.amdhsa_user_sgpr_private_segment_size 0
		.amdhsa_uses_dynamic_stack 0
		.amdhsa_system_sgpr_private_segment_wavefront_offset 0
		.amdhsa_system_sgpr_workgroup_id_x 1
		.amdhsa_system_sgpr_workgroup_id_y 0
		.amdhsa_system_sgpr_workgroup_id_z 0
		.amdhsa_system_sgpr_workgroup_info 0
		.amdhsa_system_vgpr_workitem_id 0
		.amdhsa_next_free_vgpr 1
		.amdhsa_next_free_sgpr 0
		.amdhsa_accum_offset 4
		.amdhsa_reserve_vcc 0
		.amdhsa_reserve_flat_scratch 0
		.amdhsa_float_round_mode_32 0
		.amdhsa_float_round_mode_16_64 0
		.amdhsa_float_denorm_mode_32 3
		.amdhsa_float_denorm_mode_16_64 3
		.amdhsa_dx10_clamp 1
		.amdhsa_ieee_mode 1
		.amdhsa_fp16_overflow 0
		.amdhsa_tg_split 0
		.amdhsa_exception_fp_ieee_invalid_op 0
		.amdhsa_exception_fp_denorm_src 0
		.amdhsa_exception_fp_ieee_div_zero 0
		.amdhsa_exception_fp_ieee_overflow 0
		.amdhsa_exception_fp_ieee_underflow 0
		.amdhsa_exception_fp_ieee_inexact 0
		.amdhsa_exception_int_div_zero 0
	.end_amdhsa_kernel
	.section	.text._ZN7rocprim17ROCPRIM_400000_NS6detail17trampoline_kernelINS0_14default_configENS1_29binary_search_config_selectorIibEEZNS1_14transform_implILb0ES3_S5_N6thrust23THRUST_200600_302600_NS17counting_iteratorIiNS8_11use_defaultESA_SA_EEPbZNS1_13binary_searchIS3_S5_PiSB_SC_NS1_16binary_search_opENS8_6detail16wrapped_functionINS0_4lessIvEEbEEEE10hipError_tPvRmT1_T2_T3_mmT4_T5_P12ihipStream_tbEUlRKiE_EESL_SP_SQ_mSR_SU_bEUlT_E_NS1_11comp_targetILNS1_3genE9ELNS1_11target_archE1100ELNS1_3gpuE3ELNS1_3repE0EEENS1_30default_config_static_selectorELNS0_4arch9wavefront6targetE1EEEvSO_,"axG",@progbits,_ZN7rocprim17ROCPRIM_400000_NS6detail17trampoline_kernelINS0_14default_configENS1_29binary_search_config_selectorIibEEZNS1_14transform_implILb0ES3_S5_N6thrust23THRUST_200600_302600_NS17counting_iteratorIiNS8_11use_defaultESA_SA_EEPbZNS1_13binary_searchIS3_S5_PiSB_SC_NS1_16binary_search_opENS8_6detail16wrapped_functionINS0_4lessIvEEbEEEE10hipError_tPvRmT1_T2_T3_mmT4_T5_P12ihipStream_tbEUlRKiE_EESL_SP_SQ_mSR_SU_bEUlT_E_NS1_11comp_targetILNS1_3genE9ELNS1_11target_archE1100ELNS1_3gpuE3ELNS1_3repE0EEENS1_30default_config_static_selectorELNS0_4arch9wavefront6targetE1EEEvSO_,comdat
.Lfunc_end237:
	.size	_ZN7rocprim17ROCPRIM_400000_NS6detail17trampoline_kernelINS0_14default_configENS1_29binary_search_config_selectorIibEEZNS1_14transform_implILb0ES3_S5_N6thrust23THRUST_200600_302600_NS17counting_iteratorIiNS8_11use_defaultESA_SA_EEPbZNS1_13binary_searchIS3_S5_PiSB_SC_NS1_16binary_search_opENS8_6detail16wrapped_functionINS0_4lessIvEEbEEEE10hipError_tPvRmT1_T2_T3_mmT4_T5_P12ihipStream_tbEUlRKiE_EESL_SP_SQ_mSR_SU_bEUlT_E_NS1_11comp_targetILNS1_3genE9ELNS1_11target_archE1100ELNS1_3gpuE3ELNS1_3repE0EEENS1_30default_config_static_selectorELNS0_4arch9wavefront6targetE1EEEvSO_, .Lfunc_end237-_ZN7rocprim17ROCPRIM_400000_NS6detail17trampoline_kernelINS0_14default_configENS1_29binary_search_config_selectorIibEEZNS1_14transform_implILb0ES3_S5_N6thrust23THRUST_200600_302600_NS17counting_iteratorIiNS8_11use_defaultESA_SA_EEPbZNS1_13binary_searchIS3_S5_PiSB_SC_NS1_16binary_search_opENS8_6detail16wrapped_functionINS0_4lessIvEEbEEEE10hipError_tPvRmT1_T2_T3_mmT4_T5_P12ihipStream_tbEUlRKiE_EESL_SP_SQ_mSR_SU_bEUlT_E_NS1_11comp_targetILNS1_3genE9ELNS1_11target_archE1100ELNS1_3gpuE3ELNS1_3repE0EEENS1_30default_config_static_selectorELNS0_4arch9wavefront6targetE1EEEvSO_
                                        ; -- End function
	.section	.AMDGPU.csdata,"",@progbits
; Kernel info:
; codeLenInByte = 0
; NumSgprs: 4
; NumVgprs: 0
; NumAgprs: 0
; TotalNumVgprs: 0
; ScratchSize: 0
; MemoryBound: 0
; FloatMode: 240
; IeeeMode: 1
; LDSByteSize: 0 bytes/workgroup (compile time only)
; SGPRBlocks: 0
; VGPRBlocks: 0
; NumSGPRsForWavesPerEU: 4
; NumVGPRsForWavesPerEU: 1
; AccumOffset: 4
; Occupancy: 8
; WaveLimiterHint : 0
; COMPUTE_PGM_RSRC2:SCRATCH_EN: 0
; COMPUTE_PGM_RSRC2:USER_SGPR: 6
; COMPUTE_PGM_RSRC2:TRAP_HANDLER: 0
; COMPUTE_PGM_RSRC2:TGID_X_EN: 1
; COMPUTE_PGM_RSRC2:TGID_Y_EN: 0
; COMPUTE_PGM_RSRC2:TGID_Z_EN: 0
; COMPUTE_PGM_RSRC2:TIDIG_COMP_CNT: 0
; COMPUTE_PGM_RSRC3_GFX90A:ACCUM_OFFSET: 0
; COMPUTE_PGM_RSRC3_GFX90A:TG_SPLIT: 0
	.section	.text._ZN7rocprim17ROCPRIM_400000_NS6detail17trampoline_kernelINS0_14default_configENS1_29binary_search_config_selectorIibEEZNS1_14transform_implILb0ES3_S5_N6thrust23THRUST_200600_302600_NS17counting_iteratorIiNS8_11use_defaultESA_SA_EEPbZNS1_13binary_searchIS3_S5_PiSB_SC_NS1_16binary_search_opENS8_6detail16wrapped_functionINS0_4lessIvEEbEEEE10hipError_tPvRmT1_T2_T3_mmT4_T5_P12ihipStream_tbEUlRKiE_EESL_SP_SQ_mSR_SU_bEUlT_E_NS1_11comp_targetILNS1_3genE8ELNS1_11target_archE1030ELNS1_3gpuE2ELNS1_3repE0EEENS1_30default_config_static_selectorELNS0_4arch9wavefront6targetE1EEEvSO_,"axG",@progbits,_ZN7rocprim17ROCPRIM_400000_NS6detail17trampoline_kernelINS0_14default_configENS1_29binary_search_config_selectorIibEEZNS1_14transform_implILb0ES3_S5_N6thrust23THRUST_200600_302600_NS17counting_iteratorIiNS8_11use_defaultESA_SA_EEPbZNS1_13binary_searchIS3_S5_PiSB_SC_NS1_16binary_search_opENS8_6detail16wrapped_functionINS0_4lessIvEEbEEEE10hipError_tPvRmT1_T2_T3_mmT4_T5_P12ihipStream_tbEUlRKiE_EESL_SP_SQ_mSR_SU_bEUlT_E_NS1_11comp_targetILNS1_3genE8ELNS1_11target_archE1030ELNS1_3gpuE2ELNS1_3repE0EEENS1_30default_config_static_selectorELNS0_4arch9wavefront6targetE1EEEvSO_,comdat
	.protected	_ZN7rocprim17ROCPRIM_400000_NS6detail17trampoline_kernelINS0_14default_configENS1_29binary_search_config_selectorIibEEZNS1_14transform_implILb0ES3_S5_N6thrust23THRUST_200600_302600_NS17counting_iteratorIiNS8_11use_defaultESA_SA_EEPbZNS1_13binary_searchIS3_S5_PiSB_SC_NS1_16binary_search_opENS8_6detail16wrapped_functionINS0_4lessIvEEbEEEE10hipError_tPvRmT1_T2_T3_mmT4_T5_P12ihipStream_tbEUlRKiE_EESL_SP_SQ_mSR_SU_bEUlT_E_NS1_11comp_targetILNS1_3genE8ELNS1_11target_archE1030ELNS1_3gpuE2ELNS1_3repE0EEENS1_30default_config_static_selectorELNS0_4arch9wavefront6targetE1EEEvSO_ ; -- Begin function _ZN7rocprim17ROCPRIM_400000_NS6detail17trampoline_kernelINS0_14default_configENS1_29binary_search_config_selectorIibEEZNS1_14transform_implILb0ES3_S5_N6thrust23THRUST_200600_302600_NS17counting_iteratorIiNS8_11use_defaultESA_SA_EEPbZNS1_13binary_searchIS3_S5_PiSB_SC_NS1_16binary_search_opENS8_6detail16wrapped_functionINS0_4lessIvEEbEEEE10hipError_tPvRmT1_T2_T3_mmT4_T5_P12ihipStream_tbEUlRKiE_EESL_SP_SQ_mSR_SU_bEUlT_E_NS1_11comp_targetILNS1_3genE8ELNS1_11target_archE1030ELNS1_3gpuE2ELNS1_3repE0EEENS1_30default_config_static_selectorELNS0_4arch9wavefront6targetE1EEEvSO_
	.globl	_ZN7rocprim17ROCPRIM_400000_NS6detail17trampoline_kernelINS0_14default_configENS1_29binary_search_config_selectorIibEEZNS1_14transform_implILb0ES3_S5_N6thrust23THRUST_200600_302600_NS17counting_iteratorIiNS8_11use_defaultESA_SA_EEPbZNS1_13binary_searchIS3_S5_PiSB_SC_NS1_16binary_search_opENS8_6detail16wrapped_functionINS0_4lessIvEEbEEEE10hipError_tPvRmT1_T2_T3_mmT4_T5_P12ihipStream_tbEUlRKiE_EESL_SP_SQ_mSR_SU_bEUlT_E_NS1_11comp_targetILNS1_3genE8ELNS1_11target_archE1030ELNS1_3gpuE2ELNS1_3repE0EEENS1_30default_config_static_selectorELNS0_4arch9wavefront6targetE1EEEvSO_
	.p2align	8
	.type	_ZN7rocprim17ROCPRIM_400000_NS6detail17trampoline_kernelINS0_14default_configENS1_29binary_search_config_selectorIibEEZNS1_14transform_implILb0ES3_S5_N6thrust23THRUST_200600_302600_NS17counting_iteratorIiNS8_11use_defaultESA_SA_EEPbZNS1_13binary_searchIS3_S5_PiSB_SC_NS1_16binary_search_opENS8_6detail16wrapped_functionINS0_4lessIvEEbEEEE10hipError_tPvRmT1_T2_T3_mmT4_T5_P12ihipStream_tbEUlRKiE_EESL_SP_SQ_mSR_SU_bEUlT_E_NS1_11comp_targetILNS1_3genE8ELNS1_11target_archE1030ELNS1_3gpuE2ELNS1_3repE0EEENS1_30default_config_static_selectorELNS0_4arch9wavefront6targetE1EEEvSO_,@function
_ZN7rocprim17ROCPRIM_400000_NS6detail17trampoline_kernelINS0_14default_configENS1_29binary_search_config_selectorIibEEZNS1_14transform_implILb0ES3_S5_N6thrust23THRUST_200600_302600_NS17counting_iteratorIiNS8_11use_defaultESA_SA_EEPbZNS1_13binary_searchIS3_S5_PiSB_SC_NS1_16binary_search_opENS8_6detail16wrapped_functionINS0_4lessIvEEbEEEE10hipError_tPvRmT1_T2_T3_mmT4_T5_P12ihipStream_tbEUlRKiE_EESL_SP_SQ_mSR_SU_bEUlT_E_NS1_11comp_targetILNS1_3genE8ELNS1_11target_archE1030ELNS1_3gpuE2ELNS1_3repE0EEENS1_30default_config_static_selectorELNS0_4arch9wavefront6targetE1EEEvSO_: ; @_ZN7rocprim17ROCPRIM_400000_NS6detail17trampoline_kernelINS0_14default_configENS1_29binary_search_config_selectorIibEEZNS1_14transform_implILb0ES3_S5_N6thrust23THRUST_200600_302600_NS17counting_iteratorIiNS8_11use_defaultESA_SA_EEPbZNS1_13binary_searchIS3_S5_PiSB_SC_NS1_16binary_search_opENS8_6detail16wrapped_functionINS0_4lessIvEEbEEEE10hipError_tPvRmT1_T2_T3_mmT4_T5_P12ihipStream_tbEUlRKiE_EESL_SP_SQ_mSR_SU_bEUlT_E_NS1_11comp_targetILNS1_3genE8ELNS1_11target_archE1030ELNS1_3gpuE2ELNS1_3repE0EEENS1_30default_config_static_selectorELNS0_4arch9wavefront6targetE1EEEvSO_
; %bb.0:
	.section	.rodata,"a",@progbits
	.p2align	6, 0x0
	.amdhsa_kernel _ZN7rocprim17ROCPRIM_400000_NS6detail17trampoline_kernelINS0_14default_configENS1_29binary_search_config_selectorIibEEZNS1_14transform_implILb0ES3_S5_N6thrust23THRUST_200600_302600_NS17counting_iteratorIiNS8_11use_defaultESA_SA_EEPbZNS1_13binary_searchIS3_S5_PiSB_SC_NS1_16binary_search_opENS8_6detail16wrapped_functionINS0_4lessIvEEbEEEE10hipError_tPvRmT1_T2_T3_mmT4_T5_P12ihipStream_tbEUlRKiE_EESL_SP_SQ_mSR_SU_bEUlT_E_NS1_11comp_targetILNS1_3genE8ELNS1_11target_archE1030ELNS1_3gpuE2ELNS1_3repE0EEENS1_30default_config_static_selectorELNS0_4arch9wavefront6targetE1EEEvSO_
		.amdhsa_group_segment_fixed_size 0
		.amdhsa_private_segment_fixed_size 0
		.amdhsa_kernarg_size 56
		.amdhsa_user_sgpr_count 6
		.amdhsa_user_sgpr_private_segment_buffer 1
		.amdhsa_user_sgpr_dispatch_ptr 0
		.amdhsa_user_sgpr_queue_ptr 0
		.amdhsa_user_sgpr_kernarg_segment_ptr 1
		.amdhsa_user_sgpr_dispatch_id 0
		.amdhsa_user_sgpr_flat_scratch_init 0
		.amdhsa_user_sgpr_kernarg_preload_length 0
		.amdhsa_user_sgpr_kernarg_preload_offset 0
		.amdhsa_user_sgpr_private_segment_size 0
		.amdhsa_uses_dynamic_stack 0
		.amdhsa_system_sgpr_private_segment_wavefront_offset 0
		.amdhsa_system_sgpr_workgroup_id_x 1
		.amdhsa_system_sgpr_workgroup_id_y 0
		.amdhsa_system_sgpr_workgroup_id_z 0
		.amdhsa_system_sgpr_workgroup_info 0
		.amdhsa_system_vgpr_workitem_id 0
		.amdhsa_next_free_vgpr 1
		.amdhsa_next_free_sgpr 0
		.amdhsa_accum_offset 4
		.amdhsa_reserve_vcc 0
		.amdhsa_reserve_flat_scratch 0
		.amdhsa_float_round_mode_32 0
		.amdhsa_float_round_mode_16_64 0
		.amdhsa_float_denorm_mode_32 3
		.amdhsa_float_denorm_mode_16_64 3
		.amdhsa_dx10_clamp 1
		.amdhsa_ieee_mode 1
		.amdhsa_fp16_overflow 0
		.amdhsa_tg_split 0
		.amdhsa_exception_fp_ieee_invalid_op 0
		.amdhsa_exception_fp_denorm_src 0
		.amdhsa_exception_fp_ieee_div_zero 0
		.amdhsa_exception_fp_ieee_overflow 0
		.amdhsa_exception_fp_ieee_underflow 0
		.amdhsa_exception_fp_ieee_inexact 0
		.amdhsa_exception_int_div_zero 0
	.end_amdhsa_kernel
	.section	.text._ZN7rocprim17ROCPRIM_400000_NS6detail17trampoline_kernelINS0_14default_configENS1_29binary_search_config_selectorIibEEZNS1_14transform_implILb0ES3_S5_N6thrust23THRUST_200600_302600_NS17counting_iteratorIiNS8_11use_defaultESA_SA_EEPbZNS1_13binary_searchIS3_S5_PiSB_SC_NS1_16binary_search_opENS8_6detail16wrapped_functionINS0_4lessIvEEbEEEE10hipError_tPvRmT1_T2_T3_mmT4_T5_P12ihipStream_tbEUlRKiE_EESL_SP_SQ_mSR_SU_bEUlT_E_NS1_11comp_targetILNS1_3genE8ELNS1_11target_archE1030ELNS1_3gpuE2ELNS1_3repE0EEENS1_30default_config_static_selectorELNS0_4arch9wavefront6targetE1EEEvSO_,"axG",@progbits,_ZN7rocprim17ROCPRIM_400000_NS6detail17trampoline_kernelINS0_14default_configENS1_29binary_search_config_selectorIibEEZNS1_14transform_implILb0ES3_S5_N6thrust23THRUST_200600_302600_NS17counting_iteratorIiNS8_11use_defaultESA_SA_EEPbZNS1_13binary_searchIS3_S5_PiSB_SC_NS1_16binary_search_opENS8_6detail16wrapped_functionINS0_4lessIvEEbEEEE10hipError_tPvRmT1_T2_T3_mmT4_T5_P12ihipStream_tbEUlRKiE_EESL_SP_SQ_mSR_SU_bEUlT_E_NS1_11comp_targetILNS1_3genE8ELNS1_11target_archE1030ELNS1_3gpuE2ELNS1_3repE0EEENS1_30default_config_static_selectorELNS0_4arch9wavefront6targetE1EEEvSO_,comdat
.Lfunc_end238:
	.size	_ZN7rocprim17ROCPRIM_400000_NS6detail17trampoline_kernelINS0_14default_configENS1_29binary_search_config_selectorIibEEZNS1_14transform_implILb0ES3_S5_N6thrust23THRUST_200600_302600_NS17counting_iteratorIiNS8_11use_defaultESA_SA_EEPbZNS1_13binary_searchIS3_S5_PiSB_SC_NS1_16binary_search_opENS8_6detail16wrapped_functionINS0_4lessIvEEbEEEE10hipError_tPvRmT1_T2_T3_mmT4_T5_P12ihipStream_tbEUlRKiE_EESL_SP_SQ_mSR_SU_bEUlT_E_NS1_11comp_targetILNS1_3genE8ELNS1_11target_archE1030ELNS1_3gpuE2ELNS1_3repE0EEENS1_30default_config_static_selectorELNS0_4arch9wavefront6targetE1EEEvSO_, .Lfunc_end238-_ZN7rocprim17ROCPRIM_400000_NS6detail17trampoline_kernelINS0_14default_configENS1_29binary_search_config_selectorIibEEZNS1_14transform_implILb0ES3_S5_N6thrust23THRUST_200600_302600_NS17counting_iteratorIiNS8_11use_defaultESA_SA_EEPbZNS1_13binary_searchIS3_S5_PiSB_SC_NS1_16binary_search_opENS8_6detail16wrapped_functionINS0_4lessIvEEbEEEE10hipError_tPvRmT1_T2_T3_mmT4_T5_P12ihipStream_tbEUlRKiE_EESL_SP_SQ_mSR_SU_bEUlT_E_NS1_11comp_targetILNS1_3genE8ELNS1_11target_archE1030ELNS1_3gpuE2ELNS1_3repE0EEENS1_30default_config_static_selectorELNS0_4arch9wavefront6targetE1EEEvSO_
                                        ; -- End function
	.section	.AMDGPU.csdata,"",@progbits
; Kernel info:
; codeLenInByte = 0
; NumSgprs: 4
; NumVgprs: 0
; NumAgprs: 0
; TotalNumVgprs: 0
; ScratchSize: 0
; MemoryBound: 0
; FloatMode: 240
; IeeeMode: 1
; LDSByteSize: 0 bytes/workgroup (compile time only)
; SGPRBlocks: 0
; VGPRBlocks: 0
; NumSGPRsForWavesPerEU: 4
; NumVGPRsForWavesPerEU: 1
; AccumOffset: 4
; Occupancy: 8
; WaveLimiterHint : 0
; COMPUTE_PGM_RSRC2:SCRATCH_EN: 0
; COMPUTE_PGM_RSRC2:USER_SGPR: 6
; COMPUTE_PGM_RSRC2:TRAP_HANDLER: 0
; COMPUTE_PGM_RSRC2:TGID_X_EN: 1
; COMPUTE_PGM_RSRC2:TGID_Y_EN: 0
; COMPUTE_PGM_RSRC2:TGID_Z_EN: 0
; COMPUTE_PGM_RSRC2:TIDIG_COMP_CNT: 0
; COMPUTE_PGM_RSRC3_GFX90A:ACCUM_OFFSET: 0
; COMPUTE_PGM_RSRC3_GFX90A:TG_SPLIT: 0
	.section	.text._Z20binary_search_kernelIsEvmPT_Pb,"axG",@progbits,_Z20binary_search_kernelIsEvmPT_Pb,comdat
	.protected	_Z20binary_search_kernelIsEvmPT_Pb ; -- Begin function _Z20binary_search_kernelIsEvmPT_Pb
	.globl	_Z20binary_search_kernelIsEvmPT_Pb
	.p2align	8
	.type	_Z20binary_search_kernelIsEvmPT_Pb,@function
_Z20binary_search_kernelIsEvmPT_Pb:     ; @_Z20binary_search_kernelIsEvmPT_Pb
; %bb.0:
	s_load_dwordx4 s[8:11], s[4:5], 0x0
	s_load_dwordx2 s[2:3], s[4:5], 0x10
	s_waitcnt lgkmcnt(0)
	s_lshl_b64 s[0:1], s[8:9], 1
	s_ashr_i64 s[4:5], s[0:1], 1
	v_cmp_lt_i64_e64 s[6:7], s[4:5], 1
	s_mov_b64 s[0:1], 0
	s_and_b64 vcc, exec, s[6:7]
	s_cbranch_vccnz .LBB239_3
; %bb.1:
	v_mov_b32_e32 v0, 0
	s_mov_b64 s[6:7], s[4:5]
.LBB239_2:                              ; =>This Inner Loop Header: Depth=1
	s_sub_u32 s12, s6, s0
	s_subb_u32 s13, s7, s1
	s_lshr_b32 s14, s13, 31
	s_add_u32 s12, s12, s14
	s_addc_u32 s13, s13, 0
	s_ashr_i64 s[12:13], s[12:13], 1
	s_add_u32 s12, s12, s0
	s_addc_u32 s13, s13, s1
	s_lshl_b64 s[14:15], s[12:13], 1
	s_add_u32 s14, s10, s14
	s_addc_u32 s15, s11, s15
	global_load_sshort v1, v0, s[14:15]
	s_add_u32 s14, s12, 1
	s_addc_u32 s15, s13, 0
	s_waitcnt vmcnt(0)
	v_readfirstlane_b32 s16, v1
	s_cmp_lt_i32 s16, 0
	s_cselect_b32 s7, s7, s13
	s_cselect_b32 s6, s6, s12
	;; [unrolled: 1-line block ×4, first 2 shown]
	v_pk_mov_b32 v[2:3], s[6:7], s[6:7] op_sel:[0,1]
	v_cmp_lt_i64_e32 vcc, s[0:1], v[2:3]
	s_cbranch_vccnz .LBB239_2
.LBB239_3:
	v_cmp_gt_i64_e64 s[12:13], s[4:5], 0
	s_mov_b64 s[6:7], 0
	s_cmp_eq_u64 s[0:1], s[8:9]
	s_mov_b64 s[14:15], 0
	s_cbranch_scc1 .LBB239_5
; %bb.4:
	s_lshl_b64 s[0:1], s[0:1], 1
	s_add_u32 s0, s10, s0
	s_addc_u32 s1, s11, s1
	v_mov_b32_e32 v0, 0
	global_load_sshort v0, v0, s[0:1]
	s_waitcnt vmcnt(0)
	v_cmp_gt_i32_e64 s[14:15], 1, v0
.LBB239_5:
	v_cndmask_b32_e64 v2, 0, 1, s[12:13]
	v_mov_b32_e32 v0, 0
	v_cndmask_b32_e64 v1, 0, 1, s[14:15]
	v_cmp_ne_u32_e64 s[0:1], 1, v2
	s_andn2_b64 vcc, exec, s[12:13]
	global_store_byte v0, v1, s[2:3]
	s_cbranch_vccnz .LBB239_8
; %bb.6:
	s_mov_b64 s[12:13], s[4:5]
.LBB239_7:                              ; =>This Inner Loop Header: Depth=1
	s_sub_u32 s14, s12, s6
	s_subb_u32 s15, s13, s7
	s_lshr_b32 s16, s15, 31
	s_add_u32 s14, s14, s16
	s_addc_u32 s15, s15, 0
	s_ashr_i64 s[14:15], s[14:15], 1
	s_add_u32 s14, s14, s6
	s_addc_u32 s15, s15, s7
	s_lshl_b64 s[16:17], s[14:15], 1
	s_add_u32 s16, s10, s16
	s_addc_u32 s17, s11, s17
	global_load_sshort v1, v0, s[16:17]
	s_add_u32 s16, s14, 1
	s_addc_u32 s17, s15, 0
	s_waitcnt vmcnt(0)
	v_readfirstlane_b32 s18, v1
	s_cmp_lt_i32 s18, 1
	s_cselect_b32 s13, s13, s15
	s_cselect_b32 s12, s12, s14
	s_cselect_b32 s7, s17, s7
	s_cselect_b32 s6, s16, s6
	v_pk_mov_b32 v[2:3], s[12:13], s[12:13] op_sel:[0,1]
	v_cmp_lt_i64_e32 vcc, s[6:7], v[2:3]
	s_cbranch_vccnz .LBB239_7
.LBB239_8:
	s_mov_b64 s[12:13], 0
	s_cmp_eq_u64 s[6:7], s[8:9]
	s_mov_b64 s[14:15], 0
	s_cbranch_scc1 .LBB239_10
; %bb.9:
	s_lshl_b64 s[6:7], s[6:7], 1
	s_add_u32 s6, s10, s6
	s_addc_u32 s7, s11, s7
	v_mov_b32_e32 v0, 0
	global_load_sshort v0, v0, s[6:7]
	s_waitcnt vmcnt(0)
	v_cmp_gt_i32_e64 s[14:15], 2, v0
.LBB239_10:
	v_cndmask_b32_e64 v1, 0, 1, s[14:15]
	v_mov_b32_e32 v0, 0
	s_and_b64 vcc, exec, s[0:1]
	global_store_byte v0, v1, s[2:3] offset:1
	s_cbranch_vccnz .LBB239_13
; %bb.11:
	s_mov_b64 s[6:7], s[4:5]
.LBB239_12:                             ; =>This Inner Loop Header: Depth=1
	s_sub_u32 s14, s6, s12
	s_subb_u32 s15, s7, s13
	s_lshr_b32 s16, s15, 31
	s_add_u32 s14, s14, s16
	s_addc_u32 s15, s15, 0
	s_ashr_i64 s[14:15], s[14:15], 1
	s_add_u32 s14, s14, s12
	s_addc_u32 s15, s15, s13
	s_lshl_b64 s[16:17], s[14:15], 1
	s_add_u32 s16, s10, s16
	s_addc_u32 s17, s11, s17
	global_load_sshort v1, v0, s[16:17]
	s_add_u32 s16, s14, 1
	s_addc_u32 s17, s15, 0
	s_waitcnt vmcnt(0)
	v_readfirstlane_b32 s18, v1
	s_cmp_lt_i32 s18, 2
	s_cselect_b32 s7, s7, s15
	s_cselect_b32 s6, s6, s14
	s_cselect_b32 s13, s17, s13
	s_cselect_b32 s12, s16, s12
	v_pk_mov_b32 v[2:3], s[6:7], s[6:7] op_sel:[0,1]
	v_cmp_lt_i64_e32 vcc, s[12:13], v[2:3]
	s_cbranch_vccnz .LBB239_12
.LBB239_13:
	s_mov_b64 s[6:7], 0
	s_cmp_eq_u64 s[12:13], s[8:9]
	s_mov_b64 s[14:15], 0
	s_cbranch_scc1 .LBB239_15
; %bb.14:
	s_lshl_b64 s[12:13], s[12:13], 1
	s_add_u32 s12, s10, s12
	s_addc_u32 s13, s11, s13
	v_mov_b32_e32 v0, 0
	global_load_sshort v0, v0, s[12:13]
	s_waitcnt vmcnt(0)
	v_cmp_gt_i32_e64 s[14:15], 3, v0
.LBB239_15:
	v_cndmask_b32_e64 v1, 0, 1, s[14:15]
	v_mov_b32_e32 v0, 0
	s_and_b64 vcc, exec, s[0:1]
	global_store_byte v0, v1, s[2:3] offset:2
	s_cbranch_vccnz .LBB239_18
; %bb.16:
	s_mov_b64 s[12:13], s[4:5]
.LBB239_17:                             ; =>This Inner Loop Header: Depth=1
	s_sub_u32 s14, s12, s6
	s_subb_u32 s15, s13, s7
	s_lshr_b32 s16, s15, 31
	s_add_u32 s14, s14, s16
	s_addc_u32 s15, s15, 0
	s_ashr_i64 s[14:15], s[14:15], 1
	s_add_u32 s14, s14, s6
	s_addc_u32 s15, s15, s7
	s_lshl_b64 s[16:17], s[14:15], 1
	s_add_u32 s16, s10, s16
	s_addc_u32 s17, s11, s17
	global_load_sshort v1, v0, s[16:17]
	s_add_u32 s16, s14, 1
	s_addc_u32 s17, s15, 0
	s_waitcnt vmcnt(0)
	v_readfirstlane_b32 s18, v1
	s_cmp_lt_i32 s18, 3
	s_cselect_b32 s13, s13, s15
	s_cselect_b32 s12, s12, s14
	s_cselect_b32 s7, s17, s7
	s_cselect_b32 s6, s16, s6
	v_pk_mov_b32 v[2:3], s[12:13], s[12:13] op_sel:[0,1]
	v_cmp_lt_i64_e32 vcc, s[6:7], v[2:3]
	s_cbranch_vccnz .LBB239_17
.LBB239_18:
	;; [unrolled: 46-line block ×7, first 2 shown]
	s_mov_b64 s[6:7], 0
	s_cmp_eq_u64 s[12:13], s[8:9]
	s_mov_b64 s[14:15], 0
	s_cbranch_scc1 .LBB239_45
; %bb.44:
	s_lshl_b64 s[12:13], s[12:13], 1
	s_add_u32 s12, s10, s12
	s_addc_u32 s13, s11, s13
	v_mov_b32_e32 v0, 0
	global_load_sshort v0, v0, s[12:13]
	s_waitcnt vmcnt(0)
	v_cmp_gt_i32_e64 s[14:15], 9, v0
.LBB239_45:
	v_cndmask_b32_e64 v1, 0, 1, s[14:15]
	v_mov_b32_e32 v0, 0
	s_and_b64 vcc, exec, s[0:1]
	global_store_byte v0, v1, s[2:3] offset:8
	s_cbranch_vccnz .LBB239_47
.LBB239_46:                             ; =>This Inner Loop Header: Depth=1
	s_sub_u32 s0, s4, s6
	s_subb_u32 s1, s5, s7
	s_lshr_b32 s12, s1, 31
	s_add_u32 s0, s0, s12
	s_addc_u32 s1, s1, 0
	s_ashr_i64 s[0:1], s[0:1], 1
	s_add_u32 s0, s0, s6
	s_addc_u32 s1, s1, s7
	s_lshl_b64 s[12:13], s[0:1], 1
	s_add_u32 s12, s10, s12
	s_addc_u32 s13, s11, s13
	global_load_sshort v1, v0, s[12:13]
	s_add_u32 s12, s0, 1
	s_addc_u32 s13, s1, 0
	s_waitcnt vmcnt(0)
	v_readfirstlane_b32 s14, v1
	s_cmp_lt_i32 s14, 9
	s_cselect_b32 s5, s5, s1
	s_cselect_b32 s4, s4, s0
	;; [unrolled: 1-line block ×4, first 2 shown]
	v_pk_mov_b32 v[2:3], s[4:5], s[4:5] op_sel:[0,1]
	v_cmp_lt_i64_e32 vcc, s[6:7], v[2:3]
	s_cbranch_vccnz .LBB239_46
.LBB239_47:
	s_cmp_eq_u64 s[6:7], s[8:9]
	s_mov_b64 s[0:1], 0
	s_cbranch_scc1 .LBB239_49
; %bb.48:
	s_lshl_b64 s[0:1], s[6:7], 1
	s_add_u32 s0, s10, s0
	s_addc_u32 s1, s11, s1
	v_mov_b32_e32 v0, 0
	global_load_sshort v0, v0, s[0:1]
	s_waitcnt vmcnt(0)
	v_cmp_gt_i32_e64 s[0:1], 10, v0
.LBB239_49:
	v_mov_b32_e32 v0, 0
	v_cndmask_b32_e64 v1, 0, 1, s[0:1]
	global_store_byte v0, v1, s[2:3] offset:9
	s_endpgm
	.section	.rodata,"a",@progbits
	.p2align	6, 0x0
	.amdhsa_kernel _Z20binary_search_kernelIsEvmPT_Pb
		.amdhsa_group_segment_fixed_size 0
		.amdhsa_private_segment_fixed_size 0
		.amdhsa_kernarg_size 24
		.amdhsa_user_sgpr_count 6
		.amdhsa_user_sgpr_private_segment_buffer 1
		.amdhsa_user_sgpr_dispatch_ptr 0
		.amdhsa_user_sgpr_queue_ptr 0
		.amdhsa_user_sgpr_kernarg_segment_ptr 1
		.amdhsa_user_sgpr_dispatch_id 0
		.amdhsa_user_sgpr_flat_scratch_init 0
		.amdhsa_user_sgpr_kernarg_preload_length 0
		.amdhsa_user_sgpr_kernarg_preload_offset 0
		.amdhsa_user_sgpr_private_segment_size 0
		.amdhsa_uses_dynamic_stack 0
		.amdhsa_system_sgpr_private_segment_wavefront_offset 0
		.amdhsa_system_sgpr_workgroup_id_x 1
		.amdhsa_system_sgpr_workgroup_id_y 0
		.amdhsa_system_sgpr_workgroup_id_z 0
		.amdhsa_system_sgpr_workgroup_info 0
		.amdhsa_system_vgpr_workitem_id 0
		.amdhsa_next_free_vgpr 4
		.amdhsa_next_free_sgpr 19
		.amdhsa_accum_offset 4
		.amdhsa_reserve_vcc 1
		.amdhsa_reserve_flat_scratch 0
		.amdhsa_float_round_mode_32 0
		.amdhsa_float_round_mode_16_64 0
		.amdhsa_float_denorm_mode_32 3
		.amdhsa_float_denorm_mode_16_64 3
		.amdhsa_dx10_clamp 1
		.amdhsa_ieee_mode 1
		.amdhsa_fp16_overflow 0
		.amdhsa_tg_split 0
		.amdhsa_exception_fp_ieee_invalid_op 0
		.amdhsa_exception_fp_denorm_src 0
		.amdhsa_exception_fp_ieee_div_zero 0
		.amdhsa_exception_fp_ieee_overflow 0
		.amdhsa_exception_fp_ieee_underflow 0
		.amdhsa_exception_fp_ieee_inexact 0
		.amdhsa_exception_int_div_zero 0
	.end_amdhsa_kernel
	.section	.text._Z20binary_search_kernelIsEvmPT_Pb,"axG",@progbits,_Z20binary_search_kernelIsEvmPT_Pb,comdat
.Lfunc_end239:
	.size	_Z20binary_search_kernelIsEvmPT_Pb, .Lfunc_end239-_Z20binary_search_kernelIsEvmPT_Pb
                                        ; -- End function
	.section	.AMDGPU.csdata,"",@progbits
; Kernel info:
; codeLenInByte = 1944
; NumSgprs: 23
; NumVgprs: 4
; NumAgprs: 0
; TotalNumVgprs: 4
; ScratchSize: 0
; MemoryBound: 0
; FloatMode: 240
; IeeeMode: 1
; LDSByteSize: 0 bytes/workgroup (compile time only)
; SGPRBlocks: 2
; VGPRBlocks: 0
; NumSGPRsForWavesPerEU: 23
; NumVGPRsForWavesPerEU: 4
; AccumOffset: 4
; Occupancy: 8
; WaveLimiterHint : 0
; COMPUTE_PGM_RSRC2:SCRATCH_EN: 0
; COMPUTE_PGM_RSRC2:USER_SGPR: 6
; COMPUTE_PGM_RSRC2:TRAP_HANDLER: 0
; COMPUTE_PGM_RSRC2:TGID_X_EN: 1
; COMPUTE_PGM_RSRC2:TGID_Y_EN: 0
; COMPUTE_PGM_RSRC2:TGID_Z_EN: 0
; COMPUTE_PGM_RSRC2:TIDIG_COMP_CNT: 0
; COMPUTE_PGM_RSRC3_GFX90A:ACCUM_OFFSET: 0
; COMPUTE_PGM_RSRC3_GFX90A:TG_SPLIT: 0
	.section	.text._ZN7rocprim17ROCPRIM_400000_NS6detail17trampoline_kernelINS0_14default_configENS1_29binary_search_config_selectorIsbEEZNS1_14transform_implILb0ES3_S5_N6thrust23THRUST_200600_302600_NS17counting_iteratorIsNS8_11use_defaultESA_SA_EEPbZNS1_13binary_searchIS3_S5_PsSB_SC_NS1_16binary_search_opENS8_6detail16wrapped_functionINS0_4lessIvEEbEEEE10hipError_tPvRmT1_T2_T3_mmT4_T5_P12ihipStream_tbEUlRKsE_EESL_SP_SQ_mSR_SU_bEUlT_E_NS1_11comp_targetILNS1_3genE0ELNS1_11target_archE4294967295ELNS1_3gpuE0ELNS1_3repE0EEENS1_30default_config_static_selectorELNS0_4arch9wavefront6targetE1EEEvSO_,"axG",@progbits,_ZN7rocprim17ROCPRIM_400000_NS6detail17trampoline_kernelINS0_14default_configENS1_29binary_search_config_selectorIsbEEZNS1_14transform_implILb0ES3_S5_N6thrust23THRUST_200600_302600_NS17counting_iteratorIsNS8_11use_defaultESA_SA_EEPbZNS1_13binary_searchIS3_S5_PsSB_SC_NS1_16binary_search_opENS8_6detail16wrapped_functionINS0_4lessIvEEbEEEE10hipError_tPvRmT1_T2_T3_mmT4_T5_P12ihipStream_tbEUlRKsE_EESL_SP_SQ_mSR_SU_bEUlT_E_NS1_11comp_targetILNS1_3genE0ELNS1_11target_archE4294967295ELNS1_3gpuE0ELNS1_3repE0EEENS1_30default_config_static_selectorELNS0_4arch9wavefront6targetE1EEEvSO_,comdat
	.protected	_ZN7rocprim17ROCPRIM_400000_NS6detail17trampoline_kernelINS0_14default_configENS1_29binary_search_config_selectorIsbEEZNS1_14transform_implILb0ES3_S5_N6thrust23THRUST_200600_302600_NS17counting_iteratorIsNS8_11use_defaultESA_SA_EEPbZNS1_13binary_searchIS3_S5_PsSB_SC_NS1_16binary_search_opENS8_6detail16wrapped_functionINS0_4lessIvEEbEEEE10hipError_tPvRmT1_T2_T3_mmT4_T5_P12ihipStream_tbEUlRKsE_EESL_SP_SQ_mSR_SU_bEUlT_E_NS1_11comp_targetILNS1_3genE0ELNS1_11target_archE4294967295ELNS1_3gpuE0ELNS1_3repE0EEENS1_30default_config_static_selectorELNS0_4arch9wavefront6targetE1EEEvSO_ ; -- Begin function _ZN7rocprim17ROCPRIM_400000_NS6detail17trampoline_kernelINS0_14default_configENS1_29binary_search_config_selectorIsbEEZNS1_14transform_implILb0ES3_S5_N6thrust23THRUST_200600_302600_NS17counting_iteratorIsNS8_11use_defaultESA_SA_EEPbZNS1_13binary_searchIS3_S5_PsSB_SC_NS1_16binary_search_opENS8_6detail16wrapped_functionINS0_4lessIvEEbEEEE10hipError_tPvRmT1_T2_T3_mmT4_T5_P12ihipStream_tbEUlRKsE_EESL_SP_SQ_mSR_SU_bEUlT_E_NS1_11comp_targetILNS1_3genE0ELNS1_11target_archE4294967295ELNS1_3gpuE0ELNS1_3repE0EEENS1_30default_config_static_selectorELNS0_4arch9wavefront6targetE1EEEvSO_
	.globl	_ZN7rocprim17ROCPRIM_400000_NS6detail17trampoline_kernelINS0_14default_configENS1_29binary_search_config_selectorIsbEEZNS1_14transform_implILb0ES3_S5_N6thrust23THRUST_200600_302600_NS17counting_iteratorIsNS8_11use_defaultESA_SA_EEPbZNS1_13binary_searchIS3_S5_PsSB_SC_NS1_16binary_search_opENS8_6detail16wrapped_functionINS0_4lessIvEEbEEEE10hipError_tPvRmT1_T2_T3_mmT4_T5_P12ihipStream_tbEUlRKsE_EESL_SP_SQ_mSR_SU_bEUlT_E_NS1_11comp_targetILNS1_3genE0ELNS1_11target_archE4294967295ELNS1_3gpuE0ELNS1_3repE0EEENS1_30default_config_static_selectorELNS0_4arch9wavefront6targetE1EEEvSO_
	.p2align	8
	.type	_ZN7rocprim17ROCPRIM_400000_NS6detail17trampoline_kernelINS0_14default_configENS1_29binary_search_config_selectorIsbEEZNS1_14transform_implILb0ES3_S5_N6thrust23THRUST_200600_302600_NS17counting_iteratorIsNS8_11use_defaultESA_SA_EEPbZNS1_13binary_searchIS3_S5_PsSB_SC_NS1_16binary_search_opENS8_6detail16wrapped_functionINS0_4lessIvEEbEEEE10hipError_tPvRmT1_T2_T3_mmT4_T5_P12ihipStream_tbEUlRKsE_EESL_SP_SQ_mSR_SU_bEUlT_E_NS1_11comp_targetILNS1_3genE0ELNS1_11target_archE4294967295ELNS1_3gpuE0ELNS1_3repE0EEENS1_30default_config_static_selectorELNS0_4arch9wavefront6targetE1EEEvSO_,@function
_ZN7rocprim17ROCPRIM_400000_NS6detail17trampoline_kernelINS0_14default_configENS1_29binary_search_config_selectorIsbEEZNS1_14transform_implILb0ES3_S5_N6thrust23THRUST_200600_302600_NS17counting_iteratorIsNS8_11use_defaultESA_SA_EEPbZNS1_13binary_searchIS3_S5_PsSB_SC_NS1_16binary_search_opENS8_6detail16wrapped_functionINS0_4lessIvEEbEEEE10hipError_tPvRmT1_T2_T3_mmT4_T5_P12ihipStream_tbEUlRKsE_EESL_SP_SQ_mSR_SU_bEUlT_E_NS1_11comp_targetILNS1_3genE0ELNS1_11target_archE4294967295ELNS1_3gpuE0ELNS1_3repE0EEENS1_30default_config_static_selectorELNS0_4arch9wavefront6targetE1EEEvSO_: ; @_ZN7rocprim17ROCPRIM_400000_NS6detail17trampoline_kernelINS0_14default_configENS1_29binary_search_config_selectorIsbEEZNS1_14transform_implILb0ES3_S5_N6thrust23THRUST_200600_302600_NS17counting_iteratorIsNS8_11use_defaultESA_SA_EEPbZNS1_13binary_searchIS3_S5_PsSB_SC_NS1_16binary_search_opENS8_6detail16wrapped_functionINS0_4lessIvEEbEEEE10hipError_tPvRmT1_T2_T3_mmT4_T5_P12ihipStream_tbEUlRKsE_EESL_SP_SQ_mSR_SU_bEUlT_E_NS1_11comp_targetILNS1_3genE0ELNS1_11target_archE4294967295ELNS1_3gpuE0ELNS1_3repE0EEENS1_30default_config_static_selectorELNS0_4arch9wavefront6targetE1EEEvSO_
; %bb.0:
	.section	.rodata,"a",@progbits
	.p2align	6, 0x0
	.amdhsa_kernel _ZN7rocprim17ROCPRIM_400000_NS6detail17trampoline_kernelINS0_14default_configENS1_29binary_search_config_selectorIsbEEZNS1_14transform_implILb0ES3_S5_N6thrust23THRUST_200600_302600_NS17counting_iteratorIsNS8_11use_defaultESA_SA_EEPbZNS1_13binary_searchIS3_S5_PsSB_SC_NS1_16binary_search_opENS8_6detail16wrapped_functionINS0_4lessIvEEbEEEE10hipError_tPvRmT1_T2_T3_mmT4_T5_P12ihipStream_tbEUlRKsE_EESL_SP_SQ_mSR_SU_bEUlT_E_NS1_11comp_targetILNS1_3genE0ELNS1_11target_archE4294967295ELNS1_3gpuE0ELNS1_3repE0EEENS1_30default_config_static_selectorELNS0_4arch9wavefront6targetE1EEEvSO_
		.amdhsa_group_segment_fixed_size 0
		.amdhsa_private_segment_fixed_size 0
		.amdhsa_kernarg_size 56
		.amdhsa_user_sgpr_count 6
		.amdhsa_user_sgpr_private_segment_buffer 1
		.amdhsa_user_sgpr_dispatch_ptr 0
		.amdhsa_user_sgpr_queue_ptr 0
		.amdhsa_user_sgpr_kernarg_segment_ptr 1
		.amdhsa_user_sgpr_dispatch_id 0
		.amdhsa_user_sgpr_flat_scratch_init 0
		.amdhsa_user_sgpr_kernarg_preload_length 0
		.amdhsa_user_sgpr_kernarg_preload_offset 0
		.amdhsa_user_sgpr_private_segment_size 0
		.amdhsa_uses_dynamic_stack 0
		.amdhsa_system_sgpr_private_segment_wavefront_offset 0
		.amdhsa_system_sgpr_workgroup_id_x 1
		.amdhsa_system_sgpr_workgroup_id_y 0
		.amdhsa_system_sgpr_workgroup_id_z 0
		.amdhsa_system_sgpr_workgroup_info 0
		.amdhsa_system_vgpr_workitem_id 0
		.amdhsa_next_free_vgpr 1
		.amdhsa_next_free_sgpr 0
		.amdhsa_accum_offset 4
		.amdhsa_reserve_vcc 0
		.amdhsa_reserve_flat_scratch 0
		.amdhsa_float_round_mode_32 0
		.amdhsa_float_round_mode_16_64 0
		.amdhsa_float_denorm_mode_32 3
		.amdhsa_float_denorm_mode_16_64 3
		.amdhsa_dx10_clamp 1
		.amdhsa_ieee_mode 1
		.amdhsa_fp16_overflow 0
		.amdhsa_tg_split 0
		.amdhsa_exception_fp_ieee_invalid_op 0
		.amdhsa_exception_fp_denorm_src 0
		.amdhsa_exception_fp_ieee_div_zero 0
		.amdhsa_exception_fp_ieee_overflow 0
		.amdhsa_exception_fp_ieee_underflow 0
		.amdhsa_exception_fp_ieee_inexact 0
		.amdhsa_exception_int_div_zero 0
	.end_amdhsa_kernel
	.section	.text._ZN7rocprim17ROCPRIM_400000_NS6detail17trampoline_kernelINS0_14default_configENS1_29binary_search_config_selectorIsbEEZNS1_14transform_implILb0ES3_S5_N6thrust23THRUST_200600_302600_NS17counting_iteratorIsNS8_11use_defaultESA_SA_EEPbZNS1_13binary_searchIS3_S5_PsSB_SC_NS1_16binary_search_opENS8_6detail16wrapped_functionINS0_4lessIvEEbEEEE10hipError_tPvRmT1_T2_T3_mmT4_T5_P12ihipStream_tbEUlRKsE_EESL_SP_SQ_mSR_SU_bEUlT_E_NS1_11comp_targetILNS1_3genE0ELNS1_11target_archE4294967295ELNS1_3gpuE0ELNS1_3repE0EEENS1_30default_config_static_selectorELNS0_4arch9wavefront6targetE1EEEvSO_,"axG",@progbits,_ZN7rocprim17ROCPRIM_400000_NS6detail17trampoline_kernelINS0_14default_configENS1_29binary_search_config_selectorIsbEEZNS1_14transform_implILb0ES3_S5_N6thrust23THRUST_200600_302600_NS17counting_iteratorIsNS8_11use_defaultESA_SA_EEPbZNS1_13binary_searchIS3_S5_PsSB_SC_NS1_16binary_search_opENS8_6detail16wrapped_functionINS0_4lessIvEEbEEEE10hipError_tPvRmT1_T2_T3_mmT4_T5_P12ihipStream_tbEUlRKsE_EESL_SP_SQ_mSR_SU_bEUlT_E_NS1_11comp_targetILNS1_3genE0ELNS1_11target_archE4294967295ELNS1_3gpuE0ELNS1_3repE0EEENS1_30default_config_static_selectorELNS0_4arch9wavefront6targetE1EEEvSO_,comdat
.Lfunc_end240:
	.size	_ZN7rocprim17ROCPRIM_400000_NS6detail17trampoline_kernelINS0_14default_configENS1_29binary_search_config_selectorIsbEEZNS1_14transform_implILb0ES3_S5_N6thrust23THRUST_200600_302600_NS17counting_iteratorIsNS8_11use_defaultESA_SA_EEPbZNS1_13binary_searchIS3_S5_PsSB_SC_NS1_16binary_search_opENS8_6detail16wrapped_functionINS0_4lessIvEEbEEEE10hipError_tPvRmT1_T2_T3_mmT4_T5_P12ihipStream_tbEUlRKsE_EESL_SP_SQ_mSR_SU_bEUlT_E_NS1_11comp_targetILNS1_3genE0ELNS1_11target_archE4294967295ELNS1_3gpuE0ELNS1_3repE0EEENS1_30default_config_static_selectorELNS0_4arch9wavefront6targetE1EEEvSO_, .Lfunc_end240-_ZN7rocprim17ROCPRIM_400000_NS6detail17trampoline_kernelINS0_14default_configENS1_29binary_search_config_selectorIsbEEZNS1_14transform_implILb0ES3_S5_N6thrust23THRUST_200600_302600_NS17counting_iteratorIsNS8_11use_defaultESA_SA_EEPbZNS1_13binary_searchIS3_S5_PsSB_SC_NS1_16binary_search_opENS8_6detail16wrapped_functionINS0_4lessIvEEbEEEE10hipError_tPvRmT1_T2_T3_mmT4_T5_P12ihipStream_tbEUlRKsE_EESL_SP_SQ_mSR_SU_bEUlT_E_NS1_11comp_targetILNS1_3genE0ELNS1_11target_archE4294967295ELNS1_3gpuE0ELNS1_3repE0EEENS1_30default_config_static_selectorELNS0_4arch9wavefront6targetE1EEEvSO_
                                        ; -- End function
	.section	.AMDGPU.csdata,"",@progbits
; Kernel info:
; codeLenInByte = 0
; NumSgprs: 4
; NumVgprs: 0
; NumAgprs: 0
; TotalNumVgprs: 0
; ScratchSize: 0
; MemoryBound: 0
; FloatMode: 240
; IeeeMode: 1
; LDSByteSize: 0 bytes/workgroup (compile time only)
; SGPRBlocks: 0
; VGPRBlocks: 0
; NumSGPRsForWavesPerEU: 4
; NumVGPRsForWavesPerEU: 1
; AccumOffset: 4
; Occupancy: 8
; WaveLimiterHint : 0
; COMPUTE_PGM_RSRC2:SCRATCH_EN: 0
; COMPUTE_PGM_RSRC2:USER_SGPR: 6
; COMPUTE_PGM_RSRC2:TRAP_HANDLER: 0
; COMPUTE_PGM_RSRC2:TGID_X_EN: 1
; COMPUTE_PGM_RSRC2:TGID_Y_EN: 0
; COMPUTE_PGM_RSRC2:TGID_Z_EN: 0
; COMPUTE_PGM_RSRC2:TIDIG_COMP_CNT: 0
; COMPUTE_PGM_RSRC3_GFX90A:ACCUM_OFFSET: 0
; COMPUTE_PGM_RSRC3_GFX90A:TG_SPLIT: 0
	.section	.text._ZN7rocprim17ROCPRIM_400000_NS6detail17trampoline_kernelINS0_14default_configENS1_29binary_search_config_selectorIsbEEZNS1_14transform_implILb0ES3_S5_N6thrust23THRUST_200600_302600_NS17counting_iteratorIsNS8_11use_defaultESA_SA_EEPbZNS1_13binary_searchIS3_S5_PsSB_SC_NS1_16binary_search_opENS8_6detail16wrapped_functionINS0_4lessIvEEbEEEE10hipError_tPvRmT1_T2_T3_mmT4_T5_P12ihipStream_tbEUlRKsE_EESL_SP_SQ_mSR_SU_bEUlT_E_NS1_11comp_targetILNS1_3genE5ELNS1_11target_archE942ELNS1_3gpuE9ELNS1_3repE0EEENS1_30default_config_static_selectorELNS0_4arch9wavefront6targetE1EEEvSO_,"axG",@progbits,_ZN7rocprim17ROCPRIM_400000_NS6detail17trampoline_kernelINS0_14default_configENS1_29binary_search_config_selectorIsbEEZNS1_14transform_implILb0ES3_S5_N6thrust23THRUST_200600_302600_NS17counting_iteratorIsNS8_11use_defaultESA_SA_EEPbZNS1_13binary_searchIS3_S5_PsSB_SC_NS1_16binary_search_opENS8_6detail16wrapped_functionINS0_4lessIvEEbEEEE10hipError_tPvRmT1_T2_T3_mmT4_T5_P12ihipStream_tbEUlRKsE_EESL_SP_SQ_mSR_SU_bEUlT_E_NS1_11comp_targetILNS1_3genE5ELNS1_11target_archE942ELNS1_3gpuE9ELNS1_3repE0EEENS1_30default_config_static_selectorELNS0_4arch9wavefront6targetE1EEEvSO_,comdat
	.protected	_ZN7rocprim17ROCPRIM_400000_NS6detail17trampoline_kernelINS0_14default_configENS1_29binary_search_config_selectorIsbEEZNS1_14transform_implILb0ES3_S5_N6thrust23THRUST_200600_302600_NS17counting_iteratorIsNS8_11use_defaultESA_SA_EEPbZNS1_13binary_searchIS3_S5_PsSB_SC_NS1_16binary_search_opENS8_6detail16wrapped_functionINS0_4lessIvEEbEEEE10hipError_tPvRmT1_T2_T3_mmT4_T5_P12ihipStream_tbEUlRKsE_EESL_SP_SQ_mSR_SU_bEUlT_E_NS1_11comp_targetILNS1_3genE5ELNS1_11target_archE942ELNS1_3gpuE9ELNS1_3repE0EEENS1_30default_config_static_selectorELNS0_4arch9wavefront6targetE1EEEvSO_ ; -- Begin function _ZN7rocprim17ROCPRIM_400000_NS6detail17trampoline_kernelINS0_14default_configENS1_29binary_search_config_selectorIsbEEZNS1_14transform_implILb0ES3_S5_N6thrust23THRUST_200600_302600_NS17counting_iteratorIsNS8_11use_defaultESA_SA_EEPbZNS1_13binary_searchIS3_S5_PsSB_SC_NS1_16binary_search_opENS8_6detail16wrapped_functionINS0_4lessIvEEbEEEE10hipError_tPvRmT1_T2_T3_mmT4_T5_P12ihipStream_tbEUlRKsE_EESL_SP_SQ_mSR_SU_bEUlT_E_NS1_11comp_targetILNS1_3genE5ELNS1_11target_archE942ELNS1_3gpuE9ELNS1_3repE0EEENS1_30default_config_static_selectorELNS0_4arch9wavefront6targetE1EEEvSO_
	.globl	_ZN7rocprim17ROCPRIM_400000_NS6detail17trampoline_kernelINS0_14default_configENS1_29binary_search_config_selectorIsbEEZNS1_14transform_implILb0ES3_S5_N6thrust23THRUST_200600_302600_NS17counting_iteratorIsNS8_11use_defaultESA_SA_EEPbZNS1_13binary_searchIS3_S5_PsSB_SC_NS1_16binary_search_opENS8_6detail16wrapped_functionINS0_4lessIvEEbEEEE10hipError_tPvRmT1_T2_T3_mmT4_T5_P12ihipStream_tbEUlRKsE_EESL_SP_SQ_mSR_SU_bEUlT_E_NS1_11comp_targetILNS1_3genE5ELNS1_11target_archE942ELNS1_3gpuE9ELNS1_3repE0EEENS1_30default_config_static_selectorELNS0_4arch9wavefront6targetE1EEEvSO_
	.p2align	8
	.type	_ZN7rocprim17ROCPRIM_400000_NS6detail17trampoline_kernelINS0_14default_configENS1_29binary_search_config_selectorIsbEEZNS1_14transform_implILb0ES3_S5_N6thrust23THRUST_200600_302600_NS17counting_iteratorIsNS8_11use_defaultESA_SA_EEPbZNS1_13binary_searchIS3_S5_PsSB_SC_NS1_16binary_search_opENS8_6detail16wrapped_functionINS0_4lessIvEEbEEEE10hipError_tPvRmT1_T2_T3_mmT4_T5_P12ihipStream_tbEUlRKsE_EESL_SP_SQ_mSR_SU_bEUlT_E_NS1_11comp_targetILNS1_3genE5ELNS1_11target_archE942ELNS1_3gpuE9ELNS1_3repE0EEENS1_30default_config_static_selectorELNS0_4arch9wavefront6targetE1EEEvSO_,@function
_ZN7rocprim17ROCPRIM_400000_NS6detail17trampoline_kernelINS0_14default_configENS1_29binary_search_config_selectorIsbEEZNS1_14transform_implILb0ES3_S5_N6thrust23THRUST_200600_302600_NS17counting_iteratorIsNS8_11use_defaultESA_SA_EEPbZNS1_13binary_searchIS3_S5_PsSB_SC_NS1_16binary_search_opENS8_6detail16wrapped_functionINS0_4lessIvEEbEEEE10hipError_tPvRmT1_T2_T3_mmT4_T5_P12ihipStream_tbEUlRKsE_EESL_SP_SQ_mSR_SU_bEUlT_E_NS1_11comp_targetILNS1_3genE5ELNS1_11target_archE942ELNS1_3gpuE9ELNS1_3repE0EEENS1_30default_config_static_selectorELNS0_4arch9wavefront6targetE1EEEvSO_: ; @_ZN7rocprim17ROCPRIM_400000_NS6detail17trampoline_kernelINS0_14default_configENS1_29binary_search_config_selectorIsbEEZNS1_14transform_implILb0ES3_S5_N6thrust23THRUST_200600_302600_NS17counting_iteratorIsNS8_11use_defaultESA_SA_EEPbZNS1_13binary_searchIS3_S5_PsSB_SC_NS1_16binary_search_opENS8_6detail16wrapped_functionINS0_4lessIvEEbEEEE10hipError_tPvRmT1_T2_T3_mmT4_T5_P12ihipStream_tbEUlRKsE_EESL_SP_SQ_mSR_SU_bEUlT_E_NS1_11comp_targetILNS1_3genE5ELNS1_11target_archE942ELNS1_3gpuE9ELNS1_3repE0EEENS1_30default_config_static_selectorELNS0_4arch9wavefront6targetE1EEEvSO_
; %bb.0:
	.section	.rodata,"a",@progbits
	.p2align	6, 0x0
	.amdhsa_kernel _ZN7rocprim17ROCPRIM_400000_NS6detail17trampoline_kernelINS0_14default_configENS1_29binary_search_config_selectorIsbEEZNS1_14transform_implILb0ES3_S5_N6thrust23THRUST_200600_302600_NS17counting_iteratorIsNS8_11use_defaultESA_SA_EEPbZNS1_13binary_searchIS3_S5_PsSB_SC_NS1_16binary_search_opENS8_6detail16wrapped_functionINS0_4lessIvEEbEEEE10hipError_tPvRmT1_T2_T3_mmT4_T5_P12ihipStream_tbEUlRKsE_EESL_SP_SQ_mSR_SU_bEUlT_E_NS1_11comp_targetILNS1_3genE5ELNS1_11target_archE942ELNS1_3gpuE9ELNS1_3repE0EEENS1_30default_config_static_selectorELNS0_4arch9wavefront6targetE1EEEvSO_
		.amdhsa_group_segment_fixed_size 0
		.amdhsa_private_segment_fixed_size 0
		.amdhsa_kernarg_size 56
		.amdhsa_user_sgpr_count 6
		.amdhsa_user_sgpr_private_segment_buffer 1
		.amdhsa_user_sgpr_dispatch_ptr 0
		.amdhsa_user_sgpr_queue_ptr 0
		.amdhsa_user_sgpr_kernarg_segment_ptr 1
		.amdhsa_user_sgpr_dispatch_id 0
		.amdhsa_user_sgpr_flat_scratch_init 0
		.amdhsa_user_sgpr_kernarg_preload_length 0
		.amdhsa_user_sgpr_kernarg_preload_offset 0
		.amdhsa_user_sgpr_private_segment_size 0
		.amdhsa_uses_dynamic_stack 0
		.amdhsa_system_sgpr_private_segment_wavefront_offset 0
		.amdhsa_system_sgpr_workgroup_id_x 1
		.amdhsa_system_sgpr_workgroup_id_y 0
		.amdhsa_system_sgpr_workgroup_id_z 0
		.amdhsa_system_sgpr_workgroup_info 0
		.amdhsa_system_vgpr_workitem_id 0
		.amdhsa_next_free_vgpr 1
		.amdhsa_next_free_sgpr 0
		.amdhsa_accum_offset 4
		.amdhsa_reserve_vcc 0
		.amdhsa_reserve_flat_scratch 0
		.amdhsa_float_round_mode_32 0
		.amdhsa_float_round_mode_16_64 0
		.amdhsa_float_denorm_mode_32 3
		.amdhsa_float_denorm_mode_16_64 3
		.amdhsa_dx10_clamp 1
		.amdhsa_ieee_mode 1
		.amdhsa_fp16_overflow 0
		.amdhsa_tg_split 0
		.amdhsa_exception_fp_ieee_invalid_op 0
		.amdhsa_exception_fp_denorm_src 0
		.amdhsa_exception_fp_ieee_div_zero 0
		.amdhsa_exception_fp_ieee_overflow 0
		.amdhsa_exception_fp_ieee_underflow 0
		.amdhsa_exception_fp_ieee_inexact 0
		.amdhsa_exception_int_div_zero 0
	.end_amdhsa_kernel
	.section	.text._ZN7rocprim17ROCPRIM_400000_NS6detail17trampoline_kernelINS0_14default_configENS1_29binary_search_config_selectorIsbEEZNS1_14transform_implILb0ES3_S5_N6thrust23THRUST_200600_302600_NS17counting_iteratorIsNS8_11use_defaultESA_SA_EEPbZNS1_13binary_searchIS3_S5_PsSB_SC_NS1_16binary_search_opENS8_6detail16wrapped_functionINS0_4lessIvEEbEEEE10hipError_tPvRmT1_T2_T3_mmT4_T5_P12ihipStream_tbEUlRKsE_EESL_SP_SQ_mSR_SU_bEUlT_E_NS1_11comp_targetILNS1_3genE5ELNS1_11target_archE942ELNS1_3gpuE9ELNS1_3repE0EEENS1_30default_config_static_selectorELNS0_4arch9wavefront6targetE1EEEvSO_,"axG",@progbits,_ZN7rocprim17ROCPRIM_400000_NS6detail17trampoline_kernelINS0_14default_configENS1_29binary_search_config_selectorIsbEEZNS1_14transform_implILb0ES3_S5_N6thrust23THRUST_200600_302600_NS17counting_iteratorIsNS8_11use_defaultESA_SA_EEPbZNS1_13binary_searchIS3_S5_PsSB_SC_NS1_16binary_search_opENS8_6detail16wrapped_functionINS0_4lessIvEEbEEEE10hipError_tPvRmT1_T2_T3_mmT4_T5_P12ihipStream_tbEUlRKsE_EESL_SP_SQ_mSR_SU_bEUlT_E_NS1_11comp_targetILNS1_3genE5ELNS1_11target_archE942ELNS1_3gpuE9ELNS1_3repE0EEENS1_30default_config_static_selectorELNS0_4arch9wavefront6targetE1EEEvSO_,comdat
.Lfunc_end241:
	.size	_ZN7rocprim17ROCPRIM_400000_NS6detail17trampoline_kernelINS0_14default_configENS1_29binary_search_config_selectorIsbEEZNS1_14transform_implILb0ES3_S5_N6thrust23THRUST_200600_302600_NS17counting_iteratorIsNS8_11use_defaultESA_SA_EEPbZNS1_13binary_searchIS3_S5_PsSB_SC_NS1_16binary_search_opENS8_6detail16wrapped_functionINS0_4lessIvEEbEEEE10hipError_tPvRmT1_T2_T3_mmT4_T5_P12ihipStream_tbEUlRKsE_EESL_SP_SQ_mSR_SU_bEUlT_E_NS1_11comp_targetILNS1_3genE5ELNS1_11target_archE942ELNS1_3gpuE9ELNS1_3repE0EEENS1_30default_config_static_selectorELNS0_4arch9wavefront6targetE1EEEvSO_, .Lfunc_end241-_ZN7rocprim17ROCPRIM_400000_NS6detail17trampoline_kernelINS0_14default_configENS1_29binary_search_config_selectorIsbEEZNS1_14transform_implILb0ES3_S5_N6thrust23THRUST_200600_302600_NS17counting_iteratorIsNS8_11use_defaultESA_SA_EEPbZNS1_13binary_searchIS3_S5_PsSB_SC_NS1_16binary_search_opENS8_6detail16wrapped_functionINS0_4lessIvEEbEEEE10hipError_tPvRmT1_T2_T3_mmT4_T5_P12ihipStream_tbEUlRKsE_EESL_SP_SQ_mSR_SU_bEUlT_E_NS1_11comp_targetILNS1_3genE5ELNS1_11target_archE942ELNS1_3gpuE9ELNS1_3repE0EEENS1_30default_config_static_selectorELNS0_4arch9wavefront6targetE1EEEvSO_
                                        ; -- End function
	.section	.AMDGPU.csdata,"",@progbits
; Kernel info:
; codeLenInByte = 0
; NumSgprs: 4
; NumVgprs: 0
; NumAgprs: 0
; TotalNumVgprs: 0
; ScratchSize: 0
; MemoryBound: 0
; FloatMode: 240
; IeeeMode: 1
; LDSByteSize: 0 bytes/workgroup (compile time only)
; SGPRBlocks: 0
; VGPRBlocks: 0
; NumSGPRsForWavesPerEU: 4
; NumVGPRsForWavesPerEU: 1
; AccumOffset: 4
; Occupancy: 8
; WaveLimiterHint : 0
; COMPUTE_PGM_RSRC2:SCRATCH_EN: 0
; COMPUTE_PGM_RSRC2:USER_SGPR: 6
; COMPUTE_PGM_RSRC2:TRAP_HANDLER: 0
; COMPUTE_PGM_RSRC2:TGID_X_EN: 1
; COMPUTE_PGM_RSRC2:TGID_Y_EN: 0
; COMPUTE_PGM_RSRC2:TGID_Z_EN: 0
; COMPUTE_PGM_RSRC2:TIDIG_COMP_CNT: 0
; COMPUTE_PGM_RSRC3_GFX90A:ACCUM_OFFSET: 0
; COMPUTE_PGM_RSRC3_GFX90A:TG_SPLIT: 0
	.section	.text._ZN7rocprim17ROCPRIM_400000_NS6detail17trampoline_kernelINS0_14default_configENS1_29binary_search_config_selectorIsbEEZNS1_14transform_implILb0ES3_S5_N6thrust23THRUST_200600_302600_NS17counting_iteratorIsNS8_11use_defaultESA_SA_EEPbZNS1_13binary_searchIS3_S5_PsSB_SC_NS1_16binary_search_opENS8_6detail16wrapped_functionINS0_4lessIvEEbEEEE10hipError_tPvRmT1_T2_T3_mmT4_T5_P12ihipStream_tbEUlRKsE_EESL_SP_SQ_mSR_SU_bEUlT_E_NS1_11comp_targetILNS1_3genE4ELNS1_11target_archE910ELNS1_3gpuE8ELNS1_3repE0EEENS1_30default_config_static_selectorELNS0_4arch9wavefront6targetE1EEEvSO_,"axG",@progbits,_ZN7rocprim17ROCPRIM_400000_NS6detail17trampoline_kernelINS0_14default_configENS1_29binary_search_config_selectorIsbEEZNS1_14transform_implILb0ES3_S5_N6thrust23THRUST_200600_302600_NS17counting_iteratorIsNS8_11use_defaultESA_SA_EEPbZNS1_13binary_searchIS3_S5_PsSB_SC_NS1_16binary_search_opENS8_6detail16wrapped_functionINS0_4lessIvEEbEEEE10hipError_tPvRmT1_T2_T3_mmT4_T5_P12ihipStream_tbEUlRKsE_EESL_SP_SQ_mSR_SU_bEUlT_E_NS1_11comp_targetILNS1_3genE4ELNS1_11target_archE910ELNS1_3gpuE8ELNS1_3repE0EEENS1_30default_config_static_selectorELNS0_4arch9wavefront6targetE1EEEvSO_,comdat
	.protected	_ZN7rocprim17ROCPRIM_400000_NS6detail17trampoline_kernelINS0_14default_configENS1_29binary_search_config_selectorIsbEEZNS1_14transform_implILb0ES3_S5_N6thrust23THRUST_200600_302600_NS17counting_iteratorIsNS8_11use_defaultESA_SA_EEPbZNS1_13binary_searchIS3_S5_PsSB_SC_NS1_16binary_search_opENS8_6detail16wrapped_functionINS0_4lessIvEEbEEEE10hipError_tPvRmT1_T2_T3_mmT4_T5_P12ihipStream_tbEUlRKsE_EESL_SP_SQ_mSR_SU_bEUlT_E_NS1_11comp_targetILNS1_3genE4ELNS1_11target_archE910ELNS1_3gpuE8ELNS1_3repE0EEENS1_30default_config_static_selectorELNS0_4arch9wavefront6targetE1EEEvSO_ ; -- Begin function _ZN7rocprim17ROCPRIM_400000_NS6detail17trampoline_kernelINS0_14default_configENS1_29binary_search_config_selectorIsbEEZNS1_14transform_implILb0ES3_S5_N6thrust23THRUST_200600_302600_NS17counting_iteratorIsNS8_11use_defaultESA_SA_EEPbZNS1_13binary_searchIS3_S5_PsSB_SC_NS1_16binary_search_opENS8_6detail16wrapped_functionINS0_4lessIvEEbEEEE10hipError_tPvRmT1_T2_T3_mmT4_T5_P12ihipStream_tbEUlRKsE_EESL_SP_SQ_mSR_SU_bEUlT_E_NS1_11comp_targetILNS1_3genE4ELNS1_11target_archE910ELNS1_3gpuE8ELNS1_3repE0EEENS1_30default_config_static_selectorELNS0_4arch9wavefront6targetE1EEEvSO_
	.globl	_ZN7rocprim17ROCPRIM_400000_NS6detail17trampoline_kernelINS0_14default_configENS1_29binary_search_config_selectorIsbEEZNS1_14transform_implILb0ES3_S5_N6thrust23THRUST_200600_302600_NS17counting_iteratorIsNS8_11use_defaultESA_SA_EEPbZNS1_13binary_searchIS3_S5_PsSB_SC_NS1_16binary_search_opENS8_6detail16wrapped_functionINS0_4lessIvEEbEEEE10hipError_tPvRmT1_T2_T3_mmT4_T5_P12ihipStream_tbEUlRKsE_EESL_SP_SQ_mSR_SU_bEUlT_E_NS1_11comp_targetILNS1_3genE4ELNS1_11target_archE910ELNS1_3gpuE8ELNS1_3repE0EEENS1_30default_config_static_selectorELNS0_4arch9wavefront6targetE1EEEvSO_
	.p2align	8
	.type	_ZN7rocprim17ROCPRIM_400000_NS6detail17trampoline_kernelINS0_14default_configENS1_29binary_search_config_selectorIsbEEZNS1_14transform_implILb0ES3_S5_N6thrust23THRUST_200600_302600_NS17counting_iteratorIsNS8_11use_defaultESA_SA_EEPbZNS1_13binary_searchIS3_S5_PsSB_SC_NS1_16binary_search_opENS8_6detail16wrapped_functionINS0_4lessIvEEbEEEE10hipError_tPvRmT1_T2_T3_mmT4_T5_P12ihipStream_tbEUlRKsE_EESL_SP_SQ_mSR_SU_bEUlT_E_NS1_11comp_targetILNS1_3genE4ELNS1_11target_archE910ELNS1_3gpuE8ELNS1_3repE0EEENS1_30default_config_static_selectorELNS0_4arch9wavefront6targetE1EEEvSO_,@function
_ZN7rocprim17ROCPRIM_400000_NS6detail17trampoline_kernelINS0_14default_configENS1_29binary_search_config_selectorIsbEEZNS1_14transform_implILb0ES3_S5_N6thrust23THRUST_200600_302600_NS17counting_iteratorIsNS8_11use_defaultESA_SA_EEPbZNS1_13binary_searchIS3_S5_PsSB_SC_NS1_16binary_search_opENS8_6detail16wrapped_functionINS0_4lessIvEEbEEEE10hipError_tPvRmT1_T2_T3_mmT4_T5_P12ihipStream_tbEUlRKsE_EESL_SP_SQ_mSR_SU_bEUlT_E_NS1_11comp_targetILNS1_3genE4ELNS1_11target_archE910ELNS1_3gpuE8ELNS1_3repE0EEENS1_30default_config_static_selectorELNS0_4arch9wavefront6targetE1EEEvSO_: ; @_ZN7rocprim17ROCPRIM_400000_NS6detail17trampoline_kernelINS0_14default_configENS1_29binary_search_config_selectorIsbEEZNS1_14transform_implILb0ES3_S5_N6thrust23THRUST_200600_302600_NS17counting_iteratorIsNS8_11use_defaultESA_SA_EEPbZNS1_13binary_searchIS3_S5_PsSB_SC_NS1_16binary_search_opENS8_6detail16wrapped_functionINS0_4lessIvEEbEEEE10hipError_tPvRmT1_T2_T3_mmT4_T5_P12ihipStream_tbEUlRKsE_EESL_SP_SQ_mSR_SU_bEUlT_E_NS1_11comp_targetILNS1_3genE4ELNS1_11target_archE910ELNS1_3gpuE8ELNS1_3repE0EEENS1_30default_config_static_selectorELNS0_4arch9wavefront6targetE1EEEvSO_
; %bb.0:
	s_load_dword s17, s[4:5], 0x0
	s_load_dwordx2 s[8:9], s[4:5], 0x8
	s_load_dword s7, s[4:5], 0x38
	s_load_dwordx4 s[0:3], s[4:5], 0x18
	s_load_dwordx2 s[10:11], s[4:5], 0x28
	s_lshl_b32 s16, s6, 8
	s_waitcnt lgkmcnt(0)
	s_add_i32 s17, s17, s8
	s_add_i32 s7, s7, -1
	s_cmp_lg_u32 s6, s7
	s_cbranch_scc0 .LBB242_8
; %bb.1:
	v_add_u16_e32 v1, s16, v0
	v_add_u16_e32 v1, s17, v1
	s_mov_b64 s[6:7], 0
	s_cmp_eq_u64 s[10:11], 0
	v_pk_mov_b32 v[2:3], 0, 0
	s_cbranch_scc1 .LBB242_5
; %bb.2:
	v_pk_mov_b32 v[2:3], 0, 0
	v_pk_mov_b32 v[4:5], s[10:11], s[10:11] op_sel:[0,1]
	v_mov_b32_e32 v6, s3
.LBB242_3:                              ; =>This Inner Loop Header: Depth=1
	v_sub_co_u32_e32 v8, vcc, v4, v2
	v_subb_co_u32_e32 v9, vcc, v5, v3, vcc
	v_lshrrev_b64 v[10:11], 1, v[8:9]
	v_add_co_u32_e32 v7, vcc, v10, v2
	v_lshrrev_b64 v[8:9], 6, v[8:9]
	v_addc_co_u32_e32 v10, vcc, v11, v3, vcc
	v_add_co_u32_e32 v8, vcc, v7, v8
	v_addc_co_u32_e32 v9, vcc, v10, v9, vcc
	v_lshlrev_b64 v[10:11], 1, v[8:9]
	v_add_co_u32_e32 v10, vcc, s2, v10
	v_addc_co_u32_e32 v11, vcc, v6, v11, vcc
	global_load_ushort v7, v[10:11], off
	v_add_co_u32_e32 v10, vcc, 1, v8
	v_addc_co_u32_e32 v11, vcc, 0, v9, vcc
	s_waitcnt vmcnt(0)
	v_cmp_lt_i16_e32 vcc, v7, v1
	v_cndmask_b32_e32 v5, v9, v5, vcc
	v_cndmask_b32_e32 v4, v8, v4, vcc
	;; [unrolled: 1-line block ×4, first 2 shown]
	v_cmp_ge_u64_e32 vcc, v[2:3], v[4:5]
	s_or_b64 s[6:7], vcc, s[6:7]
	s_andn2_b64 exec, exec, s[6:7]
	s_cbranch_execnz .LBB242_3
; %bb.4:
	s_or_b64 exec, exec, s[6:7]
.LBB242_5:
	v_cmp_ne_u64_e32 vcc, s[10:11], v[2:3]
	s_mov_b64 s[12:13], 0
	s_mov_b64 s[14:15], 0
	s_and_saveexec_b64 s[6:7], vcc
	s_cbranch_execz .LBB242_7
; %bb.6:
	v_lshlrev_b64 v[2:3], 1, v[2:3]
	v_mov_b32_e32 v4, s3
	v_add_co_u32_e32 v2, vcc, s2, v2
	v_addc_co_u32_e32 v3, vcc, v4, v3, vcc
	global_load_ushort v2, v[2:3], off
	s_waitcnt vmcnt(0)
	v_cmp_le_i16_e32 vcc, v2, v1
	s_and_b64 s[14:15], vcc, exec
.LBB242_7:
	s_or_b64 exec, exec, s[6:7]
	v_cndmask_b32_e64 v1, 0, 1, s[14:15]
	s_mov_b64 s[6:7], -1
	s_and_b64 vcc, exec, s[12:13]
	s_cbranch_vccnz .LBB242_9
	s_branch .LBB242_18
.LBB242_8:
	s_mov_b64 s[6:7], 0
                                        ; implicit-def: $vgpr1
	s_cbranch_execz .LBB242_18
.LBB242_9:
	s_load_dword s4, s[4:5], 0x10
                                        ; implicit-def: $vgpr1
	s_waitcnt lgkmcnt(0)
	s_sub_i32 s4, s4, s16
	v_cmp_gt_u32_e64 s[6:7], s4, v0
	s_and_saveexec_b64 s[4:5], s[6:7]
	s_cbranch_execz .LBB242_17
; %bb.10:
	v_add_u16_e32 v1, s16, v0
	v_add_u16_e32 v1, s17, v1
	s_mov_b64 s[12:13], 0
	s_cmp_eq_u64 s[10:11], 0
	v_pk_mov_b32 v[2:3], 0, 0
	s_cbranch_scc1 .LBB242_14
; %bb.11:
	v_pk_mov_b32 v[2:3], 0, 0
	v_pk_mov_b32 v[4:5], s[10:11], s[10:11] op_sel:[0,1]
	v_mov_b32_e32 v6, s3
.LBB242_12:                             ; =>This Inner Loop Header: Depth=1
	v_sub_co_u32_e32 v8, vcc, v4, v2
	v_subb_co_u32_e32 v9, vcc, v5, v3, vcc
	v_lshrrev_b64 v[10:11], 1, v[8:9]
	v_add_co_u32_e32 v7, vcc, v10, v2
	v_lshrrev_b64 v[8:9], 6, v[8:9]
	v_addc_co_u32_e32 v10, vcc, v11, v3, vcc
	v_add_co_u32_e32 v8, vcc, v7, v8
	v_addc_co_u32_e32 v9, vcc, v10, v9, vcc
	v_lshlrev_b64 v[10:11], 1, v[8:9]
	v_add_co_u32_e32 v10, vcc, s2, v10
	v_addc_co_u32_e32 v11, vcc, v6, v11, vcc
	global_load_ushort v7, v[10:11], off
	v_add_co_u32_e32 v10, vcc, 1, v8
	v_addc_co_u32_e32 v11, vcc, 0, v9, vcc
	s_waitcnt vmcnt(0)
	v_cmp_lt_i16_e32 vcc, v7, v1
	v_cndmask_b32_e32 v5, v9, v5, vcc
	v_cndmask_b32_e32 v4, v8, v4, vcc
	;; [unrolled: 1-line block ×4, first 2 shown]
	v_cmp_ge_u64_e32 vcc, v[2:3], v[4:5]
	s_or_b64 s[12:13], vcc, s[12:13]
	s_andn2_b64 exec, exec, s[12:13]
	s_cbranch_execnz .LBB242_12
; %bb.13:
	s_or_b64 exec, exec, s[12:13]
.LBB242_14:
	v_cmp_ne_u64_e32 vcc, s[10:11], v[2:3]
	s_mov_b64 s[12:13], 0
	s_and_saveexec_b64 s[10:11], vcc
	s_cbranch_execz .LBB242_16
; %bb.15:
	v_lshlrev_b64 v[2:3], 1, v[2:3]
	v_mov_b32_e32 v4, s3
	v_add_co_u32_e32 v2, vcc, s2, v2
	v_addc_co_u32_e32 v3, vcc, v4, v3, vcc
	global_load_ushort v2, v[2:3], off
	s_waitcnt vmcnt(0)
	v_cmp_le_i16_e32 vcc, v2, v1
	s_and_b64 s[12:13], vcc, exec
.LBB242_16:
	s_or_b64 exec, exec, s[10:11]
	v_cndmask_b32_e64 v1, 0, 1, s[12:13]
.LBB242_17:
	s_or_b64 exec, exec, s[4:5]
.LBB242_18:
	s_and_saveexec_b64 s[2:3], s[6:7]
	s_cbranch_execz .LBB242_20
; %bb.19:
	s_add_u32 s0, s0, s8
	s_addc_u32 s1, s1, s9
	s_add_u32 s0, s0, s16
	s_addc_u32 s1, s1, 0
	global_store_byte v0, v1, s[0:1]
.LBB242_20:
	s_endpgm
	.section	.rodata,"a",@progbits
	.p2align	6, 0x0
	.amdhsa_kernel _ZN7rocprim17ROCPRIM_400000_NS6detail17trampoline_kernelINS0_14default_configENS1_29binary_search_config_selectorIsbEEZNS1_14transform_implILb0ES3_S5_N6thrust23THRUST_200600_302600_NS17counting_iteratorIsNS8_11use_defaultESA_SA_EEPbZNS1_13binary_searchIS3_S5_PsSB_SC_NS1_16binary_search_opENS8_6detail16wrapped_functionINS0_4lessIvEEbEEEE10hipError_tPvRmT1_T2_T3_mmT4_T5_P12ihipStream_tbEUlRKsE_EESL_SP_SQ_mSR_SU_bEUlT_E_NS1_11comp_targetILNS1_3genE4ELNS1_11target_archE910ELNS1_3gpuE8ELNS1_3repE0EEENS1_30default_config_static_selectorELNS0_4arch9wavefront6targetE1EEEvSO_
		.amdhsa_group_segment_fixed_size 0
		.amdhsa_private_segment_fixed_size 0
		.amdhsa_kernarg_size 312
		.amdhsa_user_sgpr_count 6
		.amdhsa_user_sgpr_private_segment_buffer 1
		.amdhsa_user_sgpr_dispatch_ptr 0
		.amdhsa_user_sgpr_queue_ptr 0
		.amdhsa_user_sgpr_kernarg_segment_ptr 1
		.amdhsa_user_sgpr_dispatch_id 0
		.amdhsa_user_sgpr_flat_scratch_init 0
		.amdhsa_user_sgpr_kernarg_preload_length 0
		.amdhsa_user_sgpr_kernarg_preload_offset 0
		.amdhsa_user_sgpr_private_segment_size 0
		.amdhsa_uses_dynamic_stack 0
		.amdhsa_system_sgpr_private_segment_wavefront_offset 0
		.amdhsa_system_sgpr_workgroup_id_x 1
		.amdhsa_system_sgpr_workgroup_id_y 0
		.amdhsa_system_sgpr_workgroup_id_z 0
		.amdhsa_system_sgpr_workgroup_info 0
		.amdhsa_system_vgpr_workitem_id 0
		.amdhsa_next_free_vgpr 12
		.amdhsa_next_free_sgpr 18
		.amdhsa_accum_offset 12
		.amdhsa_reserve_vcc 1
		.amdhsa_reserve_flat_scratch 0
		.amdhsa_float_round_mode_32 0
		.amdhsa_float_round_mode_16_64 0
		.amdhsa_float_denorm_mode_32 3
		.amdhsa_float_denorm_mode_16_64 3
		.amdhsa_dx10_clamp 1
		.amdhsa_ieee_mode 1
		.amdhsa_fp16_overflow 0
		.amdhsa_tg_split 0
		.amdhsa_exception_fp_ieee_invalid_op 0
		.amdhsa_exception_fp_denorm_src 0
		.amdhsa_exception_fp_ieee_div_zero 0
		.amdhsa_exception_fp_ieee_overflow 0
		.amdhsa_exception_fp_ieee_underflow 0
		.amdhsa_exception_fp_ieee_inexact 0
		.amdhsa_exception_int_div_zero 0
	.end_amdhsa_kernel
	.section	.text._ZN7rocprim17ROCPRIM_400000_NS6detail17trampoline_kernelINS0_14default_configENS1_29binary_search_config_selectorIsbEEZNS1_14transform_implILb0ES3_S5_N6thrust23THRUST_200600_302600_NS17counting_iteratorIsNS8_11use_defaultESA_SA_EEPbZNS1_13binary_searchIS3_S5_PsSB_SC_NS1_16binary_search_opENS8_6detail16wrapped_functionINS0_4lessIvEEbEEEE10hipError_tPvRmT1_T2_T3_mmT4_T5_P12ihipStream_tbEUlRKsE_EESL_SP_SQ_mSR_SU_bEUlT_E_NS1_11comp_targetILNS1_3genE4ELNS1_11target_archE910ELNS1_3gpuE8ELNS1_3repE0EEENS1_30default_config_static_selectorELNS0_4arch9wavefront6targetE1EEEvSO_,"axG",@progbits,_ZN7rocprim17ROCPRIM_400000_NS6detail17trampoline_kernelINS0_14default_configENS1_29binary_search_config_selectorIsbEEZNS1_14transform_implILb0ES3_S5_N6thrust23THRUST_200600_302600_NS17counting_iteratorIsNS8_11use_defaultESA_SA_EEPbZNS1_13binary_searchIS3_S5_PsSB_SC_NS1_16binary_search_opENS8_6detail16wrapped_functionINS0_4lessIvEEbEEEE10hipError_tPvRmT1_T2_T3_mmT4_T5_P12ihipStream_tbEUlRKsE_EESL_SP_SQ_mSR_SU_bEUlT_E_NS1_11comp_targetILNS1_3genE4ELNS1_11target_archE910ELNS1_3gpuE8ELNS1_3repE0EEENS1_30default_config_static_selectorELNS0_4arch9wavefront6targetE1EEEvSO_,comdat
.Lfunc_end242:
	.size	_ZN7rocprim17ROCPRIM_400000_NS6detail17trampoline_kernelINS0_14default_configENS1_29binary_search_config_selectorIsbEEZNS1_14transform_implILb0ES3_S5_N6thrust23THRUST_200600_302600_NS17counting_iteratorIsNS8_11use_defaultESA_SA_EEPbZNS1_13binary_searchIS3_S5_PsSB_SC_NS1_16binary_search_opENS8_6detail16wrapped_functionINS0_4lessIvEEbEEEE10hipError_tPvRmT1_T2_T3_mmT4_T5_P12ihipStream_tbEUlRKsE_EESL_SP_SQ_mSR_SU_bEUlT_E_NS1_11comp_targetILNS1_3genE4ELNS1_11target_archE910ELNS1_3gpuE8ELNS1_3repE0EEENS1_30default_config_static_selectorELNS0_4arch9wavefront6targetE1EEEvSO_, .Lfunc_end242-_ZN7rocprim17ROCPRIM_400000_NS6detail17trampoline_kernelINS0_14default_configENS1_29binary_search_config_selectorIsbEEZNS1_14transform_implILb0ES3_S5_N6thrust23THRUST_200600_302600_NS17counting_iteratorIsNS8_11use_defaultESA_SA_EEPbZNS1_13binary_searchIS3_S5_PsSB_SC_NS1_16binary_search_opENS8_6detail16wrapped_functionINS0_4lessIvEEbEEEE10hipError_tPvRmT1_T2_T3_mmT4_T5_P12ihipStream_tbEUlRKsE_EESL_SP_SQ_mSR_SU_bEUlT_E_NS1_11comp_targetILNS1_3genE4ELNS1_11target_archE910ELNS1_3gpuE8ELNS1_3repE0EEENS1_30default_config_static_selectorELNS0_4arch9wavefront6targetE1EEEvSO_
                                        ; -- End function
	.section	.AMDGPU.csdata,"",@progbits
; Kernel info:
; codeLenInByte = 628
; NumSgprs: 22
; NumVgprs: 12
; NumAgprs: 0
; TotalNumVgprs: 12
; ScratchSize: 0
; MemoryBound: 0
; FloatMode: 240
; IeeeMode: 1
; LDSByteSize: 0 bytes/workgroup (compile time only)
; SGPRBlocks: 2
; VGPRBlocks: 1
; NumSGPRsForWavesPerEU: 22
; NumVGPRsForWavesPerEU: 12
; AccumOffset: 12
; Occupancy: 8
; WaveLimiterHint : 0
; COMPUTE_PGM_RSRC2:SCRATCH_EN: 0
; COMPUTE_PGM_RSRC2:USER_SGPR: 6
; COMPUTE_PGM_RSRC2:TRAP_HANDLER: 0
; COMPUTE_PGM_RSRC2:TGID_X_EN: 1
; COMPUTE_PGM_RSRC2:TGID_Y_EN: 0
; COMPUTE_PGM_RSRC2:TGID_Z_EN: 0
; COMPUTE_PGM_RSRC2:TIDIG_COMP_CNT: 0
; COMPUTE_PGM_RSRC3_GFX90A:ACCUM_OFFSET: 2
; COMPUTE_PGM_RSRC3_GFX90A:TG_SPLIT: 0
	.section	.text._ZN7rocprim17ROCPRIM_400000_NS6detail17trampoline_kernelINS0_14default_configENS1_29binary_search_config_selectorIsbEEZNS1_14transform_implILb0ES3_S5_N6thrust23THRUST_200600_302600_NS17counting_iteratorIsNS8_11use_defaultESA_SA_EEPbZNS1_13binary_searchIS3_S5_PsSB_SC_NS1_16binary_search_opENS8_6detail16wrapped_functionINS0_4lessIvEEbEEEE10hipError_tPvRmT1_T2_T3_mmT4_T5_P12ihipStream_tbEUlRKsE_EESL_SP_SQ_mSR_SU_bEUlT_E_NS1_11comp_targetILNS1_3genE3ELNS1_11target_archE908ELNS1_3gpuE7ELNS1_3repE0EEENS1_30default_config_static_selectorELNS0_4arch9wavefront6targetE1EEEvSO_,"axG",@progbits,_ZN7rocprim17ROCPRIM_400000_NS6detail17trampoline_kernelINS0_14default_configENS1_29binary_search_config_selectorIsbEEZNS1_14transform_implILb0ES3_S5_N6thrust23THRUST_200600_302600_NS17counting_iteratorIsNS8_11use_defaultESA_SA_EEPbZNS1_13binary_searchIS3_S5_PsSB_SC_NS1_16binary_search_opENS8_6detail16wrapped_functionINS0_4lessIvEEbEEEE10hipError_tPvRmT1_T2_T3_mmT4_T5_P12ihipStream_tbEUlRKsE_EESL_SP_SQ_mSR_SU_bEUlT_E_NS1_11comp_targetILNS1_3genE3ELNS1_11target_archE908ELNS1_3gpuE7ELNS1_3repE0EEENS1_30default_config_static_selectorELNS0_4arch9wavefront6targetE1EEEvSO_,comdat
	.protected	_ZN7rocprim17ROCPRIM_400000_NS6detail17trampoline_kernelINS0_14default_configENS1_29binary_search_config_selectorIsbEEZNS1_14transform_implILb0ES3_S5_N6thrust23THRUST_200600_302600_NS17counting_iteratorIsNS8_11use_defaultESA_SA_EEPbZNS1_13binary_searchIS3_S5_PsSB_SC_NS1_16binary_search_opENS8_6detail16wrapped_functionINS0_4lessIvEEbEEEE10hipError_tPvRmT1_T2_T3_mmT4_T5_P12ihipStream_tbEUlRKsE_EESL_SP_SQ_mSR_SU_bEUlT_E_NS1_11comp_targetILNS1_3genE3ELNS1_11target_archE908ELNS1_3gpuE7ELNS1_3repE0EEENS1_30default_config_static_selectorELNS0_4arch9wavefront6targetE1EEEvSO_ ; -- Begin function _ZN7rocprim17ROCPRIM_400000_NS6detail17trampoline_kernelINS0_14default_configENS1_29binary_search_config_selectorIsbEEZNS1_14transform_implILb0ES3_S5_N6thrust23THRUST_200600_302600_NS17counting_iteratorIsNS8_11use_defaultESA_SA_EEPbZNS1_13binary_searchIS3_S5_PsSB_SC_NS1_16binary_search_opENS8_6detail16wrapped_functionINS0_4lessIvEEbEEEE10hipError_tPvRmT1_T2_T3_mmT4_T5_P12ihipStream_tbEUlRKsE_EESL_SP_SQ_mSR_SU_bEUlT_E_NS1_11comp_targetILNS1_3genE3ELNS1_11target_archE908ELNS1_3gpuE7ELNS1_3repE0EEENS1_30default_config_static_selectorELNS0_4arch9wavefront6targetE1EEEvSO_
	.globl	_ZN7rocprim17ROCPRIM_400000_NS6detail17trampoline_kernelINS0_14default_configENS1_29binary_search_config_selectorIsbEEZNS1_14transform_implILb0ES3_S5_N6thrust23THRUST_200600_302600_NS17counting_iteratorIsNS8_11use_defaultESA_SA_EEPbZNS1_13binary_searchIS3_S5_PsSB_SC_NS1_16binary_search_opENS8_6detail16wrapped_functionINS0_4lessIvEEbEEEE10hipError_tPvRmT1_T2_T3_mmT4_T5_P12ihipStream_tbEUlRKsE_EESL_SP_SQ_mSR_SU_bEUlT_E_NS1_11comp_targetILNS1_3genE3ELNS1_11target_archE908ELNS1_3gpuE7ELNS1_3repE0EEENS1_30default_config_static_selectorELNS0_4arch9wavefront6targetE1EEEvSO_
	.p2align	8
	.type	_ZN7rocprim17ROCPRIM_400000_NS6detail17trampoline_kernelINS0_14default_configENS1_29binary_search_config_selectorIsbEEZNS1_14transform_implILb0ES3_S5_N6thrust23THRUST_200600_302600_NS17counting_iteratorIsNS8_11use_defaultESA_SA_EEPbZNS1_13binary_searchIS3_S5_PsSB_SC_NS1_16binary_search_opENS8_6detail16wrapped_functionINS0_4lessIvEEbEEEE10hipError_tPvRmT1_T2_T3_mmT4_T5_P12ihipStream_tbEUlRKsE_EESL_SP_SQ_mSR_SU_bEUlT_E_NS1_11comp_targetILNS1_3genE3ELNS1_11target_archE908ELNS1_3gpuE7ELNS1_3repE0EEENS1_30default_config_static_selectorELNS0_4arch9wavefront6targetE1EEEvSO_,@function
_ZN7rocprim17ROCPRIM_400000_NS6detail17trampoline_kernelINS0_14default_configENS1_29binary_search_config_selectorIsbEEZNS1_14transform_implILb0ES3_S5_N6thrust23THRUST_200600_302600_NS17counting_iteratorIsNS8_11use_defaultESA_SA_EEPbZNS1_13binary_searchIS3_S5_PsSB_SC_NS1_16binary_search_opENS8_6detail16wrapped_functionINS0_4lessIvEEbEEEE10hipError_tPvRmT1_T2_T3_mmT4_T5_P12ihipStream_tbEUlRKsE_EESL_SP_SQ_mSR_SU_bEUlT_E_NS1_11comp_targetILNS1_3genE3ELNS1_11target_archE908ELNS1_3gpuE7ELNS1_3repE0EEENS1_30default_config_static_selectorELNS0_4arch9wavefront6targetE1EEEvSO_: ; @_ZN7rocprim17ROCPRIM_400000_NS6detail17trampoline_kernelINS0_14default_configENS1_29binary_search_config_selectorIsbEEZNS1_14transform_implILb0ES3_S5_N6thrust23THRUST_200600_302600_NS17counting_iteratorIsNS8_11use_defaultESA_SA_EEPbZNS1_13binary_searchIS3_S5_PsSB_SC_NS1_16binary_search_opENS8_6detail16wrapped_functionINS0_4lessIvEEbEEEE10hipError_tPvRmT1_T2_T3_mmT4_T5_P12ihipStream_tbEUlRKsE_EESL_SP_SQ_mSR_SU_bEUlT_E_NS1_11comp_targetILNS1_3genE3ELNS1_11target_archE908ELNS1_3gpuE7ELNS1_3repE0EEENS1_30default_config_static_selectorELNS0_4arch9wavefront6targetE1EEEvSO_
; %bb.0:
	.section	.rodata,"a",@progbits
	.p2align	6, 0x0
	.amdhsa_kernel _ZN7rocprim17ROCPRIM_400000_NS6detail17trampoline_kernelINS0_14default_configENS1_29binary_search_config_selectorIsbEEZNS1_14transform_implILb0ES3_S5_N6thrust23THRUST_200600_302600_NS17counting_iteratorIsNS8_11use_defaultESA_SA_EEPbZNS1_13binary_searchIS3_S5_PsSB_SC_NS1_16binary_search_opENS8_6detail16wrapped_functionINS0_4lessIvEEbEEEE10hipError_tPvRmT1_T2_T3_mmT4_T5_P12ihipStream_tbEUlRKsE_EESL_SP_SQ_mSR_SU_bEUlT_E_NS1_11comp_targetILNS1_3genE3ELNS1_11target_archE908ELNS1_3gpuE7ELNS1_3repE0EEENS1_30default_config_static_selectorELNS0_4arch9wavefront6targetE1EEEvSO_
		.amdhsa_group_segment_fixed_size 0
		.amdhsa_private_segment_fixed_size 0
		.amdhsa_kernarg_size 56
		.amdhsa_user_sgpr_count 6
		.amdhsa_user_sgpr_private_segment_buffer 1
		.amdhsa_user_sgpr_dispatch_ptr 0
		.amdhsa_user_sgpr_queue_ptr 0
		.amdhsa_user_sgpr_kernarg_segment_ptr 1
		.amdhsa_user_sgpr_dispatch_id 0
		.amdhsa_user_sgpr_flat_scratch_init 0
		.amdhsa_user_sgpr_kernarg_preload_length 0
		.amdhsa_user_sgpr_kernarg_preload_offset 0
		.amdhsa_user_sgpr_private_segment_size 0
		.amdhsa_uses_dynamic_stack 0
		.amdhsa_system_sgpr_private_segment_wavefront_offset 0
		.amdhsa_system_sgpr_workgroup_id_x 1
		.amdhsa_system_sgpr_workgroup_id_y 0
		.amdhsa_system_sgpr_workgroup_id_z 0
		.amdhsa_system_sgpr_workgroup_info 0
		.amdhsa_system_vgpr_workitem_id 0
		.amdhsa_next_free_vgpr 1
		.amdhsa_next_free_sgpr 0
		.amdhsa_accum_offset 4
		.amdhsa_reserve_vcc 0
		.amdhsa_reserve_flat_scratch 0
		.amdhsa_float_round_mode_32 0
		.amdhsa_float_round_mode_16_64 0
		.amdhsa_float_denorm_mode_32 3
		.amdhsa_float_denorm_mode_16_64 3
		.amdhsa_dx10_clamp 1
		.amdhsa_ieee_mode 1
		.amdhsa_fp16_overflow 0
		.amdhsa_tg_split 0
		.amdhsa_exception_fp_ieee_invalid_op 0
		.amdhsa_exception_fp_denorm_src 0
		.amdhsa_exception_fp_ieee_div_zero 0
		.amdhsa_exception_fp_ieee_overflow 0
		.amdhsa_exception_fp_ieee_underflow 0
		.amdhsa_exception_fp_ieee_inexact 0
		.amdhsa_exception_int_div_zero 0
	.end_amdhsa_kernel
	.section	.text._ZN7rocprim17ROCPRIM_400000_NS6detail17trampoline_kernelINS0_14default_configENS1_29binary_search_config_selectorIsbEEZNS1_14transform_implILb0ES3_S5_N6thrust23THRUST_200600_302600_NS17counting_iteratorIsNS8_11use_defaultESA_SA_EEPbZNS1_13binary_searchIS3_S5_PsSB_SC_NS1_16binary_search_opENS8_6detail16wrapped_functionINS0_4lessIvEEbEEEE10hipError_tPvRmT1_T2_T3_mmT4_T5_P12ihipStream_tbEUlRKsE_EESL_SP_SQ_mSR_SU_bEUlT_E_NS1_11comp_targetILNS1_3genE3ELNS1_11target_archE908ELNS1_3gpuE7ELNS1_3repE0EEENS1_30default_config_static_selectorELNS0_4arch9wavefront6targetE1EEEvSO_,"axG",@progbits,_ZN7rocprim17ROCPRIM_400000_NS6detail17trampoline_kernelINS0_14default_configENS1_29binary_search_config_selectorIsbEEZNS1_14transform_implILb0ES3_S5_N6thrust23THRUST_200600_302600_NS17counting_iteratorIsNS8_11use_defaultESA_SA_EEPbZNS1_13binary_searchIS3_S5_PsSB_SC_NS1_16binary_search_opENS8_6detail16wrapped_functionINS0_4lessIvEEbEEEE10hipError_tPvRmT1_T2_T3_mmT4_T5_P12ihipStream_tbEUlRKsE_EESL_SP_SQ_mSR_SU_bEUlT_E_NS1_11comp_targetILNS1_3genE3ELNS1_11target_archE908ELNS1_3gpuE7ELNS1_3repE0EEENS1_30default_config_static_selectorELNS0_4arch9wavefront6targetE1EEEvSO_,comdat
.Lfunc_end243:
	.size	_ZN7rocprim17ROCPRIM_400000_NS6detail17trampoline_kernelINS0_14default_configENS1_29binary_search_config_selectorIsbEEZNS1_14transform_implILb0ES3_S5_N6thrust23THRUST_200600_302600_NS17counting_iteratorIsNS8_11use_defaultESA_SA_EEPbZNS1_13binary_searchIS3_S5_PsSB_SC_NS1_16binary_search_opENS8_6detail16wrapped_functionINS0_4lessIvEEbEEEE10hipError_tPvRmT1_T2_T3_mmT4_T5_P12ihipStream_tbEUlRKsE_EESL_SP_SQ_mSR_SU_bEUlT_E_NS1_11comp_targetILNS1_3genE3ELNS1_11target_archE908ELNS1_3gpuE7ELNS1_3repE0EEENS1_30default_config_static_selectorELNS0_4arch9wavefront6targetE1EEEvSO_, .Lfunc_end243-_ZN7rocprim17ROCPRIM_400000_NS6detail17trampoline_kernelINS0_14default_configENS1_29binary_search_config_selectorIsbEEZNS1_14transform_implILb0ES3_S5_N6thrust23THRUST_200600_302600_NS17counting_iteratorIsNS8_11use_defaultESA_SA_EEPbZNS1_13binary_searchIS3_S5_PsSB_SC_NS1_16binary_search_opENS8_6detail16wrapped_functionINS0_4lessIvEEbEEEE10hipError_tPvRmT1_T2_T3_mmT4_T5_P12ihipStream_tbEUlRKsE_EESL_SP_SQ_mSR_SU_bEUlT_E_NS1_11comp_targetILNS1_3genE3ELNS1_11target_archE908ELNS1_3gpuE7ELNS1_3repE0EEENS1_30default_config_static_selectorELNS0_4arch9wavefront6targetE1EEEvSO_
                                        ; -- End function
	.section	.AMDGPU.csdata,"",@progbits
; Kernel info:
; codeLenInByte = 0
; NumSgprs: 4
; NumVgprs: 0
; NumAgprs: 0
; TotalNumVgprs: 0
; ScratchSize: 0
; MemoryBound: 0
; FloatMode: 240
; IeeeMode: 1
; LDSByteSize: 0 bytes/workgroup (compile time only)
; SGPRBlocks: 0
; VGPRBlocks: 0
; NumSGPRsForWavesPerEU: 4
; NumVGPRsForWavesPerEU: 1
; AccumOffset: 4
; Occupancy: 8
; WaveLimiterHint : 0
; COMPUTE_PGM_RSRC2:SCRATCH_EN: 0
; COMPUTE_PGM_RSRC2:USER_SGPR: 6
; COMPUTE_PGM_RSRC2:TRAP_HANDLER: 0
; COMPUTE_PGM_RSRC2:TGID_X_EN: 1
; COMPUTE_PGM_RSRC2:TGID_Y_EN: 0
; COMPUTE_PGM_RSRC2:TGID_Z_EN: 0
; COMPUTE_PGM_RSRC2:TIDIG_COMP_CNT: 0
; COMPUTE_PGM_RSRC3_GFX90A:ACCUM_OFFSET: 0
; COMPUTE_PGM_RSRC3_GFX90A:TG_SPLIT: 0
	.section	.text._ZN7rocprim17ROCPRIM_400000_NS6detail17trampoline_kernelINS0_14default_configENS1_29binary_search_config_selectorIsbEEZNS1_14transform_implILb0ES3_S5_N6thrust23THRUST_200600_302600_NS17counting_iteratorIsNS8_11use_defaultESA_SA_EEPbZNS1_13binary_searchIS3_S5_PsSB_SC_NS1_16binary_search_opENS8_6detail16wrapped_functionINS0_4lessIvEEbEEEE10hipError_tPvRmT1_T2_T3_mmT4_T5_P12ihipStream_tbEUlRKsE_EESL_SP_SQ_mSR_SU_bEUlT_E_NS1_11comp_targetILNS1_3genE2ELNS1_11target_archE906ELNS1_3gpuE6ELNS1_3repE0EEENS1_30default_config_static_selectorELNS0_4arch9wavefront6targetE1EEEvSO_,"axG",@progbits,_ZN7rocprim17ROCPRIM_400000_NS6detail17trampoline_kernelINS0_14default_configENS1_29binary_search_config_selectorIsbEEZNS1_14transform_implILb0ES3_S5_N6thrust23THRUST_200600_302600_NS17counting_iteratorIsNS8_11use_defaultESA_SA_EEPbZNS1_13binary_searchIS3_S5_PsSB_SC_NS1_16binary_search_opENS8_6detail16wrapped_functionINS0_4lessIvEEbEEEE10hipError_tPvRmT1_T2_T3_mmT4_T5_P12ihipStream_tbEUlRKsE_EESL_SP_SQ_mSR_SU_bEUlT_E_NS1_11comp_targetILNS1_3genE2ELNS1_11target_archE906ELNS1_3gpuE6ELNS1_3repE0EEENS1_30default_config_static_selectorELNS0_4arch9wavefront6targetE1EEEvSO_,comdat
	.protected	_ZN7rocprim17ROCPRIM_400000_NS6detail17trampoline_kernelINS0_14default_configENS1_29binary_search_config_selectorIsbEEZNS1_14transform_implILb0ES3_S5_N6thrust23THRUST_200600_302600_NS17counting_iteratorIsNS8_11use_defaultESA_SA_EEPbZNS1_13binary_searchIS3_S5_PsSB_SC_NS1_16binary_search_opENS8_6detail16wrapped_functionINS0_4lessIvEEbEEEE10hipError_tPvRmT1_T2_T3_mmT4_T5_P12ihipStream_tbEUlRKsE_EESL_SP_SQ_mSR_SU_bEUlT_E_NS1_11comp_targetILNS1_3genE2ELNS1_11target_archE906ELNS1_3gpuE6ELNS1_3repE0EEENS1_30default_config_static_selectorELNS0_4arch9wavefront6targetE1EEEvSO_ ; -- Begin function _ZN7rocprim17ROCPRIM_400000_NS6detail17trampoline_kernelINS0_14default_configENS1_29binary_search_config_selectorIsbEEZNS1_14transform_implILb0ES3_S5_N6thrust23THRUST_200600_302600_NS17counting_iteratorIsNS8_11use_defaultESA_SA_EEPbZNS1_13binary_searchIS3_S5_PsSB_SC_NS1_16binary_search_opENS8_6detail16wrapped_functionINS0_4lessIvEEbEEEE10hipError_tPvRmT1_T2_T3_mmT4_T5_P12ihipStream_tbEUlRKsE_EESL_SP_SQ_mSR_SU_bEUlT_E_NS1_11comp_targetILNS1_3genE2ELNS1_11target_archE906ELNS1_3gpuE6ELNS1_3repE0EEENS1_30default_config_static_selectorELNS0_4arch9wavefront6targetE1EEEvSO_
	.globl	_ZN7rocprim17ROCPRIM_400000_NS6detail17trampoline_kernelINS0_14default_configENS1_29binary_search_config_selectorIsbEEZNS1_14transform_implILb0ES3_S5_N6thrust23THRUST_200600_302600_NS17counting_iteratorIsNS8_11use_defaultESA_SA_EEPbZNS1_13binary_searchIS3_S5_PsSB_SC_NS1_16binary_search_opENS8_6detail16wrapped_functionINS0_4lessIvEEbEEEE10hipError_tPvRmT1_T2_T3_mmT4_T5_P12ihipStream_tbEUlRKsE_EESL_SP_SQ_mSR_SU_bEUlT_E_NS1_11comp_targetILNS1_3genE2ELNS1_11target_archE906ELNS1_3gpuE6ELNS1_3repE0EEENS1_30default_config_static_selectorELNS0_4arch9wavefront6targetE1EEEvSO_
	.p2align	8
	.type	_ZN7rocprim17ROCPRIM_400000_NS6detail17trampoline_kernelINS0_14default_configENS1_29binary_search_config_selectorIsbEEZNS1_14transform_implILb0ES3_S5_N6thrust23THRUST_200600_302600_NS17counting_iteratorIsNS8_11use_defaultESA_SA_EEPbZNS1_13binary_searchIS3_S5_PsSB_SC_NS1_16binary_search_opENS8_6detail16wrapped_functionINS0_4lessIvEEbEEEE10hipError_tPvRmT1_T2_T3_mmT4_T5_P12ihipStream_tbEUlRKsE_EESL_SP_SQ_mSR_SU_bEUlT_E_NS1_11comp_targetILNS1_3genE2ELNS1_11target_archE906ELNS1_3gpuE6ELNS1_3repE0EEENS1_30default_config_static_selectorELNS0_4arch9wavefront6targetE1EEEvSO_,@function
_ZN7rocprim17ROCPRIM_400000_NS6detail17trampoline_kernelINS0_14default_configENS1_29binary_search_config_selectorIsbEEZNS1_14transform_implILb0ES3_S5_N6thrust23THRUST_200600_302600_NS17counting_iteratorIsNS8_11use_defaultESA_SA_EEPbZNS1_13binary_searchIS3_S5_PsSB_SC_NS1_16binary_search_opENS8_6detail16wrapped_functionINS0_4lessIvEEbEEEE10hipError_tPvRmT1_T2_T3_mmT4_T5_P12ihipStream_tbEUlRKsE_EESL_SP_SQ_mSR_SU_bEUlT_E_NS1_11comp_targetILNS1_3genE2ELNS1_11target_archE906ELNS1_3gpuE6ELNS1_3repE0EEENS1_30default_config_static_selectorELNS0_4arch9wavefront6targetE1EEEvSO_: ; @_ZN7rocprim17ROCPRIM_400000_NS6detail17trampoline_kernelINS0_14default_configENS1_29binary_search_config_selectorIsbEEZNS1_14transform_implILb0ES3_S5_N6thrust23THRUST_200600_302600_NS17counting_iteratorIsNS8_11use_defaultESA_SA_EEPbZNS1_13binary_searchIS3_S5_PsSB_SC_NS1_16binary_search_opENS8_6detail16wrapped_functionINS0_4lessIvEEbEEEE10hipError_tPvRmT1_T2_T3_mmT4_T5_P12ihipStream_tbEUlRKsE_EESL_SP_SQ_mSR_SU_bEUlT_E_NS1_11comp_targetILNS1_3genE2ELNS1_11target_archE906ELNS1_3gpuE6ELNS1_3repE0EEENS1_30default_config_static_selectorELNS0_4arch9wavefront6targetE1EEEvSO_
; %bb.0:
	.section	.rodata,"a",@progbits
	.p2align	6, 0x0
	.amdhsa_kernel _ZN7rocprim17ROCPRIM_400000_NS6detail17trampoline_kernelINS0_14default_configENS1_29binary_search_config_selectorIsbEEZNS1_14transform_implILb0ES3_S5_N6thrust23THRUST_200600_302600_NS17counting_iteratorIsNS8_11use_defaultESA_SA_EEPbZNS1_13binary_searchIS3_S5_PsSB_SC_NS1_16binary_search_opENS8_6detail16wrapped_functionINS0_4lessIvEEbEEEE10hipError_tPvRmT1_T2_T3_mmT4_T5_P12ihipStream_tbEUlRKsE_EESL_SP_SQ_mSR_SU_bEUlT_E_NS1_11comp_targetILNS1_3genE2ELNS1_11target_archE906ELNS1_3gpuE6ELNS1_3repE0EEENS1_30default_config_static_selectorELNS0_4arch9wavefront6targetE1EEEvSO_
		.amdhsa_group_segment_fixed_size 0
		.amdhsa_private_segment_fixed_size 0
		.amdhsa_kernarg_size 56
		.amdhsa_user_sgpr_count 6
		.amdhsa_user_sgpr_private_segment_buffer 1
		.amdhsa_user_sgpr_dispatch_ptr 0
		.amdhsa_user_sgpr_queue_ptr 0
		.amdhsa_user_sgpr_kernarg_segment_ptr 1
		.amdhsa_user_sgpr_dispatch_id 0
		.amdhsa_user_sgpr_flat_scratch_init 0
		.amdhsa_user_sgpr_kernarg_preload_length 0
		.amdhsa_user_sgpr_kernarg_preload_offset 0
		.amdhsa_user_sgpr_private_segment_size 0
		.amdhsa_uses_dynamic_stack 0
		.amdhsa_system_sgpr_private_segment_wavefront_offset 0
		.amdhsa_system_sgpr_workgroup_id_x 1
		.amdhsa_system_sgpr_workgroup_id_y 0
		.amdhsa_system_sgpr_workgroup_id_z 0
		.amdhsa_system_sgpr_workgroup_info 0
		.amdhsa_system_vgpr_workitem_id 0
		.amdhsa_next_free_vgpr 1
		.amdhsa_next_free_sgpr 0
		.amdhsa_accum_offset 4
		.amdhsa_reserve_vcc 0
		.amdhsa_reserve_flat_scratch 0
		.amdhsa_float_round_mode_32 0
		.amdhsa_float_round_mode_16_64 0
		.amdhsa_float_denorm_mode_32 3
		.amdhsa_float_denorm_mode_16_64 3
		.amdhsa_dx10_clamp 1
		.amdhsa_ieee_mode 1
		.amdhsa_fp16_overflow 0
		.amdhsa_tg_split 0
		.amdhsa_exception_fp_ieee_invalid_op 0
		.amdhsa_exception_fp_denorm_src 0
		.amdhsa_exception_fp_ieee_div_zero 0
		.amdhsa_exception_fp_ieee_overflow 0
		.amdhsa_exception_fp_ieee_underflow 0
		.amdhsa_exception_fp_ieee_inexact 0
		.amdhsa_exception_int_div_zero 0
	.end_amdhsa_kernel
	.section	.text._ZN7rocprim17ROCPRIM_400000_NS6detail17trampoline_kernelINS0_14default_configENS1_29binary_search_config_selectorIsbEEZNS1_14transform_implILb0ES3_S5_N6thrust23THRUST_200600_302600_NS17counting_iteratorIsNS8_11use_defaultESA_SA_EEPbZNS1_13binary_searchIS3_S5_PsSB_SC_NS1_16binary_search_opENS8_6detail16wrapped_functionINS0_4lessIvEEbEEEE10hipError_tPvRmT1_T2_T3_mmT4_T5_P12ihipStream_tbEUlRKsE_EESL_SP_SQ_mSR_SU_bEUlT_E_NS1_11comp_targetILNS1_3genE2ELNS1_11target_archE906ELNS1_3gpuE6ELNS1_3repE0EEENS1_30default_config_static_selectorELNS0_4arch9wavefront6targetE1EEEvSO_,"axG",@progbits,_ZN7rocprim17ROCPRIM_400000_NS6detail17trampoline_kernelINS0_14default_configENS1_29binary_search_config_selectorIsbEEZNS1_14transform_implILb0ES3_S5_N6thrust23THRUST_200600_302600_NS17counting_iteratorIsNS8_11use_defaultESA_SA_EEPbZNS1_13binary_searchIS3_S5_PsSB_SC_NS1_16binary_search_opENS8_6detail16wrapped_functionINS0_4lessIvEEbEEEE10hipError_tPvRmT1_T2_T3_mmT4_T5_P12ihipStream_tbEUlRKsE_EESL_SP_SQ_mSR_SU_bEUlT_E_NS1_11comp_targetILNS1_3genE2ELNS1_11target_archE906ELNS1_3gpuE6ELNS1_3repE0EEENS1_30default_config_static_selectorELNS0_4arch9wavefront6targetE1EEEvSO_,comdat
.Lfunc_end244:
	.size	_ZN7rocprim17ROCPRIM_400000_NS6detail17trampoline_kernelINS0_14default_configENS1_29binary_search_config_selectorIsbEEZNS1_14transform_implILb0ES3_S5_N6thrust23THRUST_200600_302600_NS17counting_iteratorIsNS8_11use_defaultESA_SA_EEPbZNS1_13binary_searchIS3_S5_PsSB_SC_NS1_16binary_search_opENS8_6detail16wrapped_functionINS0_4lessIvEEbEEEE10hipError_tPvRmT1_T2_T3_mmT4_T5_P12ihipStream_tbEUlRKsE_EESL_SP_SQ_mSR_SU_bEUlT_E_NS1_11comp_targetILNS1_3genE2ELNS1_11target_archE906ELNS1_3gpuE6ELNS1_3repE0EEENS1_30default_config_static_selectorELNS0_4arch9wavefront6targetE1EEEvSO_, .Lfunc_end244-_ZN7rocprim17ROCPRIM_400000_NS6detail17trampoline_kernelINS0_14default_configENS1_29binary_search_config_selectorIsbEEZNS1_14transform_implILb0ES3_S5_N6thrust23THRUST_200600_302600_NS17counting_iteratorIsNS8_11use_defaultESA_SA_EEPbZNS1_13binary_searchIS3_S5_PsSB_SC_NS1_16binary_search_opENS8_6detail16wrapped_functionINS0_4lessIvEEbEEEE10hipError_tPvRmT1_T2_T3_mmT4_T5_P12ihipStream_tbEUlRKsE_EESL_SP_SQ_mSR_SU_bEUlT_E_NS1_11comp_targetILNS1_3genE2ELNS1_11target_archE906ELNS1_3gpuE6ELNS1_3repE0EEENS1_30default_config_static_selectorELNS0_4arch9wavefront6targetE1EEEvSO_
                                        ; -- End function
	.section	.AMDGPU.csdata,"",@progbits
; Kernel info:
; codeLenInByte = 0
; NumSgprs: 4
; NumVgprs: 0
; NumAgprs: 0
; TotalNumVgprs: 0
; ScratchSize: 0
; MemoryBound: 0
; FloatMode: 240
; IeeeMode: 1
; LDSByteSize: 0 bytes/workgroup (compile time only)
; SGPRBlocks: 0
; VGPRBlocks: 0
; NumSGPRsForWavesPerEU: 4
; NumVGPRsForWavesPerEU: 1
; AccumOffset: 4
; Occupancy: 8
; WaveLimiterHint : 0
; COMPUTE_PGM_RSRC2:SCRATCH_EN: 0
; COMPUTE_PGM_RSRC2:USER_SGPR: 6
; COMPUTE_PGM_RSRC2:TRAP_HANDLER: 0
; COMPUTE_PGM_RSRC2:TGID_X_EN: 1
; COMPUTE_PGM_RSRC2:TGID_Y_EN: 0
; COMPUTE_PGM_RSRC2:TGID_Z_EN: 0
; COMPUTE_PGM_RSRC2:TIDIG_COMP_CNT: 0
; COMPUTE_PGM_RSRC3_GFX90A:ACCUM_OFFSET: 0
; COMPUTE_PGM_RSRC3_GFX90A:TG_SPLIT: 0
	.section	.text._ZN7rocprim17ROCPRIM_400000_NS6detail17trampoline_kernelINS0_14default_configENS1_29binary_search_config_selectorIsbEEZNS1_14transform_implILb0ES3_S5_N6thrust23THRUST_200600_302600_NS17counting_iteratorIsNS8_11use_defaultESA_SA_EEPbZNS1_13binary_searchIS3_S5_PsSB_SC_NS1_16binary_search_opENS8_6detail16wrapped_functionINS0_4lessIvEEbEEEE10hipError_tPvRmT1_T2_T3_mmT4_T5_P12ihipStream_tbEUlRKsE_EESL_SP_SQ_mSR_SU_bEUlT_E_NS1_11comp_targetILNS1_3genE10ELNS1_11target_archE1201ELNS1_3gpuE5ELNS1_3repE0EEENS1_30default_config_static_selectorELNS0_4arch9wavefront6targetE1EEEvSO_,"axG",@progbits,_ZN7rocprim17ROCPRIM_400000_NS6detail17trampoline_kernelINS0_14default_configENS1_29binary_search_config_selectorIsbEEZNS1_14transform_implILb0ES3_S5_N6thrust23THRUST_200600_302600_NS17counting_iteratorIsNS8_11use_defaultESA_SA_EEPbZNS1_13binary_searchIS3_S5_PsSB_SC_NS1_16binary_search_opENS8_6detail16wrapped_functionINS0_4lessIvEEbEEEE10hipError_tPvRmT1_T2_T3_mmT4_T5_P12ihipStream_tbEUlRKsE_EESL_SP_SQ_mSR_SU_bEUlT_E_NS1_11comp_targetILNS1_3genE10ELNS1_11target_archE1201ELNS1_3gpuE5ELNS1_3repE0EEENS1_30default_config_static_selectorELNS0_4arch9wavefront6targetE1EEEvSO_,comdat
	.protected	_ZN7rocprim17ROCPRIM_400000_NS6detail17trampoline_kernelINS0_14default_configENS1_29binary_search_config_selectorIsbEEZNS1_14transform_implILb0ES3_S5_N6thrust23THRUST_200600_302600_NS17counting_iteratorIsNS8_11use_defaultESA_SA_EEPbZNS1_13binary_searchIS3_S5_PsSB_SC_NS1_16binary_search_opENS8_6detail16wrapped_functionINS0_4lessIvEEbEEEE10hipError_tPvRmT1_T2_T3_mmT4_T5_P12ihipStream_tbEUlRKsE_EESL_SP_SQ_mSR_SU_bEUlT_E_NS1_11comp_targetILNS1_3genE10ELNS1_11target_archE1201ELNS1_3gpuE5ELNS1_3repE0EEENS1_30default_config_static_selectorELNS0_4arch9wavefront6targetE1EEEvSO_ ; -- Begin function _ZN7rocprim17ROCPRIM_400000_NS6detail17trampoline_kernelINS0_14default_configENS1_29binary_search_config_selectorIsbEEZNS1_14transform_implILb0ES3_S5_N6thrust23THRUST_200600_302600_NS17counting_iteratorIsNS8_11use_defaultESA_SA_EEPbZNS1_13binary_searchIS3_S5_PsSB_SC_NS1_16binary_search_opENS8_6detail16wrapped_functionINS0_4lessIvEEbEEEE10hipError_tPvRmT1_T2_T3_mmT4_T5_P12ihipStream_tbEUlRKsE_EESL_SP_SQ_mSR_SU_bEUlT_E_NS1_11comp_targetILNS1_3genE10ELNS1_11target_archE1201ELNS1_3gpuE5ELNS1_3repE0EEENS1_30default_config_static_selectorELNS0_4arch9wavefront6targetE1EEEvSO_
	.globl	_ZN7rocprim17ROCPRIM_400000_NS6detail17trampoline_kernelINS0_14default_configENS1_29binary_search_config_selectorIsbEEZNS1_14transform_implILb0ES3_S5_N6thrust23THRUST_200600_302600_NS17counting_iteratorIsNS8_11use_defaultESA_SA_EEPbZNS1_13binary_searchIS3_S5_PsSB_SC_NS1_16binary_search_opENS8_6detail16wrapped_functionINS0_4lessIvEEbEEEE10hipError_tPvRmT1_T2_T3_mmT4_T5_P12ihipStream_tbEUlRKsE_EESL_SP_SQ_mSR_SU_bEUlT_E_NS1_11comp_targetILNS1_3genE10ELNS1_11target_archE1201ELNS1_3gpuE5ELNS1_3repE0EEENS1_30default_config_static_selectorELNS0_4arch9wavefront6targetE1EEEvSO_
	.p2align	8
	.type	_ZN7rocprim17ROCPRIM_400000_NS6detail17trampoline_kernelINS0_14default_configENS1_29binary_search_config_selectorIsbEEZNS1_14transform_implILb0ES3_S5_N6thrust23THRUST_200600_302600_NS17counting_iteratorIsNS8_11use_defaultESA_SA_EEPbZNS1_13binary_searchIS3_S5_PsSB_SC_NS1_16binary_search_opENS8_6detail16wrapped_functionINS0_4lessIvEEbEEEE10hipError_tPvRmT1_T2_T3_mmT4_T5_P12ihipStream_tbEUlRKsE_EESL_SP_SQ_mSR_SU_bEUlT_E_NS1_11comp_targetILNS1_3genE10ELNS1_11target_archE1201ELNS1_3gpuE5ELNS1_3repE0EEENS1_30default_config_static_selectorELNS0_4arch9wavefront6targetE1EEEvSO_,@function
_ZN7rocprim17ROCPRIM_400000_NS6detail17trampoline_kernelINS0_14default_configENS1_29binary_search_config_selectorIsbEEZNS1_14transform_implILb0ES3_S5_N6thrust23THRUST_200600_302600_NS17counting_iteratorIsNS8_11use_defaultESA_SA_EEPbZNS1_13binary_searchIS3_S5_PsSB_SC_NS1_16binary_search_opENS8_6detail16wrapped_functionINS0_4lessIvEEbEEEE10hipError_tPvRmT1_T2_T3_mmT4_T5_P12ihipStream_tbEUlRKsE_EESL_SP_SQ_mSR_SU_bEUlT_E_NS1_11comp_targetILNS1_3genE10ELNS1_11target_archE1201ELNS1_3gpuE5ELNS1_3repE0EEENS1_30default_config_static_selectorELNS0_4arch9wavefront6targetE1EEEvSO_: ; @_ZN7rocprim17ROCPRIM_400000_NS6detail17trampoline_kernelINS0_14default_configENS1_29binary_search_config_selectorIsbEEZNS1_14transform_implILb0ES3_S5_N6thrust23THRUST_200600_302600_NS17counting_iteratorIsNS8_11use_defaultESA_SA_EEPbZNS1_13binary_searchIS3_S5_PsSB_SC_NS1_16binary_search_opENS8_6detail16wrapped_functionINS0_4lessIvEEbEEEE10hipError_tPvRmT1_T2_T3_mmT4_T5_P12ihipStream_tbEUlRKsE_EESL_SP_SQ_mSR_SU_bEUlT_E_NS1_11comp_targetILNS1_3genE10ELNS1_11target_archE1201ELNS1_3gpuE5ELNS1_3repE0EEENS1_30default_config_static_selectorELNS0_4arch9wavefront6targetE1EEEvSO_
; %bb.0:
	.section	.rodata,"a",@progbits
	.p2align	6, 0x0
	.amdhsa_kernel _ZN7rocprim17ROCPRIM_400000_NS6detail17trampoline_kernelINS0_14default_configENS1_29binary_search_config_selectorIsbEEZNS1_14transform_implILb0ES3_S5_N6thrust23THRUST_200600_302600_NS17counting_iteratorIsNS8_11use_defaultESA_SA_EEPbZNS1_13binary_searchIS3_S5_PsSB_SC_NS1_16binary_search_opENS8_6detail16wrapped_functionINS0_4lessIvEEbEEEE10hipError_tPvRmT1_T2_T3_mmT4_T5_P12ihipStream_tbEUlRKsE_EESL_SP_SQ_mSR_SU_bEUlT_E_NS1_11comp_targetILNS1_3genE10ELNS1_11target_archE1201ELNS1_3gpuE5ELNS1_3repE0EEENS1_30default_config_static_selectorELNS0_4arch9wavefront6targetE1EEEvSO_
		.amdhsa_group_segment_fixed_size 0
		.amdhsa_private_segment_fixed_size 0
		.amdhsa_kernarg_size 56
		.amdhsa_user_sgpr_count 6
		.amdhsa_user_sgpr_private_segment_buffer 1
		.amdhsa_user_sgpr_dispatch_ptr 0
		.amdhsa_user_sgpr_queue_ptr 0
		.amdhsa_user_sgpr_kernarg_segment_ptr 1
		.amdhsa_user_sgpr_dispatch_id 0
		.amdhsa_user_sgpr_flat_scratch_init 0
		.amdhsa_user_sgpr_kernarg_preload_length 0
		.amdhsa_user_sgpr_kernarg_preload_offset 0
		.amdhsa_user_sgpr_private_segment_size 0
		.amdhsa_uses_dynamic_stack 0
		.amdhsa_system_sgpr_private_segment_wavefront_offset 0
		.amdhsa_system_sgpr_workgroup_id_x 1
		.amdhsa_system_sgpr_workgroup_id_y 0
		.amdhsa_system_sgpr_workgroup_id_z 0
		.amdhsa_system_sgpr_workgroup_info 0
		.amdhsa_system_vgpr_workitem_id 0
		.amdhsa_next_free_vgpr 1
		.amdhsa_next_free_sgpr 0
		.amdhsa_accum_offset 4
		.amdhsa_reserve_vcc 0
		.amdhsa_reserve_flat_scratch 0
		.amdhsa_float_round_mode_32 0
		.amdhsa_float_round_mode_16_64 0
		.amdhsa_float_denorm_mode_32 3
		.amdhsa_float_denorm_mode_16_64 3
		.amdhsa_dx10_clamp 1
		.amdhsa_ieee_mode 1
		.amdhsa_fp16_overflow 0
		.amdhsa_tg_split 0
		.amdhsa_exception_fp_ieee_invalid_op 0
		.amdhsa_exception_fp_denorm_src 0
		.amdhsa_exception_fp_ieee_div_zero 0
		.amdhsa_exception_fp_ieee_overflow 0
		.amdhsa_exception_fp_ieee_underflow 0
		.amdhsa_exception_fp_ieee_inexact 0
		.amdhsa_exception_int_div_zero 0
	.end_amdhsa_kernel
	.section	.text._ZN7rocprim17ROCPRIM_400000_NS6detail17trampoline_kernelINS0_14default_configENS1_29binary_search_config_selectorIsbEEZNS1_14transform_implILb0ES3_S5_N6thrust23THRUST_200600_302600_NS17counting_iteratorIsNS8_11use_defaultESA_SA_EEPbZNS1_13binary_searchIS3_S5_PsSB_SC_NS1_16binary_search_opENS8_6detail16wrapped_functionINS0_4lessIvEEbEEEE10hipError_tPvRmT1_T2_T3_mmT4_T5_P12ihipStream_tbEUlRKsE_EESL_SP_SQ_mSR_SU_bEUlT_E_NS1_11comp_targetILNS1_3genE10ELNS1_11target_archE1201ELNS1_3gpuE5ELNS1_3repE0EEENS1_30default_config_static_selectorELNS0_4arch9wavefront6targetE1EEEvSO_,"axG",@progbits,_ZN7rocprim17ROCPRIM_400000_NS6detail17trampoline_kernelINS0_14default_configENS1_29binary_search_config_selectorIsbEEZNS1_14transform_implILb0ES3_S5_N6thrust23THRUST_200600_302600_NS17counting_iteratorIsNS8_11use_defaultESA_SA_EEPbZNS1_13binary_searchIS3_S5_PsSB_SC_NS1_16binary_search_opENS8_6detail16wrapped_functionINS0_4lessIvEEbEEEE10hipError_tPvRmT1_T2_T3_mmT4_T5_P12ihipStream_tbEUlRKsE_EESL_SP_SQ_mSR_SU_bEUlT_E_NS1_11comp_targetILNS1_3genE10ELNS1_11target_archE1201ELNS1_3gpuE5ELNS1_3repE0EEENS1_30default_config_static_selectorELNS0_4arch9wavefront6targetE1EEEvSO_,comdat
.Lfunc_end245:
	.size	_ZN7rocprim17ROCPRIM_400000_NS6detail17trampoline_kernelINS0_14default_configENS1_29binary_search_config_selectorIsbEEZNS1_14transform_implILb0ES3_S5_N6thrust23THRUST_200600_302600_NS17counting_iteratorIsNS8_11use_defaultESA_SA_EEPbZNS1_13binary_searchIS3_S5_PsSB_SC_NS1_16binary_search_opENS8_6detail16wrapped_functionINS0_4lessIvEEbEEEE10hipError_tPvRmT1_T2_T3_mmT4_T5_P12ihipStream_tbEUlRKsE_EESL_SP_SQ_mSR_SU_bEUlT_E_NS1_11comp_targetILNS1_3genE10ELNS1_11target_archE1201ELNS1_3gpuE5ELNS1_3repE0EEENS1_30default_config_static_selectorELNS0_4arch9wavefront6targetE1EEEvSO_, .Lfunc_end245-_ZN7rocprim17ROCPRIM_400000_NS6detail17trampoline_kernelINS0_14default_configENS1_29binary_search_config_selectorIsbEEZNS1_14transform_implILb0ES3_S5_N6thrust23THRUST_200600_302600_NS17counting_iteratorIsNS8_11use_defaultESA_SA_EEPbZNS1_13binary_searchIS3_S5_PsSB_SC_NS1_16binary_search_opENS8_6detail16wrapped_functionINS0_4lessIvEEbEEEE10hipError_tPvRmT1_T2_T3_mmT4_T5_P12ihipStream_tbEUlRKsE_EESL_SP_SQ_mSR_SU_bEUlT_E_NS1_11comp_targetILNS1_3genE10ELNS1_11target_archE1201ELNS1_3gpuE5ELNS1_3repE0EEENS1_30default_config_static_selectorELNS0_4arch9wavefront6targetE1EEEvSO_
                                        ; -- End function
	.section	.AMDGPU.csdata,"",@progbits
; Kernel info:
; codeLenInByte = 0
; NumSgprs: 4
; NumVgprs: 0
; NumAgprs: 0
; TotalNumVgprs: 0
; ScratchSize: 0
; MemoryBound: 0
; FloatMode: 240
; IeeeMode: 1
; LDSByteSize: 0 bytes/workgroup (compile time only)
; SGPRBlocks: 0
; VGPRBlocks: 0
; NumSGPRsForWavesPerEU: 4
; NumVGPRsForWavesPerEU: 1
; AccumOffset: 4
; Occupancy: 8
; WaveLimiterHint : 0
; COMPUTE_PGM_RSRC2:SCRATCH_EN: 0
; COMPUTE_PGM_RSRC2:USER_SGPR: 6
; COMPUTE_PGM_RSRC2:TRAP_HANDLER: 0
; COMPUTE_PGM_RSRC2:TGID_X_EN: 1
; COMPUTE_PGM_RSRC2:TGID_Y_EN: 0
; COMPUTE_PGM_RSRC2:TGID_Z_EN: 0
; COMPUTE_PGM_RSRC2:TIDIG_COMP_CNT: 0
; COMPUTE_PGM_RSRC3_GFX90A:ACCUM_OFFSET: 0
; COMPUTE_PGM_RSRC3_GFX90A:TG_SPLIT: 0
	.section	.text._ZN7rocprim17ROCPRIM_400000_NS6detail17trampoline_kernelINS0_14default_configENS1_29binary_search_config_selectorIsbEEZNS1_14transform_implILb0ES3_S5_N6thrust23THRUST_200600_302600_NS17counting_iteratorIsNS8_11use_defaultESA_SA_EEPbZNS1_13binary_searchIS3_S5_PsSB_SC_NS1_16binary_search_opENS8_6detail16wrapped_functionINS0_4lessIvEEbEEEE10hipError_tPvRmT1_T2_T3_mmT4_T5_P12ihipStream_tbEUlRKsE_EESL_SP_SQ_mSR_SU_bEUlT_E_NS1_11comp_targetILNS1_3genE10ELNS1_11target_archE1200ELNS1_3gpuE4ELNS1_3repE0EEENS1_30default_config_static_selectorELNS0_4arch9wavefront6targetE1EEEvSO_,"axG",@progbits,_ZN7rocprim17ROCPRIM_400000_NS6detail17trampoline_kernelINS0_14default_configENS1_29binary_search_config_selectorIsbEEZNS1_14transform_implILb0ES3_S5_N6thrust23THRUST_200600_302600_NS17counting_iteratorIsNS8_11use_defaultESA_SA_EEPbZNS1_13binary_searchIS3_S5_PsSB_SC_NS1_16binary_search_opENS8_6detail16wrapped_functionINS0_4lessIvEEbEEEE10hipError_tPvRmT1_T2_T3_mmT4_T5_P12ihipStream_tbEUlRKsE_EESL_SP_SQ_mSR_SU_bEUlT_E_NS1_11comp_targetILNS1_3genE10ELNS1_11target_archE1200ELNS1_3gpuE4ELNS1_3repE0EEENS1_30default_config_static_selectorELNS0_4arch9wavefront6targetE1EEEvSO_,comdat
	.protected	_ZN7rocprim17ROCPRIM_400000_NS6detail17trampoline_kernelINS0_14default_configENS1_29binary_search_config_selectorIsbEEZNS1_14transform_implILb0ES3_S5_N6thrust23THRUST_200600_302600_NS17counting_iteratorIsNS8_11use_defaultESA_SA_EEPbZNS1_13binary_searchIS3_S5_PsSB_SC_NS1_16binary_search_opENS8_6detail16wrapped_functionINS0_4lessIvEEbEEEE10hipError_tPvRmT1_T2_T3_mmT4_T5_P12ihipStream_tbEUlRKsE_EESL_SP_SQ_mSR_SU_bEUlT_E_NS1_11comp_targetILNS1_3genE10ELNS1_11target_archE1200ELNS1_3gpuE4ELNS1_3repE0EEENS1_30default_config_static_selectorELNS0_4arch9wavefront6targetE1EEEvSO_ ; -- Begin function _ZN7rocprim17ROCPRIM_400000_NS6detail17trampoline_kernelINS0_14default_configENS1_29binary_search_config_selectorIsbEEZNS1_14transform_implILb0ES3_S5_N6thrust23THRUST_200600_302600_NS17counting_iteratorIsNS8_11use_defaultESA_SA_EEPbZNS1_13binary_searchIS3_S5_PsSB_SC_NS1_16binary_search_opENS8_6detail16wrapped_functionINS0_4lessIvEEbEEEE10hipError_tPvRmT1_T2_T3_mmT4_T5_P12ihipStream_tbEUlRKsE_EESL_SP_SQ_mSR_SU_bEUlT_E_NS1_11comp_targetILNS1_3genE10ELNS1_11target_archE1200ELNS1_3gpuE4ELNS1_3repE0EEENS1_30default_config_static_selectorELNS0_4arch9wavefront6targetE1EEEvSO_
	.globl	_ZN7rocprim17ROCPRIM_400000_NS6detail17trampoline_kernelINS0_14default_configENS1_29binary_search_config_selectorIsbEEZNS1_14transform_implILb0ES3_S5_N6thrust23THRUST_200600_302600_NS17counting_iteratorIsNS8_11use_defaultESA_SA_EEPbZNS1_13binary_searchIS3_S5_PsSB_SC_NS1_16binary_search_opENS8_6detail16wrapped_functionINS0_4lessIvEEbEEEE10hipError_tPvRmT1_T2_T3_mmT4_T5_P12ihipStream_tbEUlRKsE_EESL_SP_SQ_mSR_SU_bEUlT_E_NS1_11comp_targetILNS1_3genE10ELNS1_11target_archE1200ELNS1_3gpuE4ELNS1_3repE0EEENS1_30default_config_static_selectorELNS0_4arch9wavefront6targetE1EEEvSO_
	.p2align	8
	.type	_ZN7rocprim17ROCPRIM_400000_NS6detail17trampoline_kernelINS0_14default_configENS1_29binary_search_config_selectorIsbEEZNS1_14transform_implILb0ES3_S5_N6thrust23THRUST_200600_302600_NS17counting_iteratorIsNS8_11use_defaultESA_SA_EEPbZNS1_13binary_searchIS3_S5_PsSB_SC_NS1_16binary_search_opENS8_6detail16wrapped_functionINS0_4lessIvEEbEEEE10hipError_tPvRmT1_T2_T3_mmT4_T5_P12ihipStream_tbEUlRKsE_EESL_SP_SQ_mSR_SU_bEUlT_E_NS1_11comp_targetILNS1_3genE10ELNS1_11target_archE1200ELNS1_3gpuE4ELNS1_3repE0EEENS1_30default_config_static_selectorELNS0_4arch9wavefront6targetE1EEEvSO_,@function
_ZN7rocprim17ROCPRIM_400000_NS6detail17trampoline_kernelINS0_14default_configENS1_29binary_search_config_selectorIsbEEZNS1_14transform_implILb0ES3_S5_N6thrust23THRUST_200600_302600_NS17counting_iteratorIsNS8_11use_defaultESA_SA_EEPbZNS1_13binary_searchIS3_S5_PsSB_SC_NS1_16binary_search_opENS8_6detail16wrapped_functionINS0_4lessIvEEbEEEE10hipError_tPvRmT1_T2_T3_mmT4_T5_P12ihipStream_tbEUlRKsE_EESL_SP_SQ_mSR_SU_bEUlT_E_NS1_11comp_targetILNS1_3genE10ELNS1_11target_archE1200ELNS1_3gpuE4ELNS1_3repE0EEENS1_30default_config_static_selectorELNS0_4arch9wavefront6targetE1EEEvSO_: ; @_ZN7rocprim17ROCPRIM_400000_NS6detail17trampoline_kernelINS0_14default_configENS1_29binary_search_config_selectorIsbEEZNS1_14transform_implILb0ES3_S5_N6thrust23THRUST_200600_302600_NS17counting_iteratorIsNS8_11use_defaultESA_SA_EEPbZNS1_13binary_searchIS3_S5_PsSB_SC_NS1_16binary_search_opENS8_6detail16wrapped_functionINS0_4lessIvEEbEEEE10hipError_tPvRmT1_T2_T3_mmT4_T5_P12ihipStream_tbEUlRKsE_EESL_SP_SQ_mSR_SU_bEUlT_E_NS1_11comp_targetILNS1_3genE10ELNS1_11target_archE1200ELNS1_3gpuE4ELNS1_3repE0EEENS1_30default_config_static_selectorELNS0_4arch9wavefront6targetE1EEEvSO_
; %bb.0:
	.section	.rodata,"a",@progbits
	.p2align	6, 0x0
	.amdhsa_kernel _ZN7rocprim17ROCPRIM_400000_NS6detail17trampoline_kernelINS0_14default_configENS1_29binary_search_config_selectorIsbEEZNS1_14transform_implILb0ES3_S5_N6thrust23THRUST_200600_302600_NS17counting_iteratorIsNS8_11use_defaultESA_SA_EEPbZNS1_13binary_searchIS3_S5_PsSB_SC_NS1_16binary_search_opENS8_6detail16wrapped_functionINS0_4lessIvEEbEEEE10hipError_tPvRmT1_T2_T3_mmT4_T5_P12ihipStream_tbEUlRKsE_EESL_SP_SQ_mSR_SU_bEUlT_E_NS1_11comp_targetILNS1_3genE10ELNS1_11target_archE1200ELNS1_3gpuE4ELNS1_3repE0EEENS1_30default_config_static_selectorELNS0_4arch9wavefront6targetE1EEEvSO_
		.amdhsa_group_segment_fixed_size 0
		.amdhsa_private_segment_fixed_size 0
		.amdhsa_kernarg_size 56
		.amdhsa_user_sgpr_count 6
		.amdhsa_user_sgpr_private_segment_buffer 1
		.amdhsa_user_sgpr_dispatch_ptr 0
		.amdhsa_user_sgpr_queue_ptr 0
		.amdhsa_user_sgpr_kernarg_segment_ptr 1
		.amdhsa_user_sgpr_dispatch_id 0
		.amdhsa_user_sgpr_flat_scratch_init 0
		.amdhsa_user_sgpr_kernarg_preload_length 0
		.amdhsa_user_sgpr_kernarg_preload_offset 0
		.amdhsa_user_sgpr_private_segment_size 0
		.amdhsa_uses_dynamic_stack 0
		.amdhsa_system_sgpr_private_segment_wavefront_offset 0
		.amdhsa_system_sgpr_workgroup_id_x 1
		.amdhsa_system_sgpr_workgroup_id_y 0
		.amdhsa_system_sgpr_workgroup_id_z 0
		.amdhsa_system_sgpr_workgroup_info 0
		.amdhsa_system_vgpr_workitem_id 0
		.amdhsa_next_free_vgpr 1
		.amdhsa_next_free_sgpr 0
		.amdhsa_accum_offset 4
		.amdhsa_reserve_vcc 0
		.amdhsa_reserve_flat_scratch 0
		.amdhsa_float_round_mode_32 0
		.amdhsa_float_round_mode_16_64 0
		.amdhsa_float_denorm_mode_32 3
		.amdhsa_float_denorm_mode_16_64 3
		.amdhsa_dx10_clamp 1
		.amdhsa_ieee_mode 1
		.amdhsa_fp16_overflow 0
		.amdhsa_tg_split 0
		.amdhsa_exception_fp_ieee_invalid_op 0
		.amdhsa_exception_fp_denorm_src 0
		.amdhsa_exception_fp_ieee_div_zero 0
		.amdhsa_exception_fp_ieee_overflow 0
		.amdhsa_exception_fp_ieee_underflow 0
		.amdhsa_exception_fp_ieee_inexact 0
		.amdhsa_exception_int_div_zero 0
	.end_amdhsa_kernel
	.section	.text._ZN7rocprim17ROCPRIM_400000_NS6detail17trampoline_kernelINS0_14default_configENS1_29binary_search_config_selectorIsbEEZNS1_14transform_implILb0ES3_S5_N6thrust23THRUST_200600_302600_NS17counting_iteratorIsNS8_11use_defaultESA_SA_EEPbZNS1_13binary_searchIS3_S5_PsSB_SC_NS1_16binary_search_opENS8_6detail16wrapped_functionINS0_4lessIvEEbEEEE10hipError_tPvRmT1_T2_T3_mmT4_T5_P12ihipStream_tbEUlRKsE_EESL_SP_SQ_mSR_SU_bEUlT_E_NS1_11comp_targetILNS1_3genE10ELNS1_11target_archE1200ELNS1_3gpuE4ELNS1_3repE0EEENS1_30default_config_static_selectorELNS0_4arch9wavefront6targetE1EEEvSO_,"axG",@progbits,_ZN7rocprim17ROCPRIM_400000_NS6detail17trampoline_kernelINS0_14default_configENS1_29binary_search_config_selectorIsbEEZNS1_14transform_implILb0ES3_S5_N6thrust23THRUST_200600_302600_NS17counting_iteratorIsNS8_11use_defaultESA_SA_EEPbZNS1_13binary_searchIS3_S5_PsSB_SC_NS1_16binary_search_opENS8_6detail16wrapped_functionINS0_4lessIvEEbEEEE10hipError_tPvRmT1_T2_T3_mmT4_T5_P12ihipStream_tbEUlRKsE_EESL_SP_SQ_mSR_SU_bEUlT_E_NS1_11comp_targetILNS1_3genE10ELNS1_11target_archE1200ELNS1_3gpuE4ELNS1_3repE0EEENS1_30default_config_static_selectorELNS0_4arch9wavefront6targetE1EEEvSO_,comdat
.Lfunc_end246:
	.size	_ZN7rocprim17ROCPRIM_400000_NS6detail17trampoline_kernelINS0_14default_configENS1_29binary_search_config_selectorIsbEEZNS1_14transform_implILb0ES3_S5_N6thrust23THRUST_200600_302600_NS17counting_iteratorIsNS8_11use_defaultESA_SA_EEPbZNS1_13binary_searchIS3_S5_PsSB_SC_NS1_16binary_search_opENS8_6detail16wrapped_functionINS0_4lessIvEEbEEEE10hipError_tPvRmT1_T2_T3_mmT4_T5_P12ihipStream_tbEUlRKsE_EESL_SP_SQ_mSR_SU_bEUlT_E_NS1_11comp_targetILNS1_3genE10ELNS1_11target_archE1200ELNS1_3gpuE4ELNS1_3repE0EEENS1_30default_config_static_selectorELNS0_4arch9wavefront6targetE1EEEvSO_, .Lfunc_end246-_ZN7rocprim17ROCPRIM_400000_NS6detail17trampoline_kernelINS0_14default_configENS1_29binary_search_config_selectorIsbEEZNS1_14transform_implILb0ES3_S5_N6thrust23THRUST_200600_302600_NS17counting_iteratorIsNS8_11use_defaultESA_SA_EEPbZNS1_13binary_searchIS3_S5_PsSB_SC_NS1_16binary_search_opENS8_6detail16wrapped_functionINS0_4lessIvEEbEEEE10hipError_tPvRmT1_T2_T3_mmT4_T5_P12ihipStream_tbEUlRKsE_EESL_SP_SQ_mSR_SU_bEUlT_E_NS1_11comp_targetILNS1_3genE10ELNS1_11target_archE1200ELNS1_3gpuE4ELNS1_3repE0EEENS1_30default_config_static_selectorELNS0_4arch9wavefront6targetE1EEEvSO_
                                        ; -- End function
	.section	.AMDGPU.csdata,"",@progbits
; Kernel info:
; codeLenInByte = 0
; NumSgprs: 4
; NumVgprs: 0
; NumAgprs: 0
; TotalNumVgprs: 0
; ScratchSize: 0
; MemoryBound: 0
; FloatMode: 240
; IeeeMode: 1
; LDSByteSize: 0 bytes/workgroup (compile time only)
; SGPRBlocks: 0
; VGPRBlocks: 0
; NumSGPRsForWavesPerEU: 4
; NumVGPRsForWavesPerEU: 1
; AccumOffset: 4
; Occupancy: 8
; WaveLimiterHint : 0
; COMPUTE_PGM_RSRC2:SCRATCH_EN: 0
; COMPUTE_PGM_RSRC2:USER_SGPR: 6
; COMPUTE_PGM_RSRC2:TRAP_HANDLER: 0
; COMPUTE_PGM_RSRC2:TGID_X_EN: 1
; COMPUTE_PGM_RSRC2:TGID_Y_EN: 0
; COMPUTE_PGM_RSRC2:TGID_Z_EN: 0
; COMPUTE_PGM_RSRC2:TIDIG_COMP_CNT: 0
; COMPUTE_PGM_RSRC3_GFX90A:ACCUM_OFFSET: 0
; COMPUTE_PGM_RSRC3_GFX90A:TG_SPLIT: 0
	.section	.text._ZN7rocprim17ROCPRIM_400000_NS6detail17trampoline_kernelINS0_14default_configENS1_29binary_search_config_selectorIsbEEZNS1_14transform_implILb0ES3_S5_N6thrust23THRUST_200600_302600_NS17counting_iteratorIsNS8_11use_defaultESA_SA_EEPbZNS1_13binary_searchIS3_S5_PsSB_SC_NS1_16binary_search_opENS8_6detail16wrapped_functionINS0_4lessIvEEbEEEE10hipError_tPvRmT1_T2_T3_mmT4_T5_P12ihipStream_tbEUlRKsE_EESL_SP_SQ_mSR_SU_bEUlT_E_NS1_11comp_targetILNS1_3genE9ELNS1_11target_archE1100ELNS1_3gpuE3ELNS1_3repE0EEENS1_30default_config_static_selectorELNS0_4arch9wavefront6targetE1EEEvSO_,"axG",@progbits,_ZN7rocprim17ROCPRIM_400000_NS6detail17trampoline_kernelINS0_14default_configENS1_29binary_search_config_selectorIsbEEZNS1_14transform_implILb0ES3_S5_N6thrust23THRUST_200600_302600_NS17counting_iteratorIsNS8_11use_defaultESA_SA_EEPbZNS1_13binary_searchIS3_S5_PsSB_SC_NS1_16binary_search_opENS8_6detail16wrapped_functionINS0_4lessIvEEbEEEE10hipError_tPvRmT1_T2_T3_mmT4_T5_P12ihipStream_tbEUlRKsE_EESL_SP_SQ_mSR_SU_bEUlT_E_NS1_11comp_targetILNS1_3genE9ELNS1_11target_archE1100ELNS1_3gpuE3ELNS1_3repE0EEENS1_30default_config_static_selectorELNS0_4arch9wavefront6targetE1EEEvSO_,comdat
	.protected	_ZN7rocprim17ROCPRIM_400000_NS6detail17trampoline_kernelINS0_14default_configENS1_29binary_search_config_selectorIsbEEZNS1_14transform_implILb0ES3_S5_N6thrust23THRUST_200600_302600_NS17counting_iteratorIsNS8_11use_defaultESA_SA_EEPbZNS1_13binary_searchIS3_S5_PsSB_SC_NS1_16binary_search_opENS8_6detail16wrapped_functionINS0_4lessIvEEbEEEE10hipError_tPvRmT1_T2_T3_mmT4_T5_P12ihipStream_tbEUlRKsE_EESL_SP_SQ_mSR_SU_bEUlT_E_NS1_11comp_targetILNS1_3genE9ELNS1_11target_archE1100ELNS1_3gpuE3ELNS1_3repE0EEENS1_30default_config_static_selectorELNS0_4arch9wavefront6targetE1EEEvSO_ ; -- Begin function _ZN7rocprim17ROCPRIM_400000_NS6detail17trampoline_kernelINS0_14default_configENS1_29binary_search_config_selectorIsbEEZNS1_14transform_implILb0ES3_S5_N6thrust23THRUST_200600_302600_NS17counting_iteratorIsNS8_11use_defaultESA_SA_EEPbZNS1_13binary_searchIS3_S5_PsSB_SC_NS1_16binary_search_opENS8_6detail16wrapped_functionINS0_4lessIvEEbEEEE10hipError_tPvRmT1_T2_T3_mmT4_T5_P12ihipStream_tbEUlRKsE_EESL_SP_SQ_mSR_SU_bEUlT_E_NS1_11comp_targetILNS1_3genE9ELNS1_11target_archE1100ELNS1_3gpuE3ELNS1_3repE0EEENS1_30default_config_static_selectorELNS0_4arch9wavefront6targetE1EEEvSO_
	.globl	_ZN7rocprim17ROCPRIM_400000_NS6detail17trampoline_kernelINS0_14default_configENS1_29binary_search_config_selectorIsbEEZNS1_14transform_implILb0ES3_S5_N6thrust23THRUST_200600_302600_NS17counting_iteratorIsNS8_11use_defaultESA_SA_EEPbZNS1_13binary_searchIS3_S5_PsSB_SC_NS1_16binary_search_opENS8_6detail16wrapped_functionINS0_4lessIvEEbEEEE10hipError_tPvRmT1_T2_T3_mmT4_T5_P12ihipStream_tbEUlRKsE_EESL_SP_SQ_mSR_SU_bEUlT_E_NS1_11comp_targetILNS1_3genE9ELNS1_11target_archE1100ELNS1_3gpuE3ELNS1_3repE0EEENS1_30default_config_static_selectorELNS0_4arch9wavefront6targetE1EEEvSO_
	.p2align	8
	.type	_ZN7rocprim17ROCPRIM_400000_NS6detail17trampoline_kernelINS0_14default_configENS1_29binary_search_config_selectorIsbEEZNS1_14transform_implILb0ES3_S5_N6thrust23THRUST_200600_302600_NS17counting_iteratorIsNS8_11use_defaultESA_SA_EEPbZNS1_13binary_searchIS3_S5_PsSB_SC_NS1_16binary_search_opENS8_6detail16wrapped_functionINS0_4lessIvEEbEEEE10hipError_tPvRmT1_T2_T3_mmT4_T5_P12ihipStream_tbEUlRKsE_EESL_SP_SQ_mSR_SU_bEUlT_E_NS1_11comp_targetILNS1_3genE9ELNS1_11target_archE1100ELNS1_3gpuE3ELNS1_3repE0EEENS1_30default_config_static_selectorELNS0_4arch9wavefront6targetE1EEEvSO_,@function
_ZN7rocprim17ROCPRIM_400000_NS6detail17trampoline_kernelINS0_14default_configENS1_29binary_search_config_selectorIsbEEZNS1_14transform_implILb0ES3_S5_N6thrust23THRUST_200600_302600_NS17counting_iteratorIsNS8_11use_defaultESA_SA_EEPbZNS1_13binary_searchIS3_S5_PsSB_SC_NS1_16binary_search_opENS8_6detail16wrapped_functionINS0_4lessIvEEbEEEE10hipError_tPvRmT1_T2_T3_mmT4_T5_P12ihipStream_tbEUlRKsE_EESL_SP_SQ_mSR_SU_bEUlT_E_NS1_11comp_targetILNS1_3genE9ELNS1_11target_archE1100ELNS1_3gpuE3ELNS1_3repE0EEENS1_30default_config_static_selectorELNS0_4arch9wavefront6targetE1EEEvSO_: ; @_ZN7rocprim17ROCPRIM_400000_NS6detail17trampoline_kernelINS0_14default_configENS1_29binary_search_config_selectorIsbEEZNS1_14transform_implILb0ES3_S5_N6thrust23THRUST_200600_302600_NS17counting_iteratorIsNS8_11use_defaultESA_SA_EEPbZNS1_13binary_searchIS3_S5_PsSB_SC_NS1_16binary_search_opENS8_6detail16wrapped_functionINS0_4lessIvEEbEEEE10hipError_tPvRmT1_T2_T3_mmT4_T5_P12ihipStream_tbEUlRKsE_EESL_SP_SQ_mSR_SU_bEUlT_E_NS1_11comp_targetILNS1_3genE9ELNS1_11target_archE1100ELNS1_3gpuE3ELNS1_3repE0EEENS1_30default_config_static_selectorELNS0_4arch9wavefront6targetE1EEEvSO_
; %bb.0:
	.section	.rodata,"a",@progbits
	.p2align	6, 0x0
	.amdhsa_kernel _ZN7rocprim17ROCPRIM_400000_NS6detail17trampoline_kernelINS0_14default_configENS1_29binary_search_config_selectorIsbEEZNS1_14transform_implILb0ES3_S5_N6thrust23THRUST_200600_302600_NS17counting_iteratorIsNS8_11use_defaultESA_SA_EEPbZNS1_13binary_searchIS3_S5_PsSB_SC_NS1_16binary_search_opENS8_6detail16wrapped_functionINS0_4lessIvEEbEEEE10hipError_tPvRmT1_T2_T3_mmT4_T5_P12ihipStream_tbEUlRKsE_EESL_SP_SQ_mSR_SU_bEUlT_E_NS1_11comp_targetILNS1_3genE9ELNS1_11target_archE1100ELNS1_3gpuE3ELNS1_3repE0EEENS1_30default_config_static_selectorELNS0_4arch9wavefront6targetE1EEEvSO_
		.amdhsa_group_segment_fixed_size 0
		.amdhsa_private_segment_fixed_size 0
		.amdhsa_kernarg_size 56
		.amdhsa_user_sgpr_count 6
		.amdhsa_user_sgpr_private_segment_buffer 1
		.amdhsa_user_sgpr_dispatch_ptr 0
		.amdhsa_user_sgpr_queue_ptr 0
		.amdhsa_user_sgpr_kernarg_segment_ptr 1
		.amdhsa_user_sgpr_dispatch_id 0
		.amdhsa_user_sgpr_flat_scratch_init 0
		.amdhsa_user_sgpr_kernarg_preload_length 0
		.amdhsa_user_sgpr_kernarg_preload_offset 0
		.amdhsa_user_sgpr_private_segment_size 0
		.amdhsa_uses_dynamic_stack 0
		.amdhsa_system_sgpr_private_segment_wavefront_offset 0
		.amdhsa_system_sgpr_workgroup_id_x 1
		.amdhsa_system_sgpr_workgroup_id_y 0
		.amdhsa_system_sgpr_workgroup_id_z 0
		.amdhsa_system_sgpr_workgroup_info 0
		.amdhsa_system_vgpr_workitem_id 0
		.amdhsa_next_free_vgpr 1
		.amdhsa_next_free_sgpr 0
		.amdhsa_accum_offset 4
		.amdhsa_reserve_vcc 0
		.amdhsa_reserve_flat_scratch 0
		.amdhsa_float_round_mode_32 0
		.amdhsa_float_round_mode_16_64 0
		.amdhsa_float_denorm_mode_32 3
		.amdhsa_float_denorm_mode_16_64 3
		.amdhsa_dx10_clamp 1
		.amdhsa_ieee_mode 1
		.amdhsa_fp16_overflow 0
		.amdhsa_tg_split 0
		.amdhsa_exception_fp_ieee_invalid_op 0
		.amdhsa_exception_fp_denorm_src 0
		.amdhsa_exception_fp_ieee_div_zero 0
		.amdhsa_exception_fp_ieee_overflow 0
		.amdhsa_exception_fp_ieee_underflow 0
		.amdhsa_exception_fp_ieee_inexact 0
		.amdhsa_exception_int_div_zero 0
	.end_amdhsa_kernel
	.section	.text._ZN7rocprim17ROCPRIM_400000_NS6detail17trampoline_kernelINS0_14default_configENS1_29binary_search_config_selectorIsbEEZNS1_14transform_implILb0ES3_S5_N6thrust23THRUST_200600_302600_NS17counting_iteratorIsNS8_11use_defaultESA_SA_EEPbZNS1_13binary_searchIS3_S5_PsSB_SC_NS1_16binary_search_opENS8_6detail16wrapped_functionINS0_4lessIvEEbEEEE10hipError_tPvRmT1_T2_T3_mmT4_T5_P12ihipStream_tbEUlRKsE_EESL_SP_SQ_mSR_SU_bEUlT_E_NS1_11comp_targetILNS1_3genE9ELNS1_11target_archE1100ELNS1_3gpuE3ELNS1_3repE0EEENS1_30default_config_static_selectorELNS0_4arch9wavefront6targetE1EEEvSO_,"axG",@progbits,_ZN7rocprim17ROCPRIM_400000_NS6detail17trampoline_kernelINS0_14default_configENS1_29binary_search_config_selectorIsbEEZNS1_14transform_implILb0ES3_S5_N6thrust23THRUST_200600_302600_NS17counting_iteratorIsNS8_11use_defaultESA_SA_EEPbZNS1_13binary_searchIS3_S5_PsSB_SC_NS1_16binary_search_opENS8_6detail16wrapped_functionINS0_4lessIvEEbEEEE10hipError_tPvRmT1_T2_T3_mmT4_T5_P12ihipStream_tbEUlRKsE_EESL_SP_SQ_mSR_SU_bEUlT_E_NS1_11comp_targetILNS1_3genE9ELNS1_11target_archE1100ELNS1_3gpuE3ELNS1_3repE0EEENS1_30default_config_static_selectorELNS0_4arch9wavefront6targetE1EEEvSO_,comdat
.Lfunc_end247:
	.size	_ZN7rocprim17ROCPRIM_400000_NS6detail17trampoline_kernelINS0_14default_configENS1_29binary_search_config_selectorIsbEEZNS1_14transform_implILb0ES3_S5_N6thrust23THRUST_200600_302600_NS17counting_iteratorIsNS8_11use_defaultESA_SA_EEPbZNS1_13binary_searchIS3_S5_PsSB_SC_NS1_16binary_search_opENS8_6detail16wrapped_functionINS0_4lessIvEEbEEEE10hipError_tPvRmT1_T2_T3_mmT4_T5_P12ihipStream_tbEUlRKsE_EESL_SP_SQ_mSR_SU_bEUlT_E_NS1_11comp_targetILNS1_3genE9ELNS1_11target_archE1100ELNS1_3gpuE3ELNS1_3repE0EEENS1_30default_config_static_selectorELNS0_4arch9wavefront6targetE1EEEvSO_, .Lfunc_end247-_ZN7rocprim17ROCPRIM_400000_NS6detail17trampoline_kernelINS0_14default_configENS1_29binary_search_config_selectorIsbEEZNS1_14transform_implILb0ES3_S5_N6thrust23THRUST_200600_302600_NS17counting_iteratorIsNS8_11use_defaultESA_SA_EEPbZNS1_13binary_searchIS3_S5_PsSB_SC_NS1_16binary_search_opENS8_6detail16wrapped_functionINS0_4lessIvEEbEEEE10hipError_tPvRmT1_T2_T3_mmT4_T5_P12ihipStream_tbEUlRKsE_EESL_SP_SQ_mSR_SU_bEUlT_E_NS1_11comp_targetILNS1_3genE9ELNS1_11target_archE1100ELNS1_3gpuE3ELNS1_3repE0EEENS1_30default_config_static_selectorELNS0_4arch9wavefront6targetE1EEEvSO_
                                        ; -- End function
	.section	.AMDGPU.csdata,"",@progbits
; Kernel info:
; codeLenInByte = 0
; NumSgprs: 4
; NumVgprs: 0
; NumAgprs: 0
; TotalNumVgprs: 0
; ScratchSize: 0
; MemoryBound: 0
; FloatMode: 240
; IeeeMode: 1
; LDSByteSize: 0 bytes/workgroup (compile time only)
; SGPRBlocks: 0
; VGPRBlocks: 0
; NumSGPRsForWavesPerEU: 4
; NumVGPRsForWavesPerEU: 1
; AccumOffset: 4
; Occupancy: 8
; WaveLimiterHint : 0
; COMPUTE_PGM_RSRC2:SCRATCH_EN: 0
; COMPUTE_PGM_RSRC2:USER_SGPR: 6
; COMPUTE_PGM_RSRC2:TRAP_HANDLER: 0
; COMPUTE_PGM_RSRC2:TGID_X_EN: 1
; COMPUTE_PGM_RSRC2:TGID_Y_EN: 0
; COMPUTE_PGM_RSRC2:TGID_Z_EN: 0
; COMPUTE_PGM_RSRC2:TIDIG_COMP_CNT: 0
; COMPUTE_PGM_RSRC3_GFX90A:ACCUM_OFFSET: 0
; COMPUTE_PGM_RSRC3_GFX90A:TG_SPLIT: 0
	.section	.text._ZN7rocprim17ROCPRIM_400000_NS6detail17trampoline_kernelINS0_14default_configENS1_29binary_search_config_selectorIsbEEZNS1_14transform_implILb0ES3_S5_N6thrust23THRUST_200600_302600_NS17counting_iteratorIsNS8_11use_defaultESA_SA_EEPbZNS1_13binary_searchIS3_S5_PsSB_SC_NS1_16binary_search_opENS8_6detail16wrapped_functionINS0_4lessIvEEbEEEE10hipError_tPvRmT1_T2_T3_mmT4_T5_P12ihipStream_tbEUlRKsE_EESL_SP_SQ_mSR_SU_bEUlT_E_NS1_11comp_targetILNS1_3genE8ELNS1_11target_archE1030ELNS1_3gpuE2ELNS1_3repE0EEENS1_30default_config_static_selectorELNS0_4arch9wavefront6targetE1EEEvSO_,"axG",@progbits,_ZN7rocprim17ROCPRIM_400000_NS6detail17trampoline_kernelINS0_14default_configENS1_29binary_search_config_selectorIsbEEZNS1_14transform_implILb0ES3_S5_N6thrust23THRUST_200600_302600_NS17counting_iteratorIsNS8_11use_defaultESA_SA_EEPbZNS1_13binary_searchIS3_S5_PsSB_SC_NS1_16binary_search_opENS8_6detail16wrapped_functionINS0_4lessIvEEbEEEE10hipError_tPvRmT1_T2_T3_mmT4_T5_P12ihipStream_tbEUlRKsE_EESL_SP_SQ_mSR_SU_bEUlT_E_NS1_11comp_targetILNS1_3genE8ELNS1_11target_archE1030ELNS1_3gpuE2ELNS1_3repE0EEENS1_30default_config_static_selectorELNS0_4arch9wavefront6targetE1EEEvSO_,comdat
	.protected	_ZN7rocprim17ROCPRIM_400000_NS6detail17trampoline_kernelINS0_14default_configENS1_29binary_search_config_selectorIsbEEZNS1_14transform_implILb0ES3_S5_N6thrust23THRUST_200600_302600_NS17counting_iteratorIsNS8_11use_defaultESA_SA_EEPbZNS1_13binary_searchIS3_S5_PsSB_SC_NS1_16binary_search_opENS8_6detail16wrapped_functionINS0_4lessIvEEbEEEE10hipError_tPvRmT1_T2_T3_mmT4_T5_P12ihipStream_tbEUlRKsE_EESL_SP_SQ_mSR_SU_bEUlT_E_NS1_11comp_targetILNS1_3genE8ELNS1_11target_archE1030ELNS1_3gpuE2ELNS1_3repE0EEENS1_30default_config_static_selectorELNS0_4arch9wavefront6targetE1EEEvSO_ ; -- Begin function _ZN7rocprim17ROCPRIM_400000_NS6detail17trampoline_kernelINS0_14default_configENS1_29binary_search_config_selectorIsbEEZNS1_14transform_implILb0ES3_S5_N6thrust23THRUST_200600_302600_NS17counting_iteratorIsNS8_11use_defaultESA_SA_EEPbZNS1_13binary_searchIS3_S5_PsSB_SC_NS1_16binary_search_opENS8_6detail16wrapped_functionINS0_4lessIvEEbEEEE10hipError_tPvRmT1_T2_T3_mmT4_T5_P12ihipStream_tbEUlRKsE_EESL_SP_SQ_mSR_SU_bEUlT_E_NS1_11comp_targetILNS1_3genE8ELNS1_11target_archE1030ELNS1_3gpuE2ELNS1_3repE0EEENS1_30default_config_static_selectorELNS0_4arch9wavefront6targetE1EEEvSO_
	.globl	_ZN7rocprim17ROCPRIM_400000_NS6detail17trampoline_kernelINS0_14default_configENS1_29binary_search_config_selectorIsbEEZNS1_14transform_implILb0ES3_S5_N6thrust23THRUST_200600_302600_NS17counting_iteratorIsNS8_11use_defaultESA_SA_EEPbZNS1_13binary_searchIS3_S5_PsSB_SC_NS1_16binary_search_opENS8_6detail16wrapped_functionINS0_4lessIvEEbEEEE10hipError_tPvRmT1_T2_T3_mmT4_T5_P12ihipStream_tbEUlRKsE_EESL_SP_SQ_mSR_SU_bEUlT_E_NS1_11comp_targetILNS1_3genE8ELNS1_11target_archE1030ELNS1_3gpuE2ELNS1_3repE0EEENS1_30default_config_static_selectorELNS0_4arch9wavefront6targetE1EEEvSO_
	.p2align	8
	.type	_ZN7rocprim17ROCPRIM_400000_NS6detail17trampoline_kernelINS0_14default_configENS1_29binary_search_config_selectorIsbEEZNS1_14transform_implILb0ES3_S5_N6thrust23THRUST_200600_302600_NS17counting_iteratorIsNS8_11use_defaultESA_SA_EEPbZNS1_13binary_searchIS3_S5_PsSB_SC_NS1_16binary_search_opENS8_6detail16wrapped_functionINS0_4lessIvEEbEEEE10hipError_tPvRmT1_T2_T3_mmT4_T5_P12ihipStream_tbEUlRKsE_EESL_SP_SQ_mSR_SU_bEUlT_E_NS1_11comp_targetILNS1_3genE8ELNS1_11target_archE1030ELNS1_3gpuE2ELNS1_3repE0EEENS1_30default_config_static_selectorELNS0_4arch9wavefront6targetE1EEEvSO_,@function
_ZN7rocprim17ROCPRIM_400000_NS6detail17trampoline_kernelINS0_14default_configENS1_29binary_search_config_selectorIsbEEZNS1_14transform_implILb0ES3_S5_N6thrust23THRUST_200600_302600_NS17counting_iteratorIsNS8_11use_defaultESA_SA_EEPbZNS1_13binary_searchIS3_S5_PsSB_SC_NS1_16binary_search_opENS8_6detail16wrapped_functionINS0_4lessIvEEbEEEE10hipError_tPvRmT1_T2_T3_mmT4_T5_P12ihipStream_tbEUlRKsE_EESL_SP_SQ_mSR_SU_bEUlT_E_NS1_11comp_targetILNS1_3genE8ELNS1_11target_archE1030ELNS1_3gpuE2ELNS1_3repE0EEENS1_30default_config_static_selectorELNS0_4arch9wavefront6targetE1EEEvSO_: ; @_ZN7rocprim17ROCPRIM_400000_NS6detail17trampoline_kernelINS0_14default_configENS1_29binary_search_config_selectorIsbEEZNS1_14transform_implILb0ES3_S5_N6thrust23THRUST_200600_302600_NS17counting_iteratorIsNS8_11use_defaultESA_SA_EEPbZNS1_13binary_searchIS3_S5_PsSB_SC_NS1_16binary_search_opENS8_6detail16wrapped_functionINS0_4lessIvEEbEEEE10hipError_tPvRmT1_T2_T3_mmT4_T5_P12ihipStream_tbEUlRKsE_EESL_SP_SQ_mSR_SU_bEUlT_E_NS1_11comp_targetILNS1_3genE8ELNS1_11target_archE1030ELNS1_3gpuE2ELNS1_3repE0EEENS1_30default_config_static_selectorELNS0_4arch9wavefront6targetE1EEEvSO_
; %bb.0:
	.section	.rodata,"a",@progbits
	.p2align	6, 0x0
	.amdhsa_kernel _ZN7rocprim17ROCPRIM_400000_NS6detail17trampoline_kernelINS0_14default_configENS1_29binary_search_config_selectorIsbEEZNS1_14transform_implILb0ES3_S5_N6thrust23THRUST_200600_302600_NS17counting_iteratorIsNS8_11use_defaultESA_SA_EEPbZNS1_13binary_searchIS3_S5_PsSB_SC_NS1_16binary_search_opENS8_6detail16wrapped_functionINS0_4lessIvEEbEEEE10hipError_tPvRmT1_T2_T3_mmT4_T5_P12ihipStream_tbEUlRKsE_EESL_SP_SQ_mSR_SU_bEUlT_E_NS1_11comp_targetILNS1_3genE8ELNS1_11target_archE1030ELNS1_3gpuE2ELNS1_3repE0EEENS1_30default_config_static_selectorELNS0_4arch9wavefront6targetE1EEEvSO_
		.amdhsa_group_segment_fixed_size 0
		.amdhsa_private_segment_fixed_size 0
		.amdhsa_kernarg_size 56
		.amdhsa_user_sgpr_count 6
		.amdhsa_user_sgpr_private_segment_buffer 1
		.amdhsa_user_sgpr_dispatch_ptr 0
		.amdhsa_user_sgpr_queue_ptr 0
		.amdhsa_user_sgpr_kernarg_segment_ptr 1
		.amdhsa_user_sgpr_dispatch_id 0
		.amdhsa_user_sgpr_flat_scratch_init 0
		.amdhsa_user_sgpr_kernarg_preload_length 0
		.amdhsa_user_sgpr_kernarg_preload_offset 0
		.amdhsa_user_sgpr_private_segment_size 0
		.amdhsa_uses_dynamic_stack 0
		.amdhsa_system_sgpr_private_segment_wavefront_offset 0
		.amdhsa_system_sgpr_workgroup_id_x 1
		.amdhsa_system_sgpr_workgroup_id_y 0
		.amdhsa_system_sgpr_workgroup_id_z 0
		.amdhsa_system_sgpr_workgroup_info 0
		.amdhsa_system_vgpr_workitem_id 0
		.amdhsa_next_free_vgpr 1
		.amdhsa_next_free_sgpr 0
		.amdhsa_accum_offset 4
		.amdhsa_reserve_vcc 0
		.amdhsa_reserve_flat_scratch 0
		.amdhsa_float_round_mode_32 0
		.amdhsa_float_round_mode_16_64 0
		.amdhsa_float_denorm_mode_32 3
		.amdhsa_float_denorm_mode_16_64 3
		.amdhsa_dx10_clamp 1
		.amdhsa_ieee_mode 1
		.amdhsa_fp16_overflow 0
		.amdhsa_tg_split 0
		.amdhsa_exception_fp_ieee_invalid_op 0
		.amdhsa_exception_fp_denorm_src 0
		.amdhsa_exception_fp_ieee_div_zero 0
		.amdhsa_exception_fp_ieee_overflow 0
		.amdhsa_exception_fp_ieee_underflow 0
		.amdhsa_exception_fp_ieee_inexact 0
		.amdhsa_exception_int_div_zero 0
	.end_amdhsa_kernel
	.section	.text._ZN7rocprim17ROCPRIM_400000_NS6detail17trampoline_kernelINS0_14default_configENS1_29binary_search_config_selectorIsbEEZNS1_14transform_implILb0ES3_S5_N6thrust23THRUST_200600_302600_NS17counting_iteratorIsNS8_11use_defaultESA_SA_EEPbZNS1_13binary_searchIS3_S5_PsSB_SC_NS1_16binary_search_opENS8_6detail16wrapped_functionINS0_4lessIvEEbEEEE10hipError_tPvRmT1_T2_T3_mmT4_T5_P12ihipStream_tbEUlRKsE_EESL_SP_SQ_mSR_SU_bEUlT_E_NS1_11comp_targetILNS1_3genE8ELNS1_11target_archE1030ELNS1_3gpuE2ELNS1_3repE0EEENS1_30default_config_static_selectorELNS0_4arch9wavefront6targetE1EEEvSO_,"axG",@progbits,_ZN7rocprim17ROCPRIM_400000_NS6detail17trampoline_kernelINS0_14default_configENS1_29binary_search_config_selectorIsbEEZNS1_14transform_implILb0ES3_S5_N6thrust23THRUST_200600_302600_NS17counting_iteratorIsNS8_11use_defaultESA_SA_EEPbZNS1_13binary_searchIS3_S5_PsSB_SC_NS1_16binary_search_opENS8_6detail16wrapped_functionINS0_4lessIvEEbEEEE10hipError_tPvRmT1_T2_T3_mmT4_T5_P12ihipStream_tbEUlRKsE_EESL_SP_SQ_mSR_SU_bEUlT_E_NS1_11comp_targetILNS1_3genE8ELNS1_11target_archE1030ELNS1_3gpuE2ELNS1_3repE0EEENS1_30default_config_static_selectorELNS0_4arch9wavefront6targetE1EEEvSO_,comdat
.Lfunc_end248:
	.size	_ZN7rocprim17ROCPRIM_400000_NS6detail17trampoline_kernelINS0_14default_configENS1_29binary_search_config_selectorIsbEEZNS1_14transform_implILb0ES3_S5_N6thrust23THRUST_200600_302600_NS17counting_iteratorIsNS8_11use_defaultESA_SA_EEPbZNS1_13binary_searchIS3_S5_PsSB_SC_NS1_16binary_search_opENS8_6detail16wrapped_functionINS0_4lessIvEEbEEEE10hipError_tPvRmT1_T2_T3_mmT4_T5_P12ihipStream_tbEUlRKsE_EESL_SP_SQ_mSR_SU_bEUlT_E_NS1_11comp_targetILNS1_3genE8ELNS1_11target_archE1030ELNS1_3gpuE2ELNS1_3repE0EEENS1_30default_config_static_selectorELNS0_4arch9wavefront6targetE1EEEvSO_, .Lfunc_end248-_ZN7rocprim17ROCPRIM_400000_NS6detail17trampoline_kernelINS0_14default_configENS1_29binary_search_config_selectorIsbEEZNS1_14transform_implILb0ES3_S5_N6thrust23THRUST_200600_302600_NS17counting_iteratorIsNS8_11use_defaultESA_SA_EEPbZNS1_13binary_searchIS3_S5_PsSB_SC_NS1_16binary_search_opENS8_6detail16wrapped_functionINS0_4lessIvEEbEEEE10hipError_tPvRmT1_T2_T3_mmT4_T5_P12ihipStream_tbEUlRKsE_EESL_SP_SQ_mSR_SU_bEUlT_E_NS1_11comp_targetILNS1_3genE8ELNS1_11target_archE1030ELNS1_3gpuE2ELNS1_3repE0EEENS1_30default_config_static_selectorELNS0_4arch9wavefront6targetE1EEEvSO_
                                        ; -- End function
	.section	.AMDGPU.csdata,"",@progbits
; Kernel info:
; codeLenInByte = 0
; NumSgprs: 4
; NumVgprs: 0
; NumAgprs: 0
; TotalNumVgprs: 0
; ScratchSize: 0
; MemoryBound: 0
; FloatMode: 240
; IeeeMode: 1
; LDSByteSize: 0 bytes/workgroup (compile time only)
; SGPRBlocks: 0
; VGPRBlocks: 0
; NumSGPRsForWavesPerEU: 4
; NumVGPRsForWavesPerEU: 1
; AccumOffset: 4
; Occupancy: 8
; WaveLimiterHint : 0
; COMPUTE_PGM_RSRC2:SCRATCH_EN: 0
; COMPUTE_PGM_RSRC2:USER_SGPR: 6
; COMPUTE_PGM_RSRC2:TRAP_HANDLER: 0
; COMPUTE_PGM_RSRC2:TGID_X_EN: 1
; COMPUTE_PGM_RSRC2:TGID_Y_EN: 0
; COMPUTE_PGM_RSRC2:TGID_Z_EN: 0
; COMPUTE_PGM_RSRC2:TIDIG_COMP_CNT: 0
; COMPUTE_PGM_RSRC3_GFX90A:ACCUM_OFFSET: 0
; COMPUTE_PGM_RSRC3_GFX90A:TG_SPLIT: 0
	.section	.text._ZN6thrust23THRUST_200600_302600_NS11hip_rocprim14__parallel_for6kernelILj256ENS1_10__tabulate7functorINS0_6detail15normal_iteratorINS0_10device_ptrIdEEEENS0_6system6detail7generic6detail22compute_sequence_valueIdvEElEElLj1EEEvT0_T1_SJ_,"axG",@progbits,_ZN6thrust23THRUST_200600_302600_NS11hip_rocprim14__parallel_for6kernelILj256ENS1_10__tabulate7functorINS0_6detail15normal_iteratorINS0_10device_ptrIdEEEENS0_6system6detail7generic6detail22compute_sequence_valueIdvEElEElLj1EEEvT0_T1_SJ_,comdat
	.protected	_ZN6thrust23THRUST_200600_302600_NS11hip_rocprim14__parallel_for6kernelILj256ENS1_10__tabulate7functorINS0_6detail15normal_iteratorINS0_10device_ptrIdEEEENS0_6system6detail7generic6detail22compute_sequence_valueIdvEElEElLj1EEEvT0_T1_SJ_ ; -- Begin function _ZN6thrust23THRUST_200600_302600_NS11hip_rocprim14__parallel_for6kernelILj256ENS1_10__tabulate7functorINS0_6detail15normal_iteratorINS0_10device_ptrIdEEEENS0_6system6detail7generic6detail22compute_sequence_valueIdvEElEElLj1EEEvT0_T1_SJ_
	.globl	_ZN6thrust23THRUST_200600_302600_NS11hip_rocprim14__parallel_for6kernelILj256ENS1_10__tabulate7functorINS0_6detail15normal_iteratorINS0_10device_ptrIdEEEENS0_6system6detail7generic6detail22compute_sequence_valueIdvEElEElLj1EEEvT0_T1_SJ_
	.p2align	8
	.type	_ZN6thrust23THRUST_200600_302600_NS11hip_rocprim14__parallel_for6kernelILj256ENS1_10__tabulate7functorINS0_6detail15normal_iteratorINS0_10device_ptrIdEEEENS0_6system6detail7generic6detail22compute_sequence_valueIdvEElEElLj1EEEvT0_T1_SJ_,@function
_ZN6thrust23THRUST_200600_302600_NS11hip_rocprim14__parallel_for6kernelILj256ENS1_10__tabulate7functorINS0_6detail15normal_iteratorINS0_10device_ptrIdEEEENS0_6system6detail7generic6detail22compute_sequence_valueIdvEElEElLj1EEEvT0_T1_SJ_: ; @_ZN6thrust23THRUST_200600_302600_NS11hip_rocprim14__parallel_for6kernelILj256ENS1_10__tabulate7functorINS0_6detail15normal_iteratorINS0_10device_ptrIdEEEENS0_6system6detail7generic6detail22compute_sequence_valueIdvEElEElLj1EEEvT0_T1_SJ_
; %bb.0:
	s_load_dwordx2 s[0:1], s[4:5], 0x20
	s_load_dwordx8 s[8:15], s[4:5], 0x0
	s_lshl_b32 s2, s6, 8
	v_mov_b32_e32 v2, 0x100
	v_mov_b32_e32 v3, 0
	s_waitcnt lgkmcnt(0)
	s_add_u32 s2, s2, s0
	s_addc_u32 s3, 0, s1
	s_sub_u32 s0, s14, s2
	s_subb_u32 s1, s15, s3
	v_cmp_lt_i64_e32 vcc, s[0:1], v[2:3]
	s_and_b64 s[4:5], vcc, exec
	s_cselect_b32 s4, s0, 0x100
	s_cmpk_lg_i32 s4, 0x100
	s_mov_b64 s[0:1], -1
	s_cbranch_scc1 .LBB249_3
; %bb.1:
	s_andn2_b64 vcc, exec, s[0:1]
	s_cbranch_vccz .LBB249_6
.LBB249_2:
	s_endpgm
.LBB249_3:
	v_cmp_gt_u32_e32 vcc, s4, v0
	s_and_saveexec_b64 s[0:1], vcc
	s_cbranch_execz .LBB249_5
; %bb.4:
	v_mov_b32_e32 v1, s3
	v_add_co_u32_e32 v2, vcc, s2, v0
	v_addc_co_u32_e32 v3, vcc, 0, v1, vcc
	v_cvt_f64_u32_e32 v[6:7], v3
	v_lshlrev_b64 v[4:5], 3, v[2:3]
	v_ldexp_f64 v[6:7], v[6:7], 32
	v_cvt_f64_u32_e32 v[2:3], v2
	v_mov_b32_e32 v1, s9
	v_add_co_u32_e32 v4, vcc, s8, v4
	v_add_f64 v[2:3], v[6:7], v[2:3]
	v_pk_mov_b32 v[6:7], s[10:11], s[10:11] op_sel:[0,1]
	v_addc_co_u32_e32 v5, vcc, v1, v5, vcc
	v_fma_f64 v[2:3], s[12:13], v[2:3], v[6:7]
	flat_store_dwordx2 v[4:5], v[2:3]
.LBB249_5:
	s_or_b64 exec, exec, s[0:1]
	s_cbranch_execnz .LBB249_2
.LBB249_6:
	v_mov_b32_e32 v1, s3
	v_add_co_u32_e32 v0, vcc, s2, v0
	v_addc_co_u32_e32 v1, vcc, 0, v1, vcc
	v_cvt_f64_u32_e32 v[2:3], v1
	v_ldexp_f64 v[2:3], v[2:3], 32
	v_cvt_f64_u32_e32 v[4:5], v0
	v_add_f64 v[2:3], v[2:3], v[4:5]
	v_pk_mov_b32 v[4:5], s[10:11], s[10:11] op_sel:[0,1]
	v_lshlrev_b64 v[0:1], 3, v[0:1]
	v_fmac_f64_e32 v[4:5], s[12:13], v[2:3]
	v_mov_b32_e32 v2, s9
	v_add_co_u32_e32 v0, vcc, s8, v0
	v_addc_co_u32_e32 v1, vcc, v2, v1, vcc
	flat_store_dwordx2 v[0:1], v[4:5]
	s_endpgm
	.section	.rodata,"a",@progbits
	.p2align	6, 0x0
	.amdhsa_kernel _ZN6thrust23THRUST_200600_302600_NS11hip_rocprim14__parallel_for6kernelILj256ENS1_10__tabulate7functorINS0_6detail15normal_iteratorINS0_10device_ptrIdEEEENS0_6system6detail7generic6detail22compute_sequence_valueIdvEElEElLj1EEEvT0_T1_SJ_
		.amdhsa_group_segment_fixed_size 0
		.amdhsa_private_segment_fixed_size 0
		.amdhsa_kernarg_size 40
		.amdhsa_user_sgpr_count 6
		.amdhsa_user_sgpr_private_segment_buffer 1
		.amdhsa_user_sgpr_dispatch_ptr 0
		.amdhsa_user_sgpr_queue_ptr 0
		.amdhsa_user_sgpr_kernarg_segment_ptr 1
		.amdhsa_user_sgpr_dispatch_id 0
		.amdhsa_user_sgpr_flat_scratch_init 0
		.amdhsa_user_sgpr_kernarg_preload_length 0
		.amdhsa_user_sgpr_kernarg_preload_offset 0
		.amdhsa_user_sgpr_private_segment_size 0
		.amdhsa_uses_dynamic_stack 0
		.amdhsa_system_sgpr_private_segment_wavefront_offset 0
		.amdhsa_system_sgpr_workgroup_id_x 1
		.amdhsa_system_sgpr_workgroup_id_y 0
		.amdhsa_system_sgpr_workgroup_id_z 0
		.amdhsa_system_sgpr_workgroup_info 0
		.amdhsa_system_vgpr_workitem_id 0
		.amdhsa_next_free_vgpr 8
		.amdhsa_next_free_sgpr 16
		.amdhsa_accum_offset 8
		.amdhsa_reserve_vcc 1
		.amdhsa_reserve_flat_scratch 0
		.amdhsa_float_round_mode_32 0
		.amdhsa_float_round_mode_16_64 0
		.amdhsa_float_denorm_mode_32 3
		.amdhsa_float_denorm_mode_16_64 3
		.amdhsa_dx10_clamp 1
		.amdhsa_ieee_mode 1
		.amdhsa_fp16_overflow 0
		.amdhsa_tg_split 0
		.amdhsa_exception_fp_ieee_invalid_op 0
		.amdhsa_exception_fp_denorm_src 0
		.amdhsa_exception_fp_ieee_div_zero 0
		.amdhsa_exception_fp_ieee_overflow 0
		.amdhsa_exception_fp_ieee_underflow 0
		.amdhsa_exception_fp_ieee_inexact 0
		.amdhsa_exception_int_div_zero 0
	.end_amdhsa_kernel
	.section	.text._ZN6thrust23THRUST_200600_302600_NS11hip_rocprim14__parallel_for6kernelILj256ENS1_10__tabulate7functorINS0_6detail15normal_iteratorINS0_10device_ptrIdEEEENS0_6system6detail7generic6detail22compute_sequence_valueIdvEElEElLj1EEEvT0_T1_SJ_,"axG",@progbits,_ZN6thrust23THRUST_200600_302600_NS11hip_rocprim14__parallel_for6kernelILj256ENS1_10__tabulate7functorINS0_6detail15normal_iteratorINS0_10device_ptrIdEEEENS0_6system6detail7generic6detail22compute_sequence_valueIdvEElEElLj1EEEvT0_T1_SJ_,comdat
.Lfunc_end249:
	.size	_ZN6thrust23THRUST_200600_302600_NS11hip_rocprim14__parallel_for6kernelILj256ENS1_10__tabulate7functorINS0_6detail15normal_iteratorINS0_10device_ptrIdEEEENS0_6system6detail7generic6detail22compute_sequence_valueIdvEElEElLj1EEEvT0_T1_SJ_, .Lfunc_end249-_ZN6thrust23THRUST_200600_302600_NS11hip_rocprim14__parallel_for6kernelILj256ENS1_10__tabulate7functorINS0_6detail15normal_iteratorINS0_10device_ptrIdEEEENS0_6system6detail7generic6detail22compute_sequence_valueIdvEElEElLj1EEEvT0_T1_SJ_
                                        ; -- End function
	.section	.AMDGPU.csdata,"",@progbits
; Kernel info:
; codeLenInByte = 272
; NumSgprs: 20
; NumVgprs: 8
; NumAgprs: 0
; TotalNumVgprs: 8
; ScratchSize: 0
; MemoryBound: 0
; FloatMode: 240
; IeeeMode: 1
; LDSByteSize: 0 bytes/workgroup (compile time only)
; SGPRBlocks: 2
; VGPRBlocks: 0
; NumSGPRsForWavesPerEU: 20
; NumVGPRsForWavesPerEU: 8
; AccumOffset: 8
; Occupancy: 8
; WaveLimiterHint : 0
; COMPUTE_PGM_RSRC2:SCRATCH_EN: 0
; COMPUTE_PGM_RSRC2:USER_SGPR: 6
; COMPUTE_PGM_RSRC2:TRAP_HANDLER: 0
; COMPUTE_PGM_RSRC2:TGID_X_EN: 1
; COMPUTE_PGM_RSRC2:TGID_Y_EN: 0
; COMPUTE_PGM_RSRC2:TGID_Z_EN: 0
; COMPUTE_PGM_RSRC2:TIDIG_COMP_CNT: 0
; COMPUTE_PGM_RSRC3_GFX90A:ACCUM_OFFSET: 1
; COMPUTE_PGM_RSRC3_GFX90A:TG_SPLIT: 0
	.section	.text._ZN6thrust23THRUST_200600_302600_NS11hip_rocprim14__parallel_for6kernelILj256ENS1_20__uninitialized_fill7functorINS0_10device_ptrIiEEiEEmLj1EEEvT0_T1_SA_,"axG",@progbits,_ZN6thrust23THRUST_200600_302600_NS11hip_rocprim14__parallel_for6kernelILj256ENS1_20__uninitialized_fill7functorINS0_10device_ptrIiEEiEEmLj1EEEvT0_T1_SA_,comdat
	.protected	_ZN6thrust23THRUST_200600_302600_NS11hip_rocprim14__parallel_for6kernelILj256ENS1_20__uninitialized_fill7functorINS0_10device_ptrIiEEiEEmLj1EEEvT0_T1_SA_ ; -- Begin function _ZN6thrust23THRUST_200600_302600_NS11hip_rocprim14__parallel_for6kernelILj256ENS1_20__uninitialized_fill7functorINS0_10device_ptrIiEEiEEmLj1EEEvT0_T1_SA_
	.globl	_ZN6thrust23THRUST_200600_302600_NS11hip_rocprim14__parallel_for6kernelILj256ENS1_20__uninitialized_fill7functorINS0_10device_ptrIiEEiEEmLj1EEEvT0_T1_SA_
	.p2align	8
	.type	_ZN6thrust23THRUST_200600_302600_NS11hip_rocprim14__parallel_for6kernelILj256ENS1_20__uninitialized_fill7functorINS0_10device_ptrIiEEiEEmLj1EEEvT0_T1_SA_,@function
_ZN6thrust23THRUST_200600_302600_NS11hip_rocprim14__parallel_for6kernelILj256ENS1_20__uninitialized_fill7functorINS0_10device_ptrIiEEiEEmLj1EEEvT0_T1_SA_: ; @_ZN6thrust23THRUST_200600_302600_NS11hip_rocprim14__parallel_for6kernelILj256ENS1_20__uninitialized_fill7functorINS0_10device_ptrIiEEiEEmLj1EEEvT0_T1_SA_
; %bb.0:
	s_load_dwordx4 s[8:11], s[4:5], 0x10
	s_lshl_b32 s0, s6, 8
	v_mov_b32_e32 v2, 0x100
	v_mov_b32_e32 v3, 0
	s_waitcnt lgkmcnt(0)
	s_add_u32 s0, s0, s10
	s_addc_u32 s1, 0, s11
	s_sub_u32 s2, s8, s0
	s_subb_u32 s3, s9, s1
	v_cmp_lt_u64_e32 vcc, s[2:3], v[2:3]
	s_cbranch_vccz .LBB250_2
; %bb.1:
	v_cmp_gt_u32_e32 vcc, s2, v0
	s_and_b64 s[2:3], vcc, exec
	s_cbranch_execz .LBB250_3
	s_branch .LBB250_4
.LBB250_2:
	s_mov_b64 s[2:3], 0
.LBB250_3:
	s_or_b64 s[2:3], s[2:3], exec
.LBB250_4:
	s_and_saveexec_b64 s[6:7], s[2:3]
	s_cbranch_execnz .LBB250_6
; %bb.5:
	s_endpgm
.LBB250_6:
	s_load_dwordx2 s[2:3], s[4:5], 0x0
	s_load_dword s6, s[4:5], 0x8
	s_lshl_b64 s[0:1], s[0:1], 2
	v_mov_b32_e32 v1, 0
	v_lshlrev_b64 v[0:1], 2, v[0:1]
	s_waitcnt lgkmcnt(0)
	s_add_u32 s0, s2, s0
	s_addc_u32 s1, s3, s1
	v_mov_b32_e32 v2, s1
	v_add_co_u32_e32 v0, vcc, s0, v0
	v_addc_co_u32_e32 v1, vcc, v2, v1, vcc
	v_mov_b32_e32 v2, s6
	flat_store_dword v[0:1], v2
	s_endpgm
	.section	.rodata,"a",@progbits
	.p2align	6, 0x0
	.amdhsa_kernel _ZN6thrust23THRUST_200600_302600_NS11hip_rocprim14__parallel_for6kernelILj256ENS1_20__uninitialized_fill7functorINS0_10device_ptrIiEEiEEmLj1EEEvT0_T1_SA_
		.amdhsa_group_segment_fixed_size 0
		.amdhsa_private_segment_fixed_size 0
		.amdhsa_kernarg_size 32
		.amdhsa_user_sgpr_count 6
		.amdhsa_user_sgpr_private_segment_buffer 1
		.amdhsa_user_sgpr_dispatch_ptr 0
		.amdhsa_user_sgpr_queue_ptr 0
		.amdhsa_user_sgpr_kernarg_segment_ptr 1
		.amdhsa_user_sgpr_dispatch_id 0
		.amdhsa_user_sgpr_flat_scratch_init 0
		.amdhsa_user_sgpr_kernarg_preload_length 0
		.amdhsa_user_sgpr_kernarg_preload_offset 0
		.amdhsa_user_sgpr_private_segment_size 0
		.amdhsa_uses_dynamic_stack 0
		.amdhsa_system_sgpr_private_segment_wavefront_offset 0
		.amdhsa_system_sgpr_workgroup_id_x 1
		.amdhsa_system_sgpr_workgroup_id_y 0
		.amdhsa_system_sgpr_workgroup_id_z 0
		.amdhsa_system_sgpr_workgroup_info 0
		.amdhsa_system_vgpr_workitem_id 0
		.amdhsa_next_free_vgpr 4
		.amdhsa_next_free_sgpr 12
		.amdhsa_accum_offset 4
		.amdhsa_reserve_vcc 1
		.amdhsa_reserve_flat_scratch 0
		.amdhsa_float_round_mode_32 0
		.amdhsa_float_round_mode_16_64 0
		.amdhsa_float_denorm_mode_32 3
		.amdhsa_float_denorm_mode_16_64 3
		.amdhsa_dx10_clamp 1
		.amdhsa_ieee_mode 1
		.amdhsa_fp16_overflow 0
		.amdhsa_tg_split 0
		.amdhsa_exception_fp_ieee_invalid_op 0
		.amdhsa_exception_fp_denorm_src 0
		.amdhsa_exception_fp_ieee_div_zero 0
		.amdhsa_exception_fp_ieee_overflow 0
		.amdhsa_exception_fp_ieee_underflow 0
		.amdhsa_exception_fp_ieee_inexact 0
		.amdhsa_exception_int_div_zero 0
	.end_amdhsa_kernel
	.section	.text._ZN6thrust23THRUST_200600_302600_NS11hip_rocprim14__parallel_for6kernelILj256ENS1_20__uninitialized_fill7functorINS0_10device_ptrIiEEiEEmLj1EEEvT0_T1_SA_,"axG",@progbits,_ZN6thrust23THRUST_200600_302600_NS11hip_rocprim14__parallel_for6kernelILj256ENS1_20__uninitialized_fill7functorINS0_10device_ptrIiEEiEEmLj1EEEvT0_T1_SA_,comdat
.Lfunc_end250:
	.size	_ZN6thrust23THRUST_200600_302600_NS11hip_rocprim14__parallel_for6kernelILj256ENS1_20__uninitialized_fill7functorINS0_10device_ptrIiEEiEEmLj1EEEvT0_T1_SA_, .Lfunc_end250-_ZN6thrust23THRUST_200600_302600_NS11hip_rocprim14__parallel_for6kernelILj256ENS1_20__uninitialized_fill7functorINS0_10device_ptrIiEEiEEmLj1EEEvT0_T1_SA_
                                        ; -- End function
	.section	.AMDGPU.csdata,"",@progbits
; Kernel info:
; codeLenInByte = 160
; NumSgprs: 16
; NumVgprs: 4
; NumAgprs: 0
; TotalNumVgprs: 4
; ScratchSize: 0
; MemoryBound: 0
; FloatMode: 240
; IeeeMode: 1
; LDSByteSize: 0 bytes/workgroup (compile time only)
; SGPRBlocks: 1
; VGPRBlocks: 0
; NumSGPRsForWavesPerEU: 16
; NumVGPRsForWavesPerEU: 4
; AccumOffset: 4
; Occupancy: 8
; WaveLimiterHint : 0
; COMPUTE_PGM_RSRC2:SCRATCH_EN: 0
; COMPUTE_PGM_RSRC2:USER_SGPR: 6
; COMPUTE_PGM_RSRC2:TRAP_HANDLER: 0
; COMPUTE_PGM_RSRC2:TGID_X_EN: 1
; COMPUTE_PGM_RSRC2:TGID_Y_EN: 0
; COMPUTE_PGM_RSRC2:TGID_Z_EN: 0
; COMPUTE_PGM_RSRC2:TIDIG_COMP_CNT: 0
; COMPUTE_PGM_RSRC3_GFX90A:ACCUM_OFFSET: 0
; COMPUTE_PGM_RSRC3_GFX90A:TG_SPLIT: 0
	.section	.text._ZN7rocprim17ROCPRIM_400000_NS6detail17trampoline_kernelINS0_14default_configENS1_27lower_bound_config_selectorIdiEEZNS1_14transform_implILb0ES3_S5_N6thrust23THRUST_200600_302600_NS6detail15normal_iteratorINS8_10device_ptrIdEEEENSA_INSB_IiEEEEZNS1_13binary_searchIS3_S5_SD_SD_SF_NS1_21lower_bound_search_opENS9_16wrapped_functionINS0_4lessIvEEbEEEE10hipError_tPvRmT1_T2_T3_mmT4_T5_P12ihipStream_tbEUlRKdE_EESM_SQ_SR_mSS_SV_bEUlT_E_NS1_11comp_targetILNS1_3genE0ELNS1_11target_archE4294967295ELNS1_3gpuE0ELNS1_3repE0EEENS1_30default_config_static_selectorELNS0_4arch9wavefront6targetE1EEEvSP_,"axG",@progbits,_ZN7rocprim17ROCPRIM_400000_NS6detail17trampoline_kernelINS0_14default_configENS1_27lower_bound_config_selectorIdiEEZNS1_14transform_implILb0ES3_S5_N6thrust23THRUST_200600_302600_NS6detail15normal_iteratorINS8_10device_ptrIdEEEENSA_INSB_IiEEEEZNS1_13binary_searchIS3_S5_SD_SD_SF_NS1_21lower_bound_search_opENS9_16wrapped_functionINS0_4lessIvEEbEEEE10hipError_tPvRmT1_T2_T3_mmT4_T5_P12ihipStream_tbEUlRKdE_EESM_SQ_SR_mSS_SV_bEUlT_E_NS1_11comp_targetILNS1_3genE0ELNS1_11target_archE4294967295ELNS1_3gpuE0ELNS1_3repE0EEENS1_30default_config_static_selectorELNS0_4arch9wavefront6targetE1EEEvSP_,comdat
	.protected	_ZN7rocprim17ROCPRIM_400000_NS6detail17trampoline_kernelINS0_14default_configENS1_27lower_bound_config_selectorIdiEEZNS1_14transform_implILb0ES3_S5_N6thrust23THRUST_200600_302600_NS6detail15normal_iteratorINS8_10device_ptrIdEEEENSA_INSB_IiEEEEZNS1_13binary_searchIS3_S5_SD_SD_SF_NS1_21lower_bound_search_opENS9_16wrapped_functionINS0_4lessIvEEbEEEE10hipError_tPvRmT1_T2_T3_mmT4_T5_P12ihipStream_tbEUlRKdE_EESM_SQ_SR_mSS_SV_bEUlT_E_NS1_11comp_targetILNS1_3genE0ELNS1_11target_archE4294967295ELNS1_3gpuE0ELNS1_3repE0EEENS1_30default_config_static_selectorELNS0_4arch9wavefront6targetE1EEEvSP_ ; -- Begin function _ZN7rocprim17ROCPRIM_400000_NS6detail17trampoline_kernelINS0_14default_configENS1_27lower_bound_config_selectorIdiEEZNS1_14transform_implILb0ES3_S5_N6thrust23THRUST_200600_302600_NS6detail15normal_iteratorINS8_10device_ptrIdEEEENSA_INSB_IiEEEEZNS1_13binary_searchIS3_S5_SD_SD_SF_NS1_21lower_bound_search_opENS9_16wrapped_functionINS0_4lessIvEEbEEEE10hipError_tPvRmT1_T2_T3_mmT4_T5_P12ihipStream_tbEUlRKdE_EESM_SQ_SR_mSS_SV_bEUlT_E_NS1_11comp_targetILNS1_3genE0ELNS1_11target_archE4294967295ELNS1_3gpuE0ELNS1_3repE0EEENS1_30default_config_static_selectorELNS0_4arch9wavefront6targetE1EEEvSP_
	.globl	_ZN7rocprim17ROCPRIM_400000_NS6detail17trampoline_kernelINS0_14default_configENS1_27lower_bound_config_selectorIdiEEZNS1_14transform_implILb0ES3_S5_N6thrust23THRUST_200600_302600_NS6detail15normal_iteratorINS8_10device_ptrIdEEEENSA_INSB_IiEEEEZNS1_13binary_searchIS3_S5_SD_SD_SF_NS1_21lower_bound_search_opENS9_16wrapped_functionINS0_4lessIvEEbEEEE10hipError_tPvRmT1_T2_T3_mmT4_T5_P12ihipStream_tbEUlRKdE_EESM_SQ_SR_mSS_SV_bEUlT_E_NS1_11comp_targetILNS1_3genE0ELNS1_11target_archE4294967295ELNS1_3gpuE0ELNS1_3repE0EEENS1_30default_config_static_selectorELNS0_4arch9wavefront6targetE1EEEvSP_
	.p2align	8
	.type	_ZN7rocprim17ROCPRIM_400000_NS6detail17trampoline_kernelINS0_14default_configENS1_27lower_bound_config_selectorIdiEEZNS1_14transform_implILb0ES3_S5_N6thrust23THRUST_200600_302600_NS6detail15normal_iteratorINS8_10device_ptrIdEEEENSA_INSB_IiEEEEZNS1_13binary_searchIS3_S5_SD_SD_SF_NS1_21lower_bound_search_opENS9_16wrapped_functionINS0_4lessIvEEbEEEE10hipError_tPvRmT1_T2_T3_mmT4_T5_P12ihipStream_tbEUlRKdE_EESM_SQ_SR_mSS_SV_bEUlT_E_NS1_11comp_targetILNS1_3genE0ELNS1_11target_archE4294967295ELNS1_3gpuE0ELNS1_3repE0EEENS1_30default_config_static_selectorELNS0_4arch9wavefront6targetE1EEEvSP_,@function
_ZN7rocprim17ROCPRIM_400000_NS6detail17trampoline_kernelINS0_14default_configENS1_27lower_bound_config_selectorIdiEEZNS1_14transform_implILb0ES3_S5_N6thrust23THRUST_200600_302600_NS6detail15normal_iteratorINS8_10device_ptrIdEEEENSA_INSB_IiEEEEZNS1_13binary_searchIS3_S5_SD_SD_SF_NS1_21lower_bound_search_opENS9_16wrapped_functionINS0_4lessIvEEbEEEE10hipError_tPvRmT1_T2_T3_mmT4_T5_P12ihipStream_tbEUlRKdE_EESM_SQ_SR_mSS_SV_bEUlT_E_NS1_11comp_targetILNS1_3genE0ELNS1_11target_archE4294967295ELNS1_3gpuE0ELNS1_3repE0EEENS1_30default_config_static_selectorELNS0_4arch9wavefront6targetE1EEEvSP_: ; @_ZN7rocprim17ROCPRIM_400000_NS6detail17trampoline_kernelINS0_14default_configENS1_27lower_bound_config_selectorIdiEEZNS1_14transform_implILb0ES3_S5_N6thrust23THRUST_200600_302600_NS6detail15normal_iteratorINS8_10device_ptrIdEEEENSA_INSB_IiEEEEZNS1_13binary_searchIS3_S5_SD_SD_SF_NS1_21lower_bound_search_opENS9_16wrapped_functionINS0_4lessIvEEbEEEE10hipError_tPvRmT1_T2_T3_mmT4_T5_P12ihipStream_tbEUlRKdE_EESM_SQ_SR_mSS_SV_bEUlT_E_NS1_11comp_targetILNS1_3genE0ELNS1_11target_archE4294967295ELNS1_3gpuE0ELNS1_3repE0EEENS1_30default_config_static_selectorELNS0_4arch9wavefront6targetE1EEEvSP_
; %bb.0:
	.section	.rodata,"a",@progbits
	.p2align	6, 0x0
	.amdhsa_kernel _ZN7rocprim17ROCPRIM_400000_NS6detail17trampoline_kernelINS0_14default_configENS1_27lower_bound_config_selectorIdiEEZNS1_14transform_implILb0ES3_S5_N6thrust23THRUST_200600_302600_NS6detail15normal_iteratorINS8_10device_ptrIdEEEENSA_INSB_IiEEEEZNS1_13binary_searchIS3_S5_SD_SD_SF_NS1_21lower_bound_search_opENS9_16wrapped_functionINS0_4lessIvEEbEEEE10hipError_tPvRmT1_T2_T3_mmT4_T5_P12ihipStream_tbEUlRKdE_EESM_SQ_SR_mSS_SV_bEUlT_E_NS1_11comp_targetILNS1_3genE0ELNS1_11target_archE4294967295ELNS1_3gpuE0ELNS1_3repE0EEENS1_30default_config_static_selectorELNS0_4arch9wavefront6targetE1EEEvSP_
		.amdhsa_group_segment_fixed_size 0
		.amdhsa_private_segment_fixed_size 0
		.amdhsa_kernarg_size 56
		.amdhsa_user_sgpr_count 6
		.amdhsa_user_sgpr_private_segment_buffer 1
		.amdhsa_user_sgpr_dispatch_ptr 0
		.amdhsa_user_sgpr_queue_ptr 0
		.amdhsa_user_sgpr_kernarg_segment_ptr 1
		.amdhsa_user_sgpr_dispatch_id 0
		.amdhsa_user_sgpr_flat_scratch_init 0
		.amdhsa_user_sgpr_kernarg_preload_length 0
		.amdhsa_user_sgpr_kernarg_preload_offset 0
		.amdhsa_user_sgpr_private_segment_size 0
		.amdhsa_uses_dynamic_stack 0
		.amdhsa_system_sgpr_private_segment_wavefront_offset 0
		.amdhsa_system_sgpr_workgroup_id_x 1
		.amdhsa_system_sgpr_workgroup_id_y 0
		.amdhsa_system_sgpr_workgroup_id_z 0
		.amdhsa_system_sgpr_workgroup_info 0
		.amdhsa_system_vgpr_workitem_id 0
		.amdhsa_next_free_vgpr 1
		.amdhsa_next_free_sgpr 0
		.amdhsa_accum_offset 4
		.amdhsa_reserve_vcc 0
		.amdhsa_reserve_flat_scratch 0
		.amdhsa_float_round_mode_32 0
		.amdhsa_float_round_mode_16_64 0
		.amdhsa_float_denorm_mode_32 3
		.amdhsa_float_denorm_mode_16_64 3
		.amdhsa_dx10_clamp 1
		.amdhsa_ieee_mode 1
		.amdhsa_fp16_overflow 0
		.amdhsa_tg_split 0
		.amdhsa_exception_fp_ieee_invalid_op 0
		.amdhsa_exception_fp_denorm_src 0
		.amdhsa_exception_fp_ieee_div_zero 0
		.amdhsa_exception_fp_ieee_overflow 0
		.amdhsa_exception_fp_ieee_underflow 0
		.amdhsa_exception_fp_ieee_inexact 0
		.amdhsa_exception_int_div_zero 0
	.end_amdhsa_kernel
	.section	.text._ZN7rocprim17ROCPRIM_400000_NS6detail17trampoline_kernelINS0_14default_configENS1_27lower_bound_config_selectorIdiEEZNS1_14transform_implILb0ES3_S5_N6thrust23THRUST_200600_302600_NS6detail15normal_iteratorINS8_10device_ptrIdEEEENSA_INSB_IiEEEEZNS1_13binary_searchIS3_S5_SD_SD_SF_NS1_21lower_bound_search_opENS9_16wrapped_functionINS0_4lessIvEEbEEEE10hipError_tPvRmT1_T2_T3_mmT4_T5_P12ihipStream_tbEUlRKdE_EESM_SQ_SR_mSS_SV_bEUlT_E_NS1_11comp_targetILNS1_3genE0ELNS1_11target_archE4294967295ELNS1_3gpuE0ELNS1_3repE0EEENS1_30default_config_static_selectorELNS0_4arch9wavefront6targetE1EEEvSP_,"axG",@progbits,_ZN7rocprim17ROCPRIM_400000_NS6detail17trampoline_kernelINS0_14default_configENS1_27lower_bound_config_selectorIdiEEZNS1_14transform_implILb0ES3_S5_N6thrust23THRUST_200600_302600_NS6detail15normal_iteratorINS8_10device_ptrIdEEEENSA_INSB_IiEEEEZNS1_13binary_searchIS3_S5_SD_SD_SF_NS1_21lower_bound_search_opENS9_16wrapped_functionINS0_4lessIvEEbEEEE10hipError_tPvRmT1_T2_T3_mmT4_T5_P12ihipStream_tbEUlRKdE_EESM_SQ_SR_mSS_SV_bEUlT_E_NS1_11comp_targetILNS1_3genE0ELNS1_11target_archE4294967295ELNS1_3gpuE0ELNS1_3repE0EEENS1_30default_config_static_selectorELNS0_4arch9wavefront6targetE1EEEvSP_,comdat
.Lfunc_end251:
	.size	_ZN7rocprim17ROCPRIM_400000_NS6detail17trampoline_kernelINS0_14default_configENS1_27lower_bound_config_selectorIdiEEZNS1_14transform_implILb0ES3_S5_N6thrust23THRUST_200600_302600_NS6detail15normal_iteratorINS8_10device_ptrIdEEEENSA_INSB_IiEEEEZNS1_13binary_searchIS3_S5_SD_SD_SF_NS1_21lower_bound_search_opENS9_16wrapped_functionINS0_4lessIvEEbEEEE10hipError_tPvRmT1_T2_T3_mmT4_T5_P12ihipStream_tbEUlRKdE_EESM_SQ_SR_mSS_SV_bEUlT_E_NS1_11comp_targetILNS1_3genE0ELNS1_11target_archE4294967295ELNS1_3gpuE0ELNS1_3repE0EEENS1_30default_config_static_selectorELNS0_4arch9wavefront6targetE1EEEvSP_, .Lfunc_end251-_ZN7rocprim17ROCPRIM_400000_NS6detail17trampoline_kernelINS0_14default_configENS1_27lower_bound_config_selectorIdiEEZNS1_14transform_implILb0ES3_S5_N6thrust23THRUST_200600_302600_NS6detail15normal_iteratorINS8_10device_ptrIdEEEENSA_INSB_IiEEEEZNS1_13binary_searchIS3_S5_SD_SD_SF_NS1_21lower_bound_search_opENS9_16wrapped_functionINS0_4lessIvEEbEEEE10hipError_tPvRmT1_T2_T3_mmT4_T5_P12ihipStream_tbEUlRKdE_EESM_SQ_SR_mSS_SV_bEUlT_E_NS1_11comp_targetILNS1_3genE0ELNS1_11target_archE4294967295ELNS1_3gpuE0ELNS1_3repE0EEENS1_30default_config_static_selectorELNS0_4arch9wavefront6targetE1EEEvSP_
                                        ; -- End function
	.section	.AMDGPU.csdata,"",@progbits
; Kernel info:
; codeLenInByte = 0
; NumSgprs: 4
; NumVgprs: 0
; NumAgprs: 0
; TotalNumVgprs: 0
; ScratchSize: 0
; MemoryBound: 0
; FloatMode: 240
; IeeeMode: 1
; LDSByteSize: 0 bytes/workgroup (compile time only)
; SGPRBlocks: 0
; VGPRBlocks: 0
; NumSGPRsForWavesPerEU: 4
; NumVGPRsForWavesPerEU: 1
; AccumOffset: 4
; Occupancy: 8
; WaveLimiterHint : 0
; COMPUTE_PGM_RSRC2:SCRATCH_EN: 0
; COMPUTE_PGM_RSRC2:USER_SGPR: 6
; COMPUTE_PGM_RSRC2:TRAP_HANDLER: 0
; COMPUTE_PGM_RSRC2:TGID_X_EN: 1
; COMPUTE_PGM_RSRC2:TGID_Y_EN: 0
; COMPUTE_PGM_RSRC2:TGID_Z_EN: 0
; COMPUTE_PGM_RSRC2:TIDIG_COMP_CNT: 0
; COMPUTE_PGM_RSRC3_GFX90A:ACCUM_OFFSET: 0
; COMPUTE_PGM_RSRC3_GFX90A:TG_SPLIT: 0
	.section	.text._ZN7rocprim17ROCPRIM_400000_NS6detail17trampoline_kernelINS0_14default_configENS1_27lower_bound_config_selectorIdiEEZNS1_14transform_implILb0ES3_S5_N6thrust23THRUST_200600_302600_NS6detail15normal_iteratorINS8_10device_ptrIdEEEENSA_INSB_IiEEEEZNS1_13binary_searchIS3_S5_SD_SD_SF_NS1_21lower_bound_search_opENS9_16wrapped_functionINS0_4lessIvEEbEEEE10hipError_tPvRmT1_T2_T3_mmT4_T5_P12ihipStream_tbEUlRKdE_EESM_SQ_SR_mSS_SV_bEUlT_E_NS1_11comp_targetILNS1_3genE5ELNS1_11target_archE942ELNS1_3gpuE9ELNS1_3repE0EEENS1_30default_config_static_selectorELNS0_4arch9wavefront6targetE1EEEvSP_,"axG",@progbits,_ZN7rocprim17ROCPRIM_400000_NS6detail17trampoline_kernelINS0_14default_configENS1_27lower_bound_config_selectorIdiEEZNS1_14transform_implILb0ES3_S5_N6thrust23THRUST_200600_302600_NS6detail15normal_iteratorINS8_10device_ptrIdEEEENSA_INSB_IiEEEEZNS1_13binary_searchIS3_S5_SD_SD_SF_NS1_21lower_bound_search_opENS9_16wrapped_functionINS0_4lessIvEEbEEEE10hipError_tPvRmT1_T2_T3_mmT4_T5_P12ihipStream_tbEUlRKdE_EESM_SQ_SR_mSS_SV_bEUlT_E_NS1_11comp_targetILNS1_3genE5ELNS1_11target_archE942ELNS1_3gpuE9ELNS1_3repE0EEENS1_30default_config_static_selectorELNS0_4arch9wavefront6targetE1EEEvSP_,comdat
	.protected	_ZN7rocprim17ROCPRIM_400000_NS6detail17trampoline_kernelINS0_14default_configENS1_27lower_bound_config_selectorIdiEEZNS1_14transform_implILb0ES3_S5_N6thrust23THRUST_200600_302600_NS6detail15normal_iteratorINS8_10device_ptrIdEEEENSA_INSB_IiEEEEZNS1_13binary_searchIS3_S5_SD_SD_SF_NS1_21lower_bound_search_opENS9_16wrapped_functionINS0_4lessIvEEbEEEE10hipError_tPvRmT1_T2_T3_mmT4_T5_P12ihipStream_tbEUlRKdE_EESM_SQ_SR_mSS_SV_bEUlT_E_NS1_11comp_targetILNS1_3genE5ELNS1_11target_archE942ELNS1_3gpuE9ELNS1_3repE0EEENS1_30default_config_static_selectorELNS0_4arch9wavefront6targetE1EEEvSP_ ; -- Begin function _ZN7rocprim17ROCPRIM_400000_NS6detail17trampoline_kernelINS0_14default_configENS1_27lower_bound_config_selectorIdiEEZNS1_14transform_implILb0ES3_S5_N6thrust23THRUST_200600_302600_NS6detail15normal_iteratorINS8_10device_ptrIdEEEENSA_INSB_IiEEEEZNS1_13binary_searchIS3_S5_SD_SD_SF_NS1_21lower_bound_search_opENS9_16wrapped_functionINS0_4lessIvEEbEEEE10hipError_tPvRmT1_T2_T3_mmT4_T5_P12ihipStream_tbEUlRKdE_EESM_SQ_SR_mSS_SV_bEUlT_E_NS1_11comp_targetILNS1_3genE5ELNS1_11target_archE942ELNS1_3gpuE9ELNS1_3repE0EEENS1_30default_config_static_selectorELNS0_4arch9wavefront6targetE1EEEvSP_
	.globl	_ZN7rocprim17ROCPRIM_400000_NS6detail17trampoline_kernelINS0_14default_configENS1_27lower_bound_config_selectorIdiEEZNS1_14transform_implILb0ES3_S5_N6thrust23THRUST_200600_302600_NS6detail15normal_iteratorINS8_10device_ptrIdEEEENSA_INSB_IiEEEEZNS1_13binary_searchIS3_S5_SD_SD_SF_NS1_21lower_bound_search_opENS9_16wrapped_functionINS0_4lessIvEEbEEEE10hipError_tPvRmT1_T2_T3_mmT4_T5_P12ihipStream_tbEUlRKdE_EESM_SQ_SR_mSS_SV_bEUlT_E_NS1_11comp_targetILNS1_3genE5ELNS1_11target_archE942ELNS1_3gpuE9ELNS1_3repE0EEENS1_30default_config_static_selectorELNS0_4arch9wavefront6targetE1EEEvSP_
	.p2align	8
	.type	_ZN7rocprim17ROCPRIM_400000_NS6detail17trampoline_kernelINS0_14default_configENS1_27lower_bound_config_selectorIdiEEZNS1_14transform_implILb0ES3_S5_N6thrust23THRUST_200600_302600_NS6detail15normal_iteratorINS8_10device_ptrIdEEEENSA_INSB_IiEEEEZNS1_13binary_searchIS3_S5_SD_SD_SF_NS1_21lower_bound_search_opENS9_16wrapped_functionINS0_4lessIvEEbEEEE10hipError_tPvRmT1_T2_T3_mmT4_T5_P12ihipStream_tbEUlRKdE_EESM_SQ_SR_mSS_SV_bEUlT_E_NS1_11comp_targetILNS1_3genE5ELNS1_11target_archE942ELNS1_3gpuE9ELNS1_3repE0EEENS1_30default_config_static_selectorELNS0_4arch9wavefront6targetE1EEEvSP_,@function
_ZN7rocprim17ROCPRIM_400000_NS6detail17trampoline_kernelINS0_14default_configENS1_27lower_bound_config_selectorIdiEEZNS1_14transform_implILb0ES3_S5_N6thrust23THRUST_200600_302600_NS6detail15normal_iteratorINS8_10device_ptrIdEEEENSA_INSB_IiEEEEZNS1_13binary_searchIS3_S5_SD_SD_SF_NS1_21lower_bound_search_opENS9_16wrapped_functionINS0_4lessIvEEbEEEE10hipError_tPvRmT1_T2_T3_mmT4_T5_P12ihipStream_tbEUlRKdE_EESM_SQ_SR_mSS_SV_bEUlT_E_NS1_11comp_targetILNS1_3genE5ELNS1_11target_archE942ELNS1_3gpuE9ELNS1_3repE0EEENS1_30default_config_static_selectorELNS0_4arch9wavefront6targetE1EEEvSP_: ; @_ZN7rocprim17ROCPRIM_400000_NS6detail17trampoline_kernelINS0_14default_configENS1_27lower_bound_config_selectorIdiEEZNS1_14transform_implILb0ES3_S5_N6thrust23THRUST_200600_302600_NS6detail15normal_iteratorINS8_10device_ptrIdEEEENSA_INSB_IiEEEEZNS1_13binary_searchIS3_S5_SD_SD_SF_NS1_21lower_bound_search_opENS9_16wrapped_functionINS0_4lessIvEEbEEEE10hipError_tPvRmT1_T2_T3_mmT4_T5_P12ihipStream_tbEUlRKdE_EESM_SQ_SR_mSS_SV_bEUlT_E_NS1_11comp_targetILNS1_3genE5ELNS1_11target_archE942ELNS1_3gpuE9ELNS1_3repE0EEENS1_30default_config_static_selectorELNS0_4arch9wavefront6targetE1EEEvSP_
; %bb.0:
	.section	.rodata,"a",@progbits
	.p2align	6, 0x0
	.amdhsa_kernel _ZN7rocprim17ROCPRIM_400000_NS6detail17trampoline_kernelINS0_14default_configENS1_27lower_bound_config_selectorIdiEEZNS1_14transform_implILb0ES3_S5_N6thrust23THRUST_200600_302600_NS6detail15normal_iteratorINS8_10device_ptrIdEEEENSA_INSB_IiEEEEZNS1_13binary_searchIS3_S5_SD_SD_SF_NS1_21lower_bound_search_opENS9_16wrapped_functionINS0_4lessIvEEbEEEE10hipError_tPvRmT1_T2_T3_mmT4_T5_P12ihipStream_tbEUlRKdE_EESM_SQ_SR_mSS_SV_bEUlT_E_NS1_11comp_targetILNS1_3genE5ELNS1_11target_archE942ELNS1_3gpuE9ELNS1_3repE0EEENS1_30default_config_static_selectorELNS0_4arch9wavefront6targetE1EEEvSP_
		.amdhsa_group_segment_fixed_size 0
		.amdhsa_private_segment_fixed_size 0
		.amdhsa_kernarg_size 56
		.amdhsa_user_sgpr_count 6
		.amdhsa_user_sgpr_private_segment_buffer 1
		.amdhsa_user_sgpr_dispatch_ptr 0
		.amdhsa_user_sgpr_queue_ptr 0
		.amdhsa_user_sgpr_kernarg_segment_ptr 1
		.amdhsa_user_sgpr_dispatch_id 0
		.amdhsa_user_sgpr_flat_scratch_init 0
		.amdhsa_user_sgpr_kernarg_preload_length 0
		.amdhsa_user_sgpr_kernarg_preload_offset 0
		.amdhsa_user_sgpr_private_segment_size 0
		.amdhsa_uses_dynamic_stack 0
		.amdhsa_system_sgpr_private_segment_wavefront_offset 0
		.amdhsa_system_sgpr_workgroup_id_x 1
		.amdhsa_system_sgpr_workgroup_id_y 0
		.amdhsa_system_sgpr_workgroup_id_z 0
		.amdhsa_system_sgpr_workgroup_info 0
		.amdhsa_system_vgpr_workitem_id 0
		.amdhsa_next_free_vgpr 1
		.amdhsa_next_free_sgpr 0
		.amdhsa_accum_offset 4
		.amdhsa_reserve_vcc 0
		.amdhsa_reserve_flat_scratch 0
		.amdhsa_float_round_mode_32 0
		.amdhsa_float_round_mode_16_64 0
		.amdhsa_float_denorm_mode_32 3
		.amdhsa_float_denorm_mode_16_64 3
		.amdhsa_dx10_clamp 1
		.amdhsa_ieee_mode 1
		.amdhsa_fp16_overflow 0
		.amdhsa_tg_split 0
		.amdhsa_exception_fp_ieee_invalid_op 0
		.amdhsa_exception_fp_denorm_src 0
		.amdhsa_exception_fp_ieee_div_zero 0
		.amdhsa_exception_fp_ieee_overflow 0
		.amdhsa_exception_fp_ieee_underflow 0
		.amdhsa_exception_fp_ieee_inexact 0
		.amdhsa_exception_int_div_zero 0
	.end_amdhsa_kernel
	.section	.text._ZN7rocprim17ROCPRIM_400000_NS6detail17trampoline_kernelINS0_14default_configENS1_27lower_bound_config_selectorIdiEEZNS1_14transform_implILb0ES3_S5_N6thrust23THRUST_200600_302600_NS6detail15normal_iteratorINS8_10device_ptrIdEEEENSA_INSB_IiEEEEZNS1_13binary_searchIS3_S5_SD_SD_SF_NS1_21lower_bound_search_opENS9_16wrapped_functionINS0_4lessIvEEbEEEE10hipError_tPvRmT1_T2_T3_mmT4_T5_P12ihipStream_tbEUlRKdE_EESM_SQ_SR_mSS_SV_bEUlT_E_NS1_11comp_targetILNS1_3genE5ELNS1_11target_archE942ELNS1_3gpuE9ELNS1_3repE0EEENS1_30default_config_static_selectorELNS0_4arch9wavefront6targetE1EEEvSP_,"axG",@progbits,_ZN7rocprim17ROCPRIM_400000_NS6detail17trampoline_kernelINS0_14default_configENS1_27lower_bound_config_selectorIdiEEZNS1_14transform_implILb0ES3_S5_N6thrust23THRUST_200600_302600_NS6detail15normal_iteratorINS8_10device_ptrIdEEEENSA_INSB_IiEEEEZNS1_13binary_searchIS3_S5_SD_SD_SF_NS1_21lower_bound_search_opENS9_16wrapped_functionINS0_4lessIvEEbEEEE10hipError_tPvRmT1_T2_T3_mmT4_T5_P12ihipStream_tbEUlRKdE_EESM_SQ_SR_mSS_SV_bEUlT_E_NS1_11comp_targetILNS1_3genE5ELNS1_11target_archE942ELNS1_3gpuE9ELNS1_3repE0EEENS1_30default_config_static_selectorELNS0_4arch9wavefront6targetE1EEEvSP_,comdat
.Lfunc_end252:
	.size	_ZN7rocprim17ROCPRIM_400000_NS6detail17trampoline_kernelINS0_14default_configENS1_27lower_bound_config_selectorIdiEEZNS1_14transform_implILb0ES3_S5_N6thrust23THRUST_200600_302600_NS6detail15normal_iteratorINS8_10device_ptrIdEEEENSA_INSB_IiEEEEZNS1_13binary_searchIS3_S5_SD_SD_SF_NS1_21lower_bound_search_opENS9_16wrapped_functionINS0_4lessIvEEbEEEE10hipError_tPvRmT1_T2_T3_mmT4_T5_P12ihipStream_tbEUlRKdE_EESM_SQ_SR_mSS_SV_bEUlT_E_NS1_11comp_targetILNS1_3genE5ELNS1_11target_archE942ELNS1_3gpuE9ELNS1_3repE0EEENS1_30default_config_static_selectorELNS0_4arch9wavefront6targetE1EEEvSP_, .Lfunc_end252-_ZN7rocprim17ROCPRIM_400000_NS6detail17trampoline_kernelINS0_14default_configENS1_27lower_bound_config_selectorIdiEEZNS1_14transform_implILb0ES3_S5_N6thrust23THRUST_200600_302600_NS6detail15normal_iteratorINS8_10device_ptrIdEEEENSA_INSB_IiEEEEZNS1_13binary_searchIS3_S5_SD_SD_SF_NS1_21lower_bound_search_opENS9_16wrapped_functionINS0_4lessIvEEbEEEE10hipError_tPvRmT1_T2_T3_mmT4_T5_P12ihipStream_tbEUlRKdE_EESM_SQ_SR_mSS_SV_bEUlT_E_NS1_11comp_targetILNS1_3genE5ELNS1_11target_archE942ELNS1_3gpuE9ELNS1_3repE0EEENS1_30default_config_static_selectorELNS0_4arch9wavefront6targetE1EEEvSP_
                                        ; -- End function
	.section	.AMDGPU.csdata,"",@progbits
; Kernel info:
; codeLenInByte = 0
; NumSgprs: 4
; NumVgprs: 0
; NumAgprs: 0
; TotalNumVgprs: 0
; ScratchSize: 0
; MemoryBound: 0
; FloatMode: 240
; IeeeMode: 1
; LDSByteSize: 0 bytes/workgroup (compile time only)
; SGPRBlocks: 0
; VGPRBlocks: 0
; NumSGPRsForWavesPerEU: 4
; NumVGPRsForWavesPerEU: 1
; AccumOffset: 4
; Occupancy: 8
; WaveLimiterHint : 0
; COMPUTE_PGM_RSRC2:SCRATCH_EN: 0
; COMPUTE_PGM_RSRC2:USER_SGPR: 6
; COMPUTE_PGM_RSRC2:TRAP_HANDLER: 0
; COMPUTE_PGM_RSRC2:TGID_X_EN: 1
; COMPUTE_PGM_RSRC2:TGID_Y_EN: 0
; COMPUTE_PGM_RSRC2:TGID_Z_EN: 0
; COMPUTE_PGM_RSRC2:TIDIG_COMP_CNT: 0
; COMPUTE_PGM_RSRC3_GFX90A:ACCUM_OFFSET: 0
; COMPUTE_PGM_RSRC3_GFX90A:TG_SPLIT: 0
	.section	.text._ZN7rocprim17ROCPRIM_400000_NS6detail17trampoline_kernelINS0_14default_configENS1_27lower_bound_config_selectorIdiEEZNS1_14transform_implILb0ES3_S5_N6thrust23THRUST_200600_302600_NS6detail15normal_iteratorINS8_10device_ptrIdEEEENSA_INSB_IiEEEEZNS1_13binary_searchIS3_S5_SD_SD_SF_NS1_21lower_bound_search_opENS9_16wrapped_functionINS0_4lessIvEEbEEEE10hipError_tPvRmT1_T2_T3_mmT4_T5_P12ihipStream_tbEUlRKdE_EESM_SQ_SR_mSS_SV_bEUlT_E_NS1_11comp_targetILNS1_3genE4ELNS1_11target_archE910ELNS1_3gpuE8ELNS1_3repE0EEENS1_30default_config_static_selectorELNS0_4arch9wavefront6targetE1EEEvSP_,"axG",@progbits,_ZN7rocprim17ROCPRIM_400000_NS6detail17trampoline_kernelINS0_14default_configENS1_27lower_bound_config_selectorIdiEEZNS1_14transform_implILb0ES3_S5_N6thrust23THRUST_200600_302600_NS6detail15normal_iteratorINS8_10device_ptrIdEEEENSA_INSB_IiEEEEZNS1_13binary_searchIS3_S5_SD_SD_SF_NS1_21lower_bound_search_opENS9_16wrapped_functionINS0_4lessIvEEbEEEE10hipError_tPvRmT1_T2_T3_mmT4_T5_P12ihipStream_tbEUlRKdE_EESM_SQ_SR_mSS_SV_bEUlT_E_NS1_11comp_targetILNS1_3genE4ELNS1_11target_archE910ELNS1_3gpuE8ELNS1_3repE0EEENS1_30default_config_static_selectorELNS0_4arch9wavefront6targetE1EEEvSP_,comdat
	.protected	_ZN7rocprim17ROCPRIM_400000_NS6detail17trampoline_kernelINS0_14default_configENS1_27lower_bound_config_selectorIdiEEZNS1_14transform_implILb0ES3_S5_N6thrust23THRUST_200600_302600_NS6detail15normal_iteratorINS8_10device_ptrIdEEEENSA_INSB_IiEEEEZNS1_13binary_searchIS3_S5_SD_SD_SF_NS1_21lower_bound_search_opENS9_16wrapped_functionINS0_4lessIvEEbEEEE10hipError_tPvRmT1_T2_T3_mmT4_T5_P12ihipStream_tbEUlRKdE_EESM_SQ_SR_mSS_SV_bEUlT_E_NS1_11comp_targetILNS1_3genE4ELNS1_11target_archE910ELNS1_3gpuE8ELNS1_3repE0EEENS1_30default_config_static_selectorELNS0_4arch9wavefront6targetE1EEEvSP_ ; -- Begin function _ZN7rocprim17ROCPRIM_400000_NS6detail17trampoline_kernelINS0_14default_configENS1_27lower_bound_config_selectorIdiEEZNS1_14transform_implILb0ES3_S5_N6thrust23THRUST_200600_302600_NS6detail15normal_iteratorINS8_10device_ptrIdEEEENSA_INSB_IiEEEEZNS1_13binary_searchIS3_S5_SD_SD_SF_NS1_21lower_bound_search_opENS9_16wrapped_functionINS0_4lessIvEEbEEEE10hipError_tPvRmT1_T2_T3_mmT4_T5_P12ihipStream_tbEUlRKdE_EESM_SQ_SR_mSS_SV_bEUlT_E_NS1_11comp_targetILNS1_3genE4ELNS1_11target_archE910ELNS1_3gpuE8ELNS1_3repE0EEENS1_30default_config_static_selectorELNS0_4arch9wavefront6targetE1EEEvSP_
	.globl	_ZN7rocprim17ROCPRIM_400000_NS6detail17trampoline_kernelINS0_14default_configENS1_27lower_bound_config_selectorIdiEEZNS1_14transform_implILb0ES3_S5_N6thrust23THRUST_200600_302600_NS6detail15normal_iteratorINS8_10device_ptrIdEEEENSA_INSB_IiEEEEZNS1_13binary_searchIS3_S5_SD_SD_SF_NS1_21lower_bound_search_opENS9_16wrapped_functionINS0_4lessIvEEbEEEE10hipError_tPvRmT1_T2_T3_mmT4_T5_P12ihipStream_tbEUlRKdE_EESM_SQ_SR_mSS_SV_bEUlT_E_NS1_11comp_targetILNS1_3genE4ELNS1_11target_archE910ELNS1_3gpuE8ELNS1_3repE0EEENS1_30default_config_static_selectorELNS0_4arch9wavefront6targetE1EEEvSP_
	.p2align	8
	.type	_ZN7rocprim17ROCPRIM_400000_NS6detail17trampoline_kernelINS0_14default_configENS1_27lower_bound_config_selectorIdiEEZNS1_14transform_implILb0ES3_S5_N6thrust23THRUST_200600_302600_NS6detail15normal_iteratorINS8_10device_ptrIdEEEENSA_INSB_IiEEEEZNS1_13binary_searchIS3_S5_SD_SD_SF_NS1_21lower_bound_search_opENS9_16wrapped_functionINS0_4lessIvEEbEEEE10hipError_tPvRmT1_T2_T3_mmT4_T5_P12ihipStream_tbEUlRKdE_EESM_SQ_SR_mSS_SV_bEUlT_E_NS1_11comp_targetILNS1_3genE4ELNS1_11target_archE910ELNS1_3gpuE8ELNS1_3repE0EEENS1_30default_config_static_selectorELNS0_4arch9wavefront6targetE1EEEvSP_,@function
_ZN7rocprim17ROCPRIM_400000_NS6detail17trampoline_kernelINS0_14default_configENS1_27lower_bound_config_selectorIdiEEZNS1_14transform_implILb0ES3_S5_N6thrust23THRUST_200600_302600_NS6detail15normal_iteratorINS8_10device_ptrIdEEEENSA_INSB_IiEEEEZNS1_13binary_searchIS3_S5_SD_SD_SF_NS1_21lower_bound_search_opENS9_16wrapped_functionINS0_4lessIvEEbEEEE10hipError_tPvRmT1_T2_T3_mmT4_T5_P12ihipStream_tbEUlRKdE_EESM_SQ_SR_mSS_SV_bEUlT_E_NS1_11comp_targetILNS1_3genE4ELNS1_11target_archE910ELNS1_3gpuE8ELNS1_3repE0EEENS1_30default_config_static_selectorELNS0_4arch9wavefront6targetE1EEEvSP_: ; @_ZN7rocprim17ROCPRIM_400000_NS6detail17trampoline_kernelINS0_14default_configENS1_27lower_bound_config_selectorIdiEEZNS1_14transform_implILb0ES3_S5_N6thrust23THRUST_200600_302600_NS6detail15normal_iteratorINS8_10device_ptrIdEEEENSA_INSB_IiEEEEZNS1_13binary_searchIS3_S5_SD_SD_SF_NS1_21lower_bound_search_opENS9_16wrapped_functionINS0_4lessIvEEbEEEE10hipError_tPvRmT1_T2_T3_mmT4_T5_P12ihipStream_tbEUlRKdE_EESM_SQ_SR_mSS_SV_bEUlT_E_NS1_11comp_targetILNS1_3genE4ELNS1_11target_archE910ELNS1_3gpuE8ELNS1_3repE0EEENS1_30default_config_static_selectorELNS0_4arch9wavefront6targetE1EEEvSP_
; %bb.0:
	s_load_dwordx4 s[16:19], s[4:5], 0x0
	s_load_dwordx4 s[0:3], s[4:5], 0x18
	s_load_dwordx2 s[10:11], s[4:5], 0x28
	s_load_dword s15, s[4:5], 0x38
	s_waitcnt lgkmcnt(0)
	s_lshl_b64 s[8:9], s[18:19], 3
	s_add_u32 s7, s16, s8
	s_addc_u32 s14, s17, s9
	s_lshl_b64 s[8:9], s[18:19], 2
	s_add_u32 s12, s0, s8
	s_addc_u32 s13, s1, s9
	s_lshl_b32 s8, s6, 6
	s_add_i32 s15, s15, -1
	s_mov_b32 s9, 0
	s_cmp_lg_u32 s6, s15
	s_mov_b64 s[0:1], -1
	s_cbranch_scc0 .LBB253_6
; %bb.1:
	v_mov_b32_e32 v2, 0
	s_cmp_eq_u64 s[10:11], 0
	s_mov_b64 s[0:1], 0
	s_cbranch_scc1 .LBB253_5
; %bb.2:
	s_lshl_b64 s[16:17], s[8:9], 3
	s_add_u32 s6, s7, s16
	s_addc_u32 s15, s14, s17
	v_lshlrev_b32_e32 v1, 3, v0
	v_mov_b32_e32 v3, s15
	v_add_co_u32_e32 v2, vcc, s6, v1
	v_addc_co_u32_e32 v3, vcc, 0, v3, vcc
	flat_load_dwordx2 v[4:5], v[2:3]
	v_pk_mov_b32 v[2:3], 0, 0
	v_pk_mov_b32 v[6:7], s[10:11], s[10:11] op_sel:[0,1]
	v_mov_b32_e32 v1, s3
.LBB253_3:                              ; =>This Inner Loop Header: Depth=1
	v_sub_co_u32_e32 v8, vcc, v6, v2
	v_subb_co_u32_e32 v9, vcc, v7, v3, vcc
	v_lshrrev_b64 v[10:11], 1, v[8:9]
	v_add_co_u32_e32 v10, vcc, v10, v2
	v_lshrrev_b64 v[8:9], 6, v[8:9]
	v_addc_co_u32_e32 v11, vcc, v11, v3, vcc
	v_add_co_u32_e32 v8, vcc, v10, v8
	v_addc_co_u32_e32 v9, vcc, v11, v9, vcc
	v_lshlrev_b64 v[10:11], 3, v[8:9]
	v_add_co_u32_e32 v10, vcc, s2, v10
	v_addc_co_u32_e32 v11, vcc, v1, v11, vcc
	global_load_dwordx2 v[10:11], v[10:11], off
	v_add_co_u32_e32 v12, vcc, 1, v8
	v_addc_co_u32_e32 v13, vcc, 0, v9, vcc
	s_waitcnt vmcnt(0) lgkmcnt(0)
	v_cmp_lt_f64_e32 vcc, v[10:11], v[4:5]
	v_cndmask_b32_e32 v7, v9, v7, vcc
	v_cndmask_b32_e32 v6, v8, v6, vcc
	v_cndmask_b32_e32 v3, v3, v13, vcc
	v_cndmask_b32_e32 v2, v2, v12, vcc
	v_cmp_ge_u64_e32 vcc, v[2:3], v[6:7]
	s_or_b64 s[0:1], vcc, s[0:1]
	s_andn2_b64 exec, exec, s[0:1]
	s_cbranch_execnz .LBB253_3
; %bb.4:
	s_or_b64 exec, exec, s[0:1]
.LBB253_5:
	s_lshl_b64 s[0:1], s[8:9], 2
	s_add_u32 s0, s12, s0
	s_addc_u32 s1, s13, s1
	v_lshlrev_b32_e32 v1, 2, v0
	v_mov_b32_e32 v3, s1
	v_add_co_u32_e32 v4, vcc, s0, v1
	v_addc_co_u32_e32 v5, vcc, 0, v3, vcc
	s_mov_b64 s[0:1], 0
	flat_store_dword v[4:5], v2
.LBB253_6:
	s_and_b64 vcc, exec, s[0:1]
	s_cbranch_vccz .LBB253_11
; %bb.7:
	s_load_dword s0, s[4:5], 0x10
                                        ; implicit-def: $vgpr4_vgpr5
	s_waitcnt lgkmcnt(0)
	s_sub_i32 s0, s0, s8
	v_cmp_gt_u32_e32 vcc, s0, v0
	s_and_saveexec_b64 s[4:5], vcc
	s_cbranch_execnz .LBB253_12
; %bb.8:
	s_or_b64 exec, exec, s[4:5]
                                        ; implicit-def: $vgpr2
	s_and_saveexec_b64 s[4:5], vcc
	s_cbranch_execnz .LBB253_13
.LBB253_9:
	s_or_b64 exec, exec, s[4:5]
	s_and_saveexec_b64 s[0:1], vcc
	s_cbranch_execz .LBB253_11
.LBB253_10:
	s_lshl_b64 s[0:1], s[8:9], 2
	s_add_u32 s0, s12, s0
	s_addc_u32 s1, s13, s1
	v_lshlrev_b32_e32 v0, 2, v0
	v_mov_b32_e32 v1, s1
	v_add_co_u32_e32 v0, vcc, s0, v0
	v_addc_co_u32_e32 v1, vcc, 0, v1, vcc
	flat_store_dword v[0:1], v2
.LBB253_11:
	s_endpgm
.LBB253_12:
	s_lshl_b64 s[0:1], s[8:9], 3
	s_add_u32 s0, s7, s0
	s_addc_u32 s1, s14, s1
	v_lshlrev_b32_e32 v1, 3, v0
	v_mov_b32_e32 v3, s1
	v_add_co_u32_e64 v2, s[0:1], s0, v1
	v_addc_co_u32_e64 v3, s[0:1], 0, v3, s[0:1]
	flat_load_dwordx2 v[4:5], v[2:3]
	s_or_b64 exec, exec, s[4:5]
                                        ; implicit-def: $vgpr2
	s_and_saveexec_b64 s[4:5], vcc
	s_cbranch_execz .LBB253_9
.LBB253_13:
	s_cmp_eq_u64 s[10:11], 0
	s_mov_b64 s[6:7], 0
	s_cbranch_scc1 .LBB253_17
; %bb.14:
	v_pk_mov_b32 v[2:3], 0, 0
	v_pk_mov_b32 v[6:7], s[10:11], s[10:11] op_sel:[0,1]
	v_mov_b32_e32 v1, s3
.LBB253_15:                             ; =>This Inner Loop Header: Depth=1
	v_sub_co_u32_e64 v8, s[0:1], v6, v2
	v_subb_co_u32_e64 v9, s[0:1], v7, v3, s[0:1]
	v_lshrrev_b64 v[10:11], 1, v[8:9]
	v_add_co_u32_e64 v10, s[0:1], v10, v2
	v_lshrrev_b64 v[8:9], 6, v[8:9]
	v_addc_co_u32_e64 v11, s[0:1], v11, v3, s[0:1]
	v_add_co_u32_e64 v8, s[0:1], v10, v8
	v_addc_co_u32_e64 v9, s[0:1], v11, v9, s[0:1]
	v_lshlrev_b64 v[10:11], 3, v[8:9]
	v_add_co_u32_e64 v10, s[0:1], s2, v10
	v_addc_co_u32_e64 v11, s[0:1], v1, v11, s[0:1]
	global_load_dwordx2 v[10:11], v[10:11], off
	v_add_co_u32_e64 v12, s[0:1], 1, v8
	v_addc_co_u32_e64 v13, s[0:1], 0, v9, s[0:1]
	s_waitcnt vmcnt(0) lgkmcnt(0)
	v_cmp_lt_f64_e64 s[0:1], v[10:11], v[4:5]
	v_cndmask_b32_e64 v7, v9, v7, s[0:1]
	v_cndmask_b32_e64 v6, v8, v6, s[0:1]
	;; [unrolled: 1-line block ×4, first 2 shown]
	v_cmp_ge_u64_e64 s[0:1], v[2:3], v[6:7]
	s_or_b64 s[6:7], s[0:1], s[6:7]
	s_andn2_b64 exec, exec, s[6:7]
	s_cbranch_execnz .LBB253_15
; %bb.16:
	s_or_b64 exec, exec, s[6:7]
	s_or_b64 exec, exec, s[4:5]
	s_and_saveexec_b64 s[0:1], vcc
	s_cbranch_execnz .LBB253_10
	s_branch .LBB253_11
.LBB253_17:
	v_mov_b32_e32 v2, 0
	s_or_b64 exec, exec, s[4:5]
	s_and_saveexec_b64 s[0:1], vcc
	s_cbranch_execnz .LBB253_10
	s_branch .LBB253_11
	.section	.rodata,"a",@progbits
	.p2align	6, 0x0
	.amdhsa_kernel _ZN7rocprim17ROCPRIM_400000_NS6detail17trampoline_kernelINS0_14default_configENS1_27lower_bound_config_selectorIdiEEZNS1_14transform_implILb0ES3_S5_N6thrust23THRUST_200600_302600_NS6detail15normal_iteratorINS8_10device_ptrIdEEEENSA_INSB_IiEEEEZNS1_13binary_searchIS3_S5_SD_SD_SF_NS1_21lower_bound_search_opENS9_16wrapped_functionINS0_4lessIvEEbEEEE10hipError_tPvRmT1_T2_T3_mmT4_T5_P12ihipStream_tbEUlRKdE_EESM_SQ_SR_mSS_SV_bEUlT_E_NS1_11comp_targetILNS1_3genE4ELNS1_11target_archE910ELNS1_3gpuE8ELNS1_3repE0EEENS1_30default_config_static_selectorELNS0_4arch9wavefront6targetE1EEEvSP_
		.amdhsa_group_segment_fixed_size 0
		.amdhsa_private_segment_fixed_size 0
		.amdhsa_kernarg_size 312
		.amdhsa_user_sgpr_count 6
		.amdhsa_user_sgpr_private_segment_buffer 1
		.amdhsa_user_sgpr_dispatch_ptr 0
		.amdhsa_user_sgpr_queue_ptr 0
		.amdhsa_user_sgpr_kernarg_segment_ptr 1
		.amdhsa_user_sgpr_dispatch_id 0
		.amdhsa_user_sgpr_flat_scratch_init 0
		.amdhsa_user_sgpr_kernarg_preload_length 0
		.amdhsa_user_sgpr_kernarg_preload_offset 0
		.amdhsa_user_sgpr_private_segment_size 0
		.amdhsa_uses_dynamic_stack 0
		.amdhsa_system_sgpr_private_segment_wavefront_offset 0
		.amdhsa_system_sgpr_workgroup_id_x 1
		.amdhsa_system_sgpr_workgroup_id_y 0
		.amdhsa_system_sgpr_workgroup_id_z 0
		.amdhsa_system_sgpr_workgroup_info 0
		.amdhsa_system_vgpr_workitem_id 0
		.amdhsa_next_free_vgpr 14
		.amdhsa_next_free_sgpr 20
		.amdhsa_accum_offset 16
		.amdhsa_reserve_vcc 1
		.amdhsa_reserve_flat_scratch 0
		.amdhsa_float_round_mode_32 0
		.amdhsa_float_round_mode_16_64 0
		.amdhsa_float_denorm_mode_32 3
		.amdhsa_float_denorm_mode_16_64 3
		.amdhsa_dx10_clamp 1
		.amdhsa_ieee_mode 1
		.amdhsa_fp16_overflow 0
		.amdhsa_tg_split 0
		.amdhsa_exception_fp_ieee_invalid_op 0
		.amdhsa_exception_fp_denorm_src 0
		.amdhsa_exception_fp_ieee_div_zero 0
		.amdhsa_exception_fp_ieee_overflow 0
		.amdhsa_exception_fp_ieee_underflow 0
		.amdhsa_exception_fp_ieee_inexact 0
		.amdhsa_exception_int_div_zero 0
	.end_amdhsa_kernel
	.section	.text._ZN7rocprim17ROCPRIM_400000_NS6detail17trampoline_kernelINS0_14default_configENS1_27lower_bound_config_selectorIdiEEZNS1_14transform_implILb0ES3_S5_N6thrust23THRUST_200600_302600_NS6detail15normal_iteratorINS8_10device_ptrIdEEEENSA_INSB_IiEEEEZNS1_13binary_searchIS3_S5_SD_SD_SF_NS1_21lower_bound_search_opENS9_16wrapped_functionINS0_4lessIvEEbEEEE10hipError_tPvRmT1_T2_T3_mmT4_T5_P12ihipStream_tbEUlRKdE_EESM_SQ_SR_mSS_SV_bEUlT_E_NS1_11comp_targetILNS1_3genE4ELNS1_11target_archE910ELNS1_3gpuE8ELNS1_3repE0EEENS1_30default_config_static_selectorELNS0_4arch9wavefront6targetE1EEEvSP_,"axG",@progbits,_ZN7rocprim17ROCPRIM_400000_NS6detail17trampoline_kernelINS0_14default_configENS1_27lower_bound_config_selectorIdiEEZNS1_14transform_implILb0ES3_S5_N6thrust23THRUST_200600_302600_NS6detail15normal_iteratorINS8_10device_ptrIdEEEENSA_INSB_IiEEEEZNS1_13binary_searchIS3_S5_SD_SD_SF_NS1_21lower_bound_search_opENS9_16wrapped_functionINS0_4lessIvEEbEEEE10hipError_tPvRmT1_T2_T3_mmT4_T5_P12ihipStream_tbEUlRKdE_EESM_SQ_SR_mSS_SV_bEUlT_E_NS1_11comp_targetILNS1_3genE4ELNS1_11target_archE910ELNS1_3gpuE8ELNS1_3repE0EEENS1_30default_config_static_selectorELNS0_4arch9wavefront6targetE1EEEvSP_,comdat
.Lfunc_end253:
	.size	_ZN7rocprim17ROCPRIM_400000_NS6detail17trampoline_kernelINS0_14default_configENS1_27lower_bound_config_selectorIdiEEZNS1_14transform_implILb0ES3_S5_N6thrust23THRUST_200600_302600_NS6detail15normal_iteratorINS8_10device_ptrIdEEEENSA_INSB_IiEEEEZNS1_13binary_searchIS3_S5_SD_SD_SF_NS1_21lower_bound_search_opENS9_16wrapped_functionINS0_4lessIvEEbEEEE10hipError_tPvRmT1_T2_T3_mmT4_T5_P12ihipStream_tbEUlRKdE_EESM_SQ_SR_mSS_SV_bEUlT_E_NS1_11comp_targetILNS1_3genE4ELNS1_11target_archE910ELNS1_3gpuE8ELNS1_3repE0EEENS1_30default_config_static_selectorELNS0_4arch9wavefront6targetE1EEEvSP_, .Lfunc_end253-_ZN7rocprim17ROCPRIM_400000_NS6detail17trampoline_kernelINS0_14default_configENS1_27lower_bound_config_selectorIdiEEZNS1_14transform_implILb0ES3_S5_N6thrust23THRUST_200600_302600_NS6detail15normal_iteratorINS8_10device_ptrIdEEEENSA_INSB_IiEEEEZNS1_13binary_searchIS3_S5_SD_SD_SF_NS1_21lower_bound_search_opENS9_16wrapped_functionINS0_4lessIvEEbEEEE10hipError_tPvRmT1_T2_T3_mmT4_T5_P12ihipStream_tbEUlRKdE_EESM_SQ_SR_mSS_SV_bEUlT_E_NS1_11comp_targetILNS1_3genE4ELNS1_11target_archE910ELNS1_3gpuE8ELNS1_3repE0EEENS1_30default_config_static_selectorELNS0_4arch9wavefront6targetE1EEEvSP_
                                        ; -- End function
	.section	.AMDGPU.csdata,"",@progbits
; Kernel info:
; codeLenInByte = 716
; NumSgprs: 24
; NumVgprs: 14
; NumAgprs: 0
; TotalNumVgprs: 14
; ScratchSize: 0
; MemoryBound: 0
; FloatMode: 240
; IeeeMode: 1
; LDSByteSize: 0 bytes/workgroup (compile time only)
; SGPRBlocks: 2
; VGPRBlocks: 1
; NumSGPRsForWavesPerEU: 24
; NumVGPRsForWavesPerEU: 14
; AccumOffset: 16
; Occupancy: 8
; WaveLimiterHint : 0
; COMPUTE_PGM_RSRC2:SCRATCH_EN: 0
; COMPUTE_PGM_RSRC2:USER_SGPR: 6
; COMPUTE_PGM_RSRC2:TRAP_HANDLER: 0
; COMPUTE_PGM_RSRC2:TGID_X_EN: 1
; COMPUTE_PGM_RSRC2:TGID_Y_EN: 0
; COMPUTE_PGM_RSRC2:TGID_Z_EN: 0
; COMPUTE_PGM_RSRC2:TIDIG_COMP_CNT: 0
; COMPUTE_PGM_RSRC3_GFX90A:ACCUM_OFFSET: 3
; COMPUTE_PGM_RSRC3_GFX90A:TG_SPLIT: 0
	.section	.text._ZN7rocprim17ROCPRIM_400000_NS6detail17trampoline_kernelINS0_14default_configENS1_27lower_bound_config_selectorIdiEEZNS1_14transform_implILb0ES3_S5_N6thrust23THRUST_200600_302600_NS6detail15normal_iteratorINS8_10device_ptrIdEEEENSA_INSB_IiEEEEZNS1_13binary_searchIS3_S5_SD_SD_SF_NS1_21lower_bound_search_opENS9_16wrapped_functionINS0_4lessIvEEbEEEE10hipError_tPvRmT1_T2_T3_mmT4_T5_P12ihipStream_tbEUlRKdE_EESM_SQ_SR_mSS_SV_bEUlT_E_NS1_11comp_targetILNS1_3genE3ELNS1_11target_archE908ELNS1_3gpuE7ELNS1_3repE0EEENS1_30default_config_static_selectorELNS0_4arch9wavefront6targetE1EEEvSP_,"axG",@progbits,_ZN7rocprim17ROCPRIM_400000_NS6detail17trampoline_kernelINS0_14default_configENS1_27lower_bound_config_selectorIdiEEZNS1_14transform_implILb0ES3_S5_N6thrust23THRUST_200600_302600_NS6detail15normal_iteratorINS8_10device_ptrIdEEEENSA_INSB_IiEEEEZNS1_13binary_searchIS3_S5_SD_SD_SF_NS1_21lower_bound_search_opENS9_16wrapped_functionINS0_4lessIvEEbEEEE10hipError_tPvRmT1_T2_T3_mmT4_T5_P12ihipStream_tbEUlRKdE_EESM_SQ_SR_mSS_SV_bEUlT_E_NS1_11comp_targetILNS1_3genE3ELNS1_11target_archE908ELNS1_3gpuE7ELNS1_3repE0EEENS1_30default_config_static_selectorELNS0_4arch9wavefront6targetE1EEEvSP_,comdat
	.protected	_ZN7rocprim17ROCPRIM_400000_NS6detail17trampoline_kernelINS0_14default_configENS1_27lower_bound_config_selectorIdiEEZNS1_14transform_implILb0ES3_S5_N6thrust23THRUST_200600_302600_NS6detail15normal_iteratorINS8_10device_ptrIdEEEENSA_INSB_IiEEEEZNS1_13binary_searchIS3_S5_SD_SD_SF_NS1_21lower_bound_search_opENS9_16wrapped_functionINS0_4lessIvEEbEEEE10hipError_tPvRmT1_T2_T3_mmT4_T5_P12ihipStream_tbEUlRKdE_EESM_SQ_SR_mSS_SV_bEUlT_E_NS1_11comp_targetILNS1_3genE3ELNS1_11target_archE908ELNS1_3gpuE7ELNS1_3repE0EEENS1_30default_config_static_selectorELNS0_4arch9wavefront6targetE1EEEvSP_ ; -- Begin function _ZN7rocprim17ROCPRIM_400000_NS6detail17trampoline_kernelINS0_14default_configENS1_27lower_bound_config_selectorIdiEEZNS1_14transform_implILb0ES3_S5_N6thrust23THRUST_200600_302600_NS6detail15normal_iteratorINS8_10device_ptrIdEEEENSA_INSB_IiEEEEZNS1_13binary_searchIS3_S5_SD_SD_SF_NS1_21lower_bound_search_opENS9_16wrapped_functionINS0_4lessIvEEbEEEE10hipError_tPvRmT1_T2_T3_mmT4_T5_P12ihipStream_tbEUlRKdE_EESM_SQ_SR_mSS_SV_bEUlT_E_NS1_11comp_targetILNS1_3genE3ELNS1_11target_archE908ELNS1_3gpuE7ELNS1_3repE0EEENS1_30default_config_static_selectorELNS0_4arch9wavefront6targetE1EEEvSP_
	.globl	_ZN7rocprim17ROCPRIM_400000_NS6detail17trampoline_kernelINS0_14default_configENS1_27lower_bound_config_selectorIdiEEZNS1_14transform_implILb0ES3_S5_N6thrust23THRUST_200600_302600_NS6detail15normal_iteratorINS8_10device_ptrIdEEEENSA_INSB_IiEEEEZNS1_13binary_searchIS3_S5_SD_SD_SF_NS1_21lower_bound_search_opENS9_16wrapped_functionINS0_4lessIvEEbEEEE10hipError_tPvRmT1_T2_T3_mmT4_T5_P12ihipStream_tbEUlRKdE_EESM_SQ_SR_mSS_SV_bEUlT_E_NS1_11comp_targetILNS1_3genE3ELNS1_11target_archE908ELNS1_3gpuE7ELNS1_3repE0EEENS1_30default_config_static_selectorELNS0_4arch9wavefront6targetE1EEEvSP_
	.p2align	8
	.type	_ZN7rocprim17ROCPRIM_400000_NS6detail17trampoline_kernelINS0_14default_configENS1_27lower_bound_config_selectorIdiEEZNS1_14transform_implILb0ES3_S5_N6thrust23THRUST_200600_302600_NS6detail15normal_iteratorINS8_10device_ptrIdEEEENSA_INSB_IiEEEEZNS1_13binary_searchIS3_S5_SD_SD_SF_NS1_21lower_bound_search_opENS9_16wrapped_functionINS0_4lessIvEEbEEEE10hipError_tPvRmT1_T2_T3_mmT4_T5_P12ihipStream_tbEUlRKdE_EESM_SQ_SR_mSS_SV_bEUlT_E_NS1_11comp_targetILNS1_3genE3ELNS1_11target_archE908ELNS1_3gpuE7ELNS1_3repE0EEENS1_30default_config_static_selectorELNS0_4arch9wavefront6targetE1EEEvSP_,@function
_ZN7rocprim17ROCPRIM_400000_NS6detail17trampoline_kernelINS0_14default_configENS1_27lower_bound_config_selectorIdiEEZNS1_14transform_implILb0ES3_S5_N6thrust23THRUST_200600_302600_NS6detail15normal_iteratorINS8_10device_ptrIdEEEENSA_INSB_IiEEEEZNS1_13binary_searchIS3_S5_SD_SD_SF_NS1_21lower_bound_search_opENS9_16wrapped_functionINS0_4lessIvEEbEEEE10hipError_tPvRmT1_T2_T3_mmT4_T5_P12ihipStream_tbEUlRKdE_EESM_SQ_SR_mSS_SV_bEUlT_E_NS1_11comp_targetILNS1_3genE3ELNS1_11target_archE908ELNS1_3gpuE7ELNS1_3repE0EEENS1_30default_config_static_selectorELNS0_4arch9wavefront6targetE1EEEvSP_: ; @_ZN7rocprim17ROCPRIM_400000_NS6detail17trampoline_kernelINS0_14default_configENS1_27lower_bound_config_selectorIdiEEZNS1_14transform_implILb0ES3_S5_N6thrust23THRUST_200600_302600_NS6detail15normal_iteratorINS8_10device_ptrIdEEEENSA_INSB_IiEEEEZNS1_13binary_searchIS3_S5_SD_SD_SF_NS1_21lower_bound_search_opENS9_16wrapped_functionINS0_4lessIvEEbEEEE10hipError_tPvRmT1_T2_T3_mmT4_T5_P12ihipStream_tbEUlRKdE_EESM_SQ_SR_mSS_SV_bEUlT_E_NS1_11comp_targetILNS1_3genE3ELNS1_11target_archE908ELNS1_3gpuE7ELNS1_3repE0EEENS1_30default_config_static_selectorELNS0_4arch9wavefront6targetE1EEEvSP_
; %bb.0:
	.section	.rodata,"a",@progbits
	.p2align	6, 0x0
	.amdhsa_kernel _ZN7rocprim17ROCPRIM_400000_NS6detail17trampoline_kernelINS0_14default_configENS1_27lower_bound_config_selectorIdiEEZNS1_14transform_implILb0ES3_S5_N6thrust23THRUST_200600_302600_NS6detail15normal_iteratorINS8_10device_ptrIdEEEENSA_INSB_IiEEEEZNS1_13binary_searchIS3_S5_SD_SD_SF_NS1_21lower_bound_search_opENS9_16wrapped_functionINS0_4lessIvEEbEEEE10hipError_tPvRmT1_T2_T3_mmT4_T5_P12ihipStream_tbEUlRKdE_EESM_SQ_SR_mSS_SV_bEUlT_E_NS1_11comp_targetILNS1_3genE3ELNS1_11target_archE908ELNS1_3gpuE7ELNS1_3repE0EEENS1_30default_config_static_selectorELNS0_4arch9wavefront6targetE1EEEvSP_
		.amdhsa_group_segment_fixed_size 0
		.amdhsa_private_segment_fixed_size 0
		.amdhsa_kernarg_size 56
		.amdhsa_user_sgpr_count 6
		.amdhsa_user_sgpr_private_segment_buffer 1
		.amdhsa_user_sgpr_dispatch_ptr 0
		.amdhsa_user_sgpr_queue_ptr 0
		.amdhsa_user_sgpr_kernarg_segment_ptr 1
		.amdhsa_user_sgpr_dispatch_id 0
		.amdhsa_user_sgpr_flat_scratch_init 0
		.amdhsa_user_sgpr_kernarg_preload_length 0
		.amdhsa_user_sgpr_kernarg_preload_offset 0
		.amdhsa_user_sgpr_private_segment_size 0
		.amdhsa_uses_dynamic_stack 0
		.amdhsa_system_sgpr_private_segment_wavefront_offset 0
		.amdhsa_system_sgpr_workgroup_id_x 1
		.amdhsa_system_sgpr_workgroup_id_y 0
		.amdhsa_system_sgpr_workgroup_id_z 0
		.amdhsa_system_sgpr_workgroup_info 0
		.amdhsa_system_vgpr_workitem_id 0
		.amdhsa_next_free_vgpr 1
		.amdhsa_next_free_sgpr 0
		.amdhsa_accum_offset 4
		.amdhsa_reserve_vcc 0
		.amdhsa_reserve_flat_scratch 0
		.amdhsa_float_round_mode_32 0
		.amdhsa_float_round_mode_16_64 0
		.amdhsa_float_denorm_mode_32 3
		.amdhsa_float_denorm_mode_16_64 3
		.amdhsa_dx10_clamp 1
		.amdhsa_ieee_mode 1
		.amdhsa_fp16_overflow 0
		.amdhsa_tg_split 0
		.amdhsa_exception_fp_ieee_invalid_op 0
		.amdhsa_exception_fp_denorm_src 0
		.amdhsa_exception_fp_ieee_div_zero 0
		.amdhsa_exception_fp_ieee_overflow 0
		.amdhsa_exception_fp_ieee_underflow 0
		.amdhsa_exception_fp_ieee_inexact 0
		.amdhsa_exception_int_div_zero 0
	.end_amdhsa_kernel
	.section	.text._ZN7rocprim17ROCPRIM_400000_NS6detail17trampoline_kernelINS0_14default_configENS1_27lower_bound_config_selectorIdiEEZNS1_14transform_implILb0ES3_S5_N6thrust23THRUST_200600_302600_NS6detail15normal_iteratorINS8_10device_ptrIdEEEENSA_INSB_IiEEEEZNS1_13binary_searchIS3_S5_SD_SD_SF_NS1_21lower_bound_search_opENS9_16wrapped_functionINS0_4lessIvEEbEEEE10hipError_tPvRmT1_T2_T3_mmT4_T5_P12ihipStream_tbEUlRKdE_EESM_SQ_SR_mSS_SV_bEUlT_E_NS1_11comp_targetILNS1_3genE3ELNS1_11target_archE908ELNS1_3gpuE7ELNS1_3repE0EEENS1_30default_config_static_selectorELNS0_4arch9wavefront6targetE1EEEvSP_,"axG",@progbits,_ZN7rocprim17ROCPRIM_400000_NS6detail17trampoline_kernelINS0_14default_configENS1_27lower_bound_config_selectorIdiEEZNS1_14transform_implILb0ES3_S5_N6thrust23THRUST_200600_302600_NS6detail15normal_iteratorINS8_10device_ptrIdEEEENSA_INSB_IiEEEEZNS1_13binary_searchIS3_S5_SD_SD_SF_NS1_21lower_bound_search_opENS9_16wrapped_functionINS0_4lessIvEEbEEEE10hipError_tPvRmT1_T2_T3_mmT4_T5_P12ihipStream_tbEUlRKdE_EESM_SQ_SR_mSS_SV_bEUlT_E_NS1_11comp_targetILNS1_3genE3ELNS1_11target_archE908ELNS1_3gpuE7ELNS1_3repE0EEENS1_30default_config_static_selectorELNS0_4arch9wavefront6targetE1EEEvSP_,comdat
.Lfunc_end254:
	.size	_ZN7rocprim17ROCPRIM_400000_NS6detail17trampoline_kernelINS0_14default_configENS1_27lower_bound_config_selectorIdiEEZNS1_14transform_implILb0ES3_S5_N6thrust23THRUST_200600_302600_NS6detail15normal_iteratorINS8_10device_ptrIdEEEENSA_INSB_IiEEEEZNS1_13binary_searchIS3_S5_SD_SD_SF_NS1_21lower_bound_search_opENS9_16wrapped_functionINS0_4lessIvEEbEEEE10hipError_tPvRmT1_T2_T3_mmT4_T5_P12ihipStream_tbEUlRKdE_EESM_SQ_SR_mSS_SV_bEUlT_E_NS1_11comp_targetILNS1_3genE3ELNS1_11target_archE908ELNS1_3gpuE7ELNS1_3repE0EEENS1_30default_config_static_selectorELNS0_4arch9wavefront6targetE1EEEvSP_, .Lfunc_end254-_ZN7rocprim17ROCPRIM_400000_NS6detail17trampoline_kernelINS0_14default_configENS1_27lower_bound_config_selectorIdiEEZNS1_14transform_implILb0ES3_S5_N6thrust23THRUST_200600_302600_NS6detail15normal_iteratorINS8_10device_ptrIdEEEENSA_INSB_IiEEEEZNS1_13binary_searchIS3_S5_SD_SD_SF_NS1_21lower_bound_search_opENS9_16wrapped_functionINS0_4lessIvEEbEEEE10hipError_tPvRmT1_T2_T3_mmT4_T5_P12ihipStream_tbEUlRKdE_EESM_SQ_SR_mSS_SV_bEUlT_E_NS1_11comp_targetILNS1_3genE3ELNS1_11target_archE908ELNS1_3gpuE7ELNS1_3repE0EEENS1_30default_config_static_selectorELNS0_4arch9wavefront6targetE1EEEvSP_
                                        ; -- End function
	.section	.AMDGPU.csdata,"",@progbits
; Kernel info:
; codeLenInByte = 0
; NumSgprs: 4
; NumVgprs: 0
; NumAgprs: 0
; TotalNumVgprs: 0
; ScratchSize: 0
; MemoryBound: 0
; FloatMode: 240
; IeeeMode: 1
; LDSByteSize: 0 bytes/workgroup (compile time only)
; SGPRBlocks: 0
; VGPRBlocks: 0
; NumSGPRsForWavesPerEU: 4
; NumVGPRsForWavesPerEU: 1
; AccumOffset: 4
; Occupancy: 8
; WaveLimiterHint : 0
; COMPUTE_PGM_RSRC2:SCRATCH_EN: 0
; COMPUTE_PGM_RSRC2:USER_SGPR: 6
; COMPUTE_PGM_RSRC2:TRAP_HANDLER: 0
; COMPUTE_PGM_RSRC2:TGID_X_EN: 1
; COMPUTE_PGM_RSRC2:TGID_Y_EN: 0
; COMPUTE_PGM_RSRC2:TGID_Z_EN: 0
; COMPUTE_PGM_RSRC2:TIDIG_COMP_CNT: 0
; COMPUTE_PGM_RSRC3_GFX90A:ACCUM_OFFSET: 0
; COMPUTE_PGM_RSRC3_GFX90A:TG_SPLIT: 0
	.section	.text._ZN7rocprim17ROCPRIM_400000_NS6detail17trampoline_kernelINS0_14default_configENS1_27lower_bound_config_selectorIdiEEZNS1_14transform_implILb0ES3_S5_N6thrust23THRUST_200600_302600_NS6detail15normal_iteratorINS8_10device_ptrIdEEEENSA_INSB_IiEEEEZNS1_13binary_searchIS3_S5_SD_SD_SF_NS1_21lower_bound_search_opENS9_16wrapped_functionINS0_4lessIvEEbEEEE10hipError_tPvRmT1_T2_T3_mmT4_T5_P12ihipStream_tbEUlRKdE_EESM_SQ_SR_mSS_SV_bEUlT_E_NS1_11comp_targetILNS1_3genE2ELNS1_11target_archE906ELNS1_3gpuE6ELNS1_3repE0EEENS1_30default_config_static_selectorELNS0_4arch9wavefront6targetE1EEEvSP_,"axG",@progbits,_ZN7rocprim17ROCPRIM_400000_NS6detail17trampoline_kernelINS0_14default_configENS1_27lower_bound_config_selectorIdiEEZNS1_14transform_implILb0ES3_S5_N6thrust23THRUST_200600_302600_NS6detail15normal_iteratorINS8_10device_ptrIdEEEENSA_INSB_IiEEEEZNS1_13binary_searchIS3_S5_SD_SD_SF_NS1_21lower_bound_search_opENS9_16wrapped_functionINS0_4lessIvEEbEEEE10hipError_tPvRmT1_T2_T3_mmT4_T5_P12ihipStream_tbEUlRKdE_EESM_SQ_SR_mSS_SV_bEUlT_E_NS1_11comp_targetILNS1_3genE2ELNS1_11target_archE906ELNS1_3gpuE6ELNS1_3repE0EEENS1_30default_config_static_selectorELNS0_4arch9wavefront6targetE1EEEvSP_,comdat
	.protected	_ZN7rocprim17ROCPRIM_400000_NS6detail17trampoline_kernelINS0_14default_configENS1_27lower_bound_config_selectorIdiEEZNS1_14transform_implILb0ES3_S5_N6thrust23THRUST_200600_302600_NS6detail15normal_iteratorINS8_10device_ptrIdEEEENSA_INSB_IiEEEEZNS1_13binary_searchIS3_S5_SD_SD_SF_NS1_21lower_bound_search_opENS9_16wrapped_functionINS0_4lessIvEEbEEEE10hipError_tPvRmT1_T2_T3_mmT4_T5_P12ihipStream_tbEUlRKdE_EESM_SQ_SR_mSS_SV_bEUlT_E_NS1_11comp_targetILNS1_3genE2ELNS1_11target_archE906ELNS1_3gpuE6ELNS1_3repE0EEENS1_30default_config_static_selectorELNS0_4arch9wavefront6targetE1EEEvSP_ ; -- Begin function _ZN7rocprim17ROCPRIM_400000_NS6detail17trampoline_kernelINS0_14default_configENS1_27lower_bound_config_selectorIdiEEZNS1_14transform_implILb0ES3_S5_N6thrust23THRUST_200600_302600_NS6detail15normal_iteratorINS8_10device_ptrIdEEEENSA_INSB_IiEEEEZNS1_13binary_searchIS3_S5_SD_SD_SF_NS1_21lower_bound_search_opENS9_16wrapped_functionINS0_4lessIvEEbEEEE10hipError_tPvRmT1_T2_T3_mmT4_T5_P12ihipStream_tbEUlRKdE_EESM_SQ_SR_mSS_SV_bEUlT_E_NS1_11comp_targetILNS1_3genE2ELNS1_11target_archE906ELNS1_3gpuE6ELNS1_3repE0EEENS1_30default_config_static_selectorELNS0_4arch9wavefront6targetE1EEEvSP_
	.globl	_ZN7rocprim17ROCPRIM_400000_NS6detail17trampoline_kernelINS0_14default_configENS1_27lower_bound_config_selectorIdiEEZNS1_14transform_implILb0ES3_S5_N6thrust23THRUST_200600_302600_NS6detail15normal_iteratorINS8_10device_ptrIdEEEENSA_INSB_IiEEEEZNS1_13binary_searchIS3_S5_SD_SD_SF_NS1_21lower_bound_search_opENS9_16wrapped_functionINS0_4lessIvEEbEEEE10hipError_tPvRmT1_T2_T3_mmT4_T5_P12ihipStream_tbEUlRKdE_EESM_SQ_SR_mSS_SV_bEUlT_E_NS1_11comp_targetILNS1_3genE2ELNS1_11target_archE906ELNS1_3gpuE6ELNS1_3repE0EEENS1_30default_config_static_selectorELNS0_4arch9wavefront6targetE1EEEvSP_
	.p2align	8
	.type	_ZN7rocprim17ROCPRIM_400000_NS6detail17trampoline_kernelINS0_14default_configENS1_27lower_bound_config_selectorIdiEEZNS1_14transform_implILb0ES3_S5_N6thrust23THRUST_200600_302600_NS6detail15normal_iteratorINS8_10device_ptrIdEEEENSA_INSB_IiEEEEZNS1_13binary_searchIS3_S5_SD_SD_SF_NS1_21lower_bound_search_opENS9_16wrapped_functionINS0_4lessIvEEbEEEE10hipError_tPvRmT1_T2_T3_mmT4_T5_P12ihipStream_tbEUlRKdE_EESM_SQ_SR_mSS_SV_bEUlT_E_NS1_11comp_targetILNS1_3genE2ELNS1_11target_archE906ELNS1_3gpuE6ELNS1_3repE0EEENS1_30default_config_static_selectorELNS0_4arch9wavefront6targetE1EEEvSP_,@function
_ZN7rocprim17ROCPRIM_400000_NS6detail17trampoline_kernelINS0_14default_configENS1_27lower_bound_config_selectorIdiEEZNS1_14transform_implILb0ES3_S5_N6thrust23THRUST_200600_302600_NS6detail15normal_iteratorINS8_10device_ptrIdEEEENSA_INSB_IiEEEEZNS1_13binary_searchIS3_S5_SD_SD_SF_NS1_21lower_bound_search_opENS9_16wrapped_functionINS0_4lessIvEEbEEEE10hipError_tPvRmT1_T2_T3_mmT4_T5_P12ihipStream_tbEUlRKdE_EESM_SQ_SR_mSS_SV_bEUlT_E_NS1_11comp_targetILNS1_3genE2ELNS1_11target_archE906ELNS1_3gpuE6ELNS1_3repE0EEENS1_30default_config_static_selectorELNS0_4arch9wavefront6targetE1EEEvSP_: ; @_ZN7rocprim17ROCPRIM_400000_NS6detail17trampoline_kernelINS0_14default_configENS1_27lower_bound_config_selectorIdiEEZNS1_14transform_implILb0ES3_S5_N6thrust23THRUST_200600_302600_NS6detail15normal_iteratorINS8_10device_ptrIdEEEENSA_INSB_IiEEEEZNS1_13binary_searchIS3_S5_SD_SD_SF_NS1_21lower_bound_search_opENS9_16wrapped_functionINS0_4lessIvEEbEEEE10hipError_tPvRmT1_T2_T3_mmT4_T5_P12ihipStream_tbEUlRKdE_EESM_SQ_SR_mSS_SV_bEUlT_E_NS1_11comp_targetILNS1_3genE2ELNS1_11target_archE906ELNS1_3gpuE6ELNS1_3repE0EEENS1_30default_config_static_selectorELNS0_4arch9wavefront6targetE1EEEvSP_
; %bb.0:
	.section	.rodata,"a",@progbits
	.p2align	6, 0x0
	.amdhsa_kernel _ZN7rocprim17ROCPRIM_400000_NS6detail17trampoline_kernelINS0_14default_configENS1_27lower_bound_config_selectorIdiEEZNS1_14transform_implILb0ES3_S5_N6thrust23THRUST_200600_302600_NS6detail15normal_iteratorINS8_10device_ptrIdEEEENSA_INSB_IiEEEEZNS1_13binary_searchIS3_S5_SD_SD_SF_NS1_21lower_bound_search_opENS9_16wrapped_functionINS0_4lessIvEEbEEEE10hipError_tPvRmT1_T2_T3_mmT4_T5_P12ihipStream_tbEUlRKdE_EESM_SQ_SR_mSS_SV_bEUlT_E_NS1_11comp_targetILNS1_3genE2ELNS1_11target_archE906ELNS1_3gpuE6ELNS1_3repE0EEENS1_30default_config_static_selectorELNS0_4arch9wavefront6targetE1EEEvSP_
		.amdhsa_group_segment_fixed_size 0
		.amdhsa_private_segment_fixed_size 0
		.amdhsa_kernarg_size 56
		.amdhsa_user_sgpr_count 6
		.amdhsa_user_sgpr_private_segment_buffer 1
		.amdhsa_user_sgpr_dispatch_ptr 0
		.amdhsa_user_sgpr_queue_ptr 0
		.amdhsa_user_sgpr_kernarg_segment_ptr 1
		.amdhsa_user_sgpr_dispatch_id 0
		.amdhsa_user_sgpr_flat_scratch_init 0
		.amdhsa_user_sgpr_kernarg_preload_length 0
		.amdhsa_user_sgpr_kernarg_preload_offset 0
		.amdhsa_user_sgpr_private_segment_size 0
		.amdhsa_uses_dynamic_stack 0
		.amdhsa_system_sgpr_private_segment_wavefront_offset 0
		.amdhsa_system_sgpr_workgroup_id_x 1
		.amdhsa_system_sgpr_workgroup_id_y 0
		.amdhsa_system_sgpr_workgroup_id_z 0
		.amdhsa_system_sgpr_workgroup_info 0
		.amdhsa_system_vgpr_workitem_id 0
		.amdhsa_next_free_vgpr 1
		.amdhsa_next_free_sgpr 0
		.amdhsa_accum_offset 4
		.amdhsa_reserve_vcc 0
		.amdhsa_reserve_flat_scratch 0
		.amdhsa_float_round_mode_32 0
		.amdhsa_float_round_mode_16_64 0
		.amdhsa_float_denorm_mode_32 3
		.amdhsa_float_denorm_mode_16_64 3
		.amdhsa_dx10_clamp 1
		.amdhsa_ieee_mode 1
		.amdhsa_fp16_overflow 0
		.amdhsa_tg_split 0
		.amdhsa_exception_fp_ieee_invalid_op 0
		.amdhsa_exception_fp_denorm_src 0
		.amdhsa_exception_fp_ieee_div_zero 0
		.amdhsa_exception_fp_ieee_overflow 0
		.amdhsa_exception_fp_ieee_underflow 0
		.amdhsa_exception_fp_ieee_inexact 0
		.amdhsa_exception_int_div_zero 0
	.end_amdhsa_kernel
	.section	.text._ZN7rocprim17ROCPRIM_400000_NS6detail17trampoline_kernelINS0_14default_configENS1_27lower_bound_config_selectorIdiEEZNS1_14transform_implILb0ES3_S5_N6thrust23THRUST_200600_302600_NS6detail15normal_iteratorINS8_10device_ptrIdEEEENSA_INSB_IiEEEEZNS1_13binary_searchIS3_S5_SD_SD_SF_NS1_21lower_bound_search_opENS9_16wrapped_functionINS0_4lessIvEEbEEEE10hipError_tPvRmT1_T2_T3_mmT4_T5_P12ihipStream_tbEUlRKdE_EESM_SQ_SR_mSS_SV_bEUlT_E_NS1_11comp_targetILNS1_3genE2ELNS1_11target_archE906ELNS1_3gpuE6ELNS1_3repE0EEENS1_30default_config_static_selectorELNS0_4arch9wavefront6targetE1EEEvSP_,"axG",@progbits,_ZN7rocprim17ROCPRIM_400000_NS6detail17trampoline_kernelINS0_14default_configENS1_27lower_bound_config_selectorIdiEEZNS1_14transform_implILb0ES3_S5_N6thrust23THRUST_200600_302600_NS6detail15normal_iteratorINS8_10device_ptrIdEEEENSA_INSB_IiEEEEZNS1_13binary_searchIS3_S5_SD_SD_SF_NS1_21lower_bound_search_opENS9_16wrapped_functionINS0_4lessIvEEbEEEE10hipError_tPvRmT1_T2_T3_mmT4_T5_P12ihipStream_tbEUlRKdE_EESM_SQ_SR_mSS_SV_bEUlT_E_NS1_11comp_targetILNS1_3genE2ELNS1_11target_archE906ELNS1_3gpuE6ELNS1_3repE0EEENS1_30default_config_static_selectorELNS0_4arch9wavefront6targetE1EEEvSP_,comdat
.Lfunc_end255:
	.size	_ZN7rocprim17ROCPRIM_400000_NS6detail17trampoline_kernelINS0_14default_configENS1_27lower_bound_config_selectorIdiEEZNS1_14transform_implILb0ES3_S5_N6thrust23THRUST_200600_302600_NS6detail15normal_iteratorINS8_10device_ptrIdEEEENSA_INSB_IiEEEEZNS1_13binary_searchIS3_S5_SD_SD_SF_NS1_21lower_bound_search_opENS9_16wrapped_functionINS0_4lessIvEEbEEEE10hipError_tPvRmT1_T2_T3_mmT4_T5_P12ihipStream_tbEUlRKdE_EESM_SQ_SR_mSS_SV_bEUlT_E_NS1_11comp_targetILNS1_3genE2ELNS1_11target_archE906ELNS1_3gpuE6ELNS1_3repE0EEENS1_30default_config_static_selectorELNS0_4arch9wavefront6targetE1EEEvSP_, .Lfunc_end255-_ZN7rocprim17ROCPRIM_400000_NS6detail17trampoline_kernelINS0_14default_configENS1_27lower_bound_config_selectorIdiEEZNS1_14transform_implILb0ES3_S5_N6thrust23THRUST_200600_302600_NS6detail15normal_iteratorINS8_10device_ptrIdEEEENSA_INSB_IiEEEEZNS1_13binary_searchIS3_S5_SD_SD_SF_NS1_21lower_bound_search_opENS9_16wrapped_functionINS0_4lessIvEEbEEEE10hipError_tPvRmT1_T2_T3_mmT4_T5_P12ihipStream_tbEUlRKdE_EESM_SQ_SR_mSS_SV_bEUlT_E_NS1_11comp_targetILNS1_3genE2ELNS1_11target_archE906ELNS1_3gpuE6ELNS1_3repE0EEENS1_30default_config_static_selectorELNS0_4arch9wavefront6targetE1EEEvSP_
                                        ; -- End function
	.section	.AMDGPU.csdata,"",@progbits
; Kernel info:
; codeLenInByte = 0
; NumSgprs: 4
; NumVgprs: 0
; NumAgprs: 0
; TotalNumVgprs: 0
; ScratchSize: 0
; MemoryBound: 0
; FloatMode: 240
; IeeeMode: 1
; LDSByteSize: 0 bytes/workgroup (compile time only)
; SGPRBlocks: 0
; VGPRBlocks: 0
; NumSGPRsForWavesPerEU: 4
; NumVGPRsForWavesPerEU: 1
; AccumOffset: 4
; Occupancy: 8
; WaveLimiterHint : 0
; COMPUTE_PGM_RSRC2:SCRATCH_EN: 0
; COMPUTE_PGM_RSRC2:USER_SGPR: 6
; COMPUTE_PGM_RSRC2:TRAP_HANDLER: 0
; COMPUTE_PGM_RSRC2:TGID_X_EN: 1
; COMPUTE_PGM_RSRC2:TGID_Y_EN: 0
; COMPUTE_PGM_RSRC2:TGID_Z_EN: 0
; COMPUTE_PGM_RSRC2:TIDIG_COMP_CNT: 0
; COMPUTE_PGM_RSRC3_GFX90A:ACCUM_OFFSET: 0
; COMPUTE_PGM_RSRC3_GFX90A:TG_SPLIT: 0
	.section	.text._ZN7rocprim17ROCPRIM_400000_NS6detail17trampoline_kernelINS0_14default_configENS1_27lower_bound_config_selectorIdiEEZNS1_14transform_implILb0ES3_S5_N6thrust23THRUST_200600_302600_NS6detail15normal_iteratorINS8_10device_ptrIdEEEENSA_INSB_IiEEEEZNS1_13binary_searchIS3_S5_SD_SD_SF_NS1_21lower_bound_search_opENS9_16wrapped_functionINS0_4lessIvEEbEEEE10hipError_tPvRmT1_T2_T3_mmT4_T5_P12ihipStream_tbEUlRKdE_EESM_SQ_SR_mSS_SV_bEUlT_E_NS1_11comp_targetILNS1_3genE10ELNS1_11target_archE1201ELNS1_3gpuE5ELNS1_3repE0EEENS1_30default_config_static_selectorELNS0_4arch9wavefront6targetE1EEEvSP_,"axG",@progbits,_ZN7rocprim17ROCPRIM_400000_NS6detail17trampoline_kernelINS0_14default_configENS1_27lower_bound_config_selectorIdiEEZNS1_14transform_implILb0ES3_S5_N6thrust23THRUST_200600_302600_NS6detail15normal_iteratorINS8_10device_ptrIdEEEENSA_INSB_IiEEEEZNS1_13binary_searchIS3_S5_SD_SD_SF_NS1_21lower_bound_search_opENS9_16wrapped_functionINS0_4lessIvEEbEEEE10hipError_tPvRmT1_T2_T3_mmT4_T5_P12ihipStream_tbEUlRKdE_EESM_SQ_SR_mSS_SV_bEUlT_E_NS1_11comp_targetILNS1_3genE10ELNS1_11target_archE1201ELNS1_3gpuE5ELNS1_3repE0EEENS1_30default_config_static_selectorELNS0_4arch9wavefront6targetE1EEEvSP_,comdat
	.protected	_ZN7rocprim17ROCPRIM_400000_NS6detail17trampoline_kernelINS0_14default_configENS1_27lower_bound_config_selectorIdiEEZNS1_14transform_implILb0ES3_S5_N6thrust23THRUST_200600_302600_NS6detail15normal_iteratorINS8_10device_ptrIdEEEENSA_INSB_IiEEEEZNS1_13binary_searchIS3_S5_SD_SD_SF_NS1_21lower_bound_search_opENS9_16wrapped_functionINS0_4lessIvEEbEEEE10hipError_tPvRmT1_T2_T3_mmT4_T5_P12ihipStream_tbEUlRKdE_EESM_SQ_SR_mSS_SV_bEUlT_E_NS1_11comp_targetILNS1_3genE10ELNS1_11target_archE1201ELNS1_3gpuE5ELNS1_3repE0EEENS1_30default_config_static_selectorELNS0_4arch9wavefront6targetE1EEEvSP_ ; -- Begin function _ZN7rocprim17ROCPRIM_400000_NS6detail17trampoline_kernelINS0_14default_configENS1_27lower_bound_config_selectorIdiEEZNS1_14transform_implILb0ES3_S5_N6thrust23THRUST_200600_302600_NS6detail15normal_iteratorINS8_10device_ptrIdEEEENSA_INSB_IiEEEEZNS1_13binary_searchIS3_S5_SD_SD_SF_NS1_21lower_bound_search_opENS9_16wrapped_functionINS0_4lessIvEEbEEEE10hipError_tPvRmT1_T2_T3_mmT4_T5_P12ihipStream_tbEUlRKdE_EESM_SQ_SR_mSS_SV_bEUlT_E_NS1_11comp_targetILNS1_3genE10ELNS1_11target_archE1201ELNS1_3gpuE5ELNS1_3repE0EEENS1_30default_config_static_selectorELNS0_4arch9wavefront6targetE1EEEvSP_
	.globl	_ZN7rocprim17ROCPRIM_400000_NS6detail17trampoline_kernelINS0_14default_configENS1_27lower_bound_config_selectorIdiEEZNS1_14transform_implILb0ES3_S5_N6thrust23THRUST_200600_302600_NS6detail15normal_iteratorINS8_10device_ptrIdEEEENSA_INSB_IiEEEEZNS1_13binary_searchIS3_S5_SD_SD_SF_NS1_21lower_bound_search_opENS9_16wrapped_functionINS0_4lessIvEEbEEEE10hipError_tPvRmT1_T2_T3_mmT4_T5_P12ihipStream_tbEUlRKdE_EESM_SQ_SR_mSS_SV_bEUlT_E_NS1_11comp_targetILNS1_3genE10ELNS1_11target_archE1201ELNS1_3gpuE5ELNS1_3repE0EEENS1_30default_config_static_selectorELNS0_4arch9wavefront6targetE1EEEvSP_
	.p2align	8
	.type	_ZN7rocprim17ROCPRIM_400000_NS6detail17trampoline_kernelINS0_14default_configENS1_27lower_bound_config_selectorIdiEEZNS1_14transform_implILb0ES3_S5_N6thrust23THRUST_200600_302600_NS6detail15normal_iteratorINS8_10device_ptrIdEEEENSA_INSB_IiEEEEZNS1_13binary_searchIS3_S5_SD_SD_SF_NS1_21lower_bound_search_opENS9_16wrapped_functionINS0_4lessIvEEbEEEE10hipError_tPvRmT1_T2_T3_mmT4_T5_P12ihipStream_tbEUlRKdE_EESM_SQ_SR_mSS_SV_bEUlT_E_NS1_11comp_targetILNS1_3genE10ELNS1_11target_archE1201ELNS1_3gpuE5ELNS1_3repE0EEENS1_30default_config_static_selectorELNS0_4arch9wavefront6targetE1EEEvSP_,@function
_ZN7rocprim17ROCPRIM_400000_NS6detail17trampoline_kernelINS0_14default_configENS1_27lower_bound_config_selectorIdiEEZNS1_14transform_implILb0ES3_S5_N6thrust23THRUST_200600_302600_NS6detail15normal_iteratorINS8_10device_ptrIdEEEENSA_INSB_IiEEEEZNS1_13binary_searchIS3_S5_SD_SD_SF_NS1_21lower_bound_search_opENS9_16wrapped_functionINS0_4lessIvEEbEEEE10hipError_tPvRmT1_T2_T3_mmT4_T5_P12ihipStream_tbEUlRKdE_EESM_SQ_SR_mSS_SV_bEUlT_E_NS1_11comp_targetILNS1_3genE10ELNS1_11target_archE1201ELNS1_3gpuE5ELNS1_3repE0EEENS1_30default_config_static_selectorELNS0_4arch9wavefront6targetE1EEEvSP_: ; @_ZN7rocprim17ROCPRIM_400000_NS6detail17trampoline_kernelINS0_14default_configENS1_27lower_bound_config_selectorIdiEEZNS1_14transform_implILb0ES3_S5_N6thrust23THRUST_200600_302600_NS6detail15normal_iteratorINS8_10device_ptrIdEEEENSA_INSB_IiEEEEZNS1_13binary_searchIS3_S5_SD_SD_SF_NS1_21lower_bound_search_opENS9_16wrapped_functionINS0_4lessIvEEbEEEE10hipError_tPvRmT1_T2_T3_mmT4_T5_P12ihipStream_tbEUlRKdE_EESM_SQ_SR_mSS_SV_bEUlT_E_NS1_11comp_targetILNS1_3genE10ELNS1_11target_archE1201ELNS1_3gpuE5ELNS1_3repE0EEENS1_30default_config_static_selectorELNS0_4arch9wavefront6targetE1EEEvSP_
; %bb.0:
	.section	.rodata,"a",@progbits
	.p2align	6, 0x0
	.amdhsa_kernel _ZN7rocprim17ROCPRIM_400000_NS6detail17trampoline_kernelINS0_14default_configENS1_27lower_bound_config_selectorIdiEEZNS1_14transform_implILb0ES3_S5_N6thrust23THRUST_200600_302600_NS6detail15normal_iteratorINS8_10device_ptrIdEEEENSA_INSB_IiEEEEZNS1_13binary_searchIS3_S5_SD_SD_SF_NS1_21lower_bound_search_opENS9_16wrapped_functionINS0_4lessIvEEbEEEE10hipError_tPvRmT1_T2_T3_mmT4_T5_P12ihipStream_tbEUlRKdE_EESM_SQ_SR_mSS_SV_bEUlT_E_NS1_11comp_targetILNS1_3genE10ELNS1_11target_archE1201ELNS1_3gpuE5ELNS1_3repE0EEENS1_30default_config_static_selectorELNS0_4arch9wavefront6targetE1EEEvSP_
		.amdhsa_group_segment_fixed_size 0
		.amdhsa_private_segment_fixed_size 0
		.amdhsa_kernarg_size 56
		.amdhsa_user_sgpr_count 6
		.amdhsa_user_sgpr_private_segment_buffer 1
		.amdhsa_user_sgpr_dispatch_ptr 0
		.amdhsa_user_sgpr_queue_ptr 0
		.amdhsa_user_sgpr_kernarg_segment_ptr 1
		.amdhsa_user_sgpr_dispatch_id 0
		.amdhsa_user_sgpr_flat_scratch_init 0
		.amdhsa_user_sgpr_kernarg_preload_length 0
		.amdhsa_user_sgpr_kernarg_preload_offset 0
		.amdhsa_user_sgpr_private_segment_size 0
		.amdhsa_uses_dynamic_stack 0
		.amdhsa_system_sgpr_private_segment_wavefront_offset 0
		.amdhsa_system_sgpr_workgroup_id_x 1
		.amdhsa_system_sgpr_workgroup_id_y 0
		.amdhsa_system_sgpr_workgroup_id_z 0
		.amdhsa_system_sgpr_workgroup_info 0
		.amdhsa_system_vgpr_workitem_id 0
		.amdhsa_next_free_vgpr 1
		.amdhsa_next_free_sgpr 0
		.amdhsa_accum_offset 4
		.amdhsa_reserve_vcc 0
		.amdhsa_reserve_flat_scratch 0
		.amdhsa_float_round_mode_32 0
		.amdhsa_float_round_mode_16_64 0
		.amdhsa_float_denorm_mode_32 3
		.amdhsa_float_denorm_mode_16_64 3
		.amdhsa_dx10_clamp 1
		.amdhsa_ieee_mode 1
		.amdhsa_fp16_overflow 0
		.amdhsa_tg_split 0
		.amdhsa_exception_fp_ieee_invalid_op 0
		.amdhsa_exception_fp_denorm_src 0
		.amdhsa_exception_fp_ieee_div_zero 0
		.amdhsa_exception_fp_ieee_overflow 0
		.amdhsa_exception_fp_ieee_underflow 0
		.amdhsa_exception_fp_ieee_inexact 0
		.amdhsa_exception_int_div_zero 0
	.end_amdhsa_kernel
	.section	.text._ZN7rocprim17ROCPRIM_400000_NS6detail17trampoline_kernelINS0_14default_configENS1_27lower_bound_config_selectorIdiEEZNS1_14transform_implILb0ES3_S5_N6thrust23THRUST_200600_302600_NS6detail15normal_iteratorINS8_10device_ptrIdEEEENSA_INSB_IiEEEEZNS1_13binary_searchIS3_S5_SD_SD_SF_NS1_21lower_bound_search_opENS9_16wrapped_functionINS0_4lessIvEEbEEEE10hipError_tPvRmT1_T2_T3_mmT4_T5_P12ihipStream_tbEUlRKdE_EESM_SQ_SR_mSS_SV_bEUlT_E_NS1_11comp_targetILNS1_3genE10ELNS1_11target_archE1201ELNS1_3gpuE5ELNS1_3repE0EEENS1_30default_config_static_selectorELNS0_4arch9wavefront6targetE1EEEvSP_,"axG",@progbits,_ZN7rocprim17ROCPRIM_400000_NS6detail17trampoline_kernelINS0_14default_configENS1_27lower_bound_config_selectorIdiEEZNS1_14transform_implILb0ES3_S5_N6thrust23THRUST_200600_302600_NS6detail15normal_iteratorINS8_10device_ptrIdEEEENSA_INSB_IiEEEEZNS1_13binary_searchIS3_S5_SD_SD_SF_NS1_21lower_bound_search_opENS9_16wrapped_functionINS0_4lessIvEEbEEEE10hipError_tPvRmT1_T2_T3_mmT4_T5_P12ihipStream_tbEUlRKdE_EESM_SQ_SR_mSS_SV_bEUlT_E_NS1_11comp_targetILNS1_3genE10ELNS1_11target_archE1201ELNS1_3gpuE5ELNS1_3repE0EEENS1_30default_config_static_selectorELNS0_4arch9wavefront6targetE1EEEvSP_,comdat
.Lfunc_end256:
	.size	_ZN7rocprim17ROCPRIM_400000_NS6detail17trampoline_kernelINS0_14default_configENS1_27lower_bound_config_selectorIdiEEZNS1_14transform_implILb0ES3_S5_N6thrust23THRUST_200600_302600_NS6detail15normal_iteratorINS8_10device_ptrIdEEEENSA_INSB_IiEEEEZNS1_13binary_searchIS3_S5_SD_SD_SF_NS1_21lower_bound_search_opENS9_16wrapped_functionINS0_4lessIvEEbEEEE10hipError_tPvRmT1_T2_T3_mmT4_T5_P12ihipStream_tbEUlRKdE_EESM_SQ_SR_mSS_SV_bEUlT_E_NS1_11comp_targetILNS1_3genE10ELNS1_11target_archE1201ELNS1_3gpuE5ELNS1_3repE0EEENS1_30default_config_static_selectorELNS0_4arch9wavefront6targetE1EEEvSP_, .Lfunc_end256-_ZN7rocprim17ROCPRIM_400000_NS6detail17trampoline_kernelINS0_14default_configENS1_27lower_bound_config_selectorIdiEEZNS1_14transform_implILb0ES3_S5_N6thrust23THRUST_200600_302600_NS6detail15normal_iteratorINS8_10device_ptrIdEEEENSA_INSB_IiEEEEZNS1_13binary_searchIS3_S5_SD_SD_SF_NS1_21lower_bound_search_opENS9_16wrapped_functionINS0_4lessIvEEbEEEE10hipError_tPvRmT1_T2_T3_mmT4_T5_P12ihipStream_tbEUlRKdE_EESM_SQ_SR_mSS_SV_bEUlT_E_NS1_11comp_targetILNS1_3genE10ELNS1_11target_archE1201ELNS1_3gpuE5ELNS1_3repE0EEENS1_30default_config_static_selectorELNS0_4arch9wavefront6targetE1EEEvSP_
                                        ; -- End function
	.section	.AMDGPU.csdata,"",@progbits
; Kernel info:
; codeLenInByte = 0
; NumSgprs: 4
; NumVgprs: 0
; NumAgprs: 0
; TotalNumVgprs: 0
; ScratchSize: 0
; MemoryBound: 0
; FloatMode: 240
; IeeeMode: 1
; LDSByteSize: 0 bytes/workgroup (compile time only)
; SGPRBlocks: 0
; VGPRBlocks: 0
; NumSGPRsForWavesPerEU: 4
; NumVGPRsForWavesPerEU: 1
; AccumOffset: 4
; Occupancy: 8
; WaveLimiterHint : 0
; COMPUTE_PGM_RSRC2:SCRATCH_EN: 0
; COMPUTE_PGM_RSRC2:USER_SGPR: 6
; COMPUTE_PGM_RSRC2:TRAP_HANDLER: 0
; COMPUTE_PGM_RSRC2:TGID_X_EN: 1
; COMPUTE_PGM_RSRC2:TGID_Y_EN: 0
; COMPUTE_PGM_RSRC2:TGID_Z_EN: 0
; COMPUTE_PGM_RSRC2:TIDIG_COMP_CNT: 0
; COMPUTE_PGM_RSRC3_GFX90A:ACCUM_OFFSET: 0
; COMPUTE_PGM_RSRC3_GFX90A:TG_SPLIT: 0
	.section	.text._ZN7rocprim17ROCPRIM_400000_NS6detail17trampoline_kernelINS0_14default_configENS1_27lower_bound_config_selectorIdiEEZNS1_14transform_implILb0ES3_S5_N6thrust23THRUST_200600_302600_NS6detail15normal_iteratorINS8_10device_ptrIdEEEENSA_INSB_IiEEEEZNS1_13binary_searchIS3_S5_SD_SD_SF_NS1_21lower_bound_search_opENS9_16wrapped_functionINS0_4lessIvEEbEEEE10hipError_tPvRmT1_T2_T3_mmT4_T5_P12ihipStream_tbEUlRKdE_EESM_SQ_SR_mSS_SV_bEUlT_E_NS1_11comp_targetILNS1_3genE10ELNS1_11target_archE1200ELNS1_3gpuE4ELNS1_3repE0EEENS1_30default_config_static_selectorELNS0_4arch9wavefront6targetE1EEEvSP_,"axG",@progbits,_ZN7rocprim17ROCPRIM_400000_NS6detail17trampoline_kernelINS0_14default_configENS1_27lower_bound_config_selectorIdiEEZNS1_14transform_implILb0ES3_S5_N6thrust23THRUST_200600_302600_NS6detail15normal_iteratorINS8_10device_ptrIdEEEENSA_INSB_IiEEEEZNS1_13binary_searchIS3_S5_SD_SD_SF_NS1_21lower_bound_search_opENS9_16wrapped_functionINS0_4lessIvEEbEEEE10hipError_tPvRmT1_T2_T3_mmT4_T5_P12ihipStream_tbEUlRKdE_EESM_SQ_SR_mSS_SV_bEUlT_E_NS1_11comp_targetILNS1_3genE10ELNS1_11target_archE1200ELNS1_3gpuE4ELNS1_3repE0EEENS1_30default_config_static_selectorELNS0_4arch9wavefront6targetE1EEEvSP_,comdat
	.protected	_ZN7rocprim17ROCPRIM_400000_NS6detail17trampoline_kernelINS0_14default_configENS1_27lower_bound_config_selectorIdiEEZNS1_14transform_implILb0ES3_S5_N6thrust23THRUST_200600_302600_NS6detail15normal_iteratorINS8_10device_ptrIdEEEENSA_INSB_IiEEEEZNS1_13binary_searchIS3_S5_SD_SD_SF_NS1_21lower_bound_search_opENS9_16wrapped_functionINS0_4lessIvEEbEEEE10hipError_tPvRmT1_T2_T3_mmT4_T5_P12ihipStream_tbEUlRKdE_EESM_SQ_SR_mSS_SV_bEUlT_E_NS1_11comp_targetILNS1_3genE10ELNS1_11target_archE1200ELNS1_3gpuE4ELNS1_3repE0EEENS1_30default_config_static_selectorELNS0_4arch9wavefront6targetE1EEEvSP_ ; -- Begin function _ZN7rocprim17ROCPRIM_400000_NS6detail17trampoline_kernelINS0_14default_configENS1_27lower_bound_config_selectorIdiEEZNS1_14transform_implILb0ES3_S5_N6thrust23THRUST_200600_302600_NS6detail15normal_iteratorINS8_10device_ptrIdEEEENSA_INSB_IiEEEEZNS1_13binary_searchIS3_S5_SD_SD_SF_NS1_21lower_bound_search_opENS9_16wrapped_functionINS0_4lessIvEEbEEEE10hipError_tPvRmT1_T2_T3_mmT4_T5_P12ihipStream_tbEUlRKdE_EESM_SQ_SR_mSS_SV_bEUlT_E_NS1_11comp_targetILNS1_3genE10ELNS1_11target_archE1200ELNS1_3gpuE4ELNS1_3repE0EEENS1_30default_config_static_selectorELNS0_4arch9wavefront6targetE1EEEvSP_
	.globl	_ZN7rocprim17ROCPRIM_400000_NS6detail17trampoline_kernelINS0_14default_configENS1_27lower_bound_config_selectorIdiEEZNS1_14transform_implILb0ES3_S5_N6thrust23THRUST_200600_302600_NS6detail15normal_iteratorINS8_10device_ptrIdEEEENSA_INSB_IiEEEEZNS1_13binary_searchIS3_S5_SD_SD_SF_NS1_21lower_bound_search_opENS9_16wrapped_functionINS0_4lessIvEEbEEEE10hipError_tPvRmT1_T2_T3_mmT4_T5_P12ihipStream_tbEUlRKdE_EESM_SQ_SR_mSS_SV_bEUlT_E_NS1_11comp_targetILNS1_3genE10ELNS1_11target_archE1200ELNS1_3gpuE4ELNS1_3repE0EEENS1_30default_config_static_selectorELNS0_4arch9wavefront6targetE1EEEvSP_
	.p2align	8
	.type	_ZN7rocprim17ROCPRIM_400000_NS6detail17trampoline_kernelINS0_14default_configENS1_27lower_bound_config_selectorIdiEEZNS1_14transform_implILb0ES3_S5_N6thrust23THRUST_200600_302600_NS6detail15normal_iteratorINS8_10device_ptrIdEEEENSA_INSB_IiEEEEZNS1_13binary_searchIS3_S5_SD_SD_SF_NS1_21lower_bound_search_opENS9_16wrapped_functionINS0_4lessIvEEbEEEE10hipError_tPvRmT1_T2_T3_mmT4_T5_P12ihipStream_tbEUlRKdE_EESM_SQ_SR_mSS_SV_bEUlT_E_NS1_11comp_targetILNS1_3genE10ELNS1_11target_archE1200ELNS1_3gpuE4ELNS1_3repE0EEENS1_30default_config_static_selectorELNS0_4arch9wavefront6targetE1EEEvSP_,@function
_ZN7rocprim17ROCPRIM_400000_NS6detail17trampoline_kernelINS0_14default_configENS1_27lower_bound_config_selectorIdiEEZNS1_14transform_implILb0ES3_S5_N6thrust23THRUST_200600_302600_NS6detail15normal_iteratorINS8_10device_ptrIdEEEENSA_INSB_IiEEEEZNS1_13binary_searchIS3_S5_SD_SD_SF_NS1_21lower_bound_search_opENS9_16wrapped_functionINS0_4lessIvEEbEEEE10hipError_tPvRmT1_T2_T3_mmT4_T5_P12ihipStream_tbEUlRKdE_EESM_SQ_SR_mSS_SV_bEUlT_E_NS1_11comp_targetILNS1_3genE10ELNS1_11target_archE1200ELNS1_3gpuE4ELNS1_3repE0EEENS1_30default_config_static_selectorELNS0_4arch9wavefront6targetE1EEEvSP_: ; @_ZN7rocprim17ROCPRIM_400000_NS6detail17trampoline_kernelINS0_14default_configENS1_27lower_bound_config_selectorIdiEEZNS1_14transform_implILb0ES3_S5_N6thrust23THRUST_200600_302600_NS6detail15normal_iteratorINS8_10device_ptrIdEEEENSA_INSB_IiEEEEZNS1_13binary_searchIS3_S5_SD_SD_SF_NS1_21lower_bound_search_opENS9_16wrapped_functionINS0_4lessIvEEbEEEE10hipError_tPvRmT1_T2_T3_mmT4_T5_P12ihipStream_tbEUlRKdE_EESM_SQ_SR_mSS_SV_bEUlT_E_NS1_11comp_targetILNS1_3genE10ELNS1_11target_archE1200ELNS1_3gpuE4ELNS1_3repE0EEENS1_30default_config_static_selectorELNS0_4arch9wavefront6targetE1EEEvSP_
; %bb.0:
	.section	.rodata,"a",@progbits
	.p2align	6, 0x0
	.amdhsa_kernel _ZN7rocprim17ROCPRIM_400000_NS6detail17trampoline_kernelINS0_14default_configENS1_27lower_bound_config_selectorIdiEEZNS1_14transform_implILb0ES3_S5_N6thrust23THRUST_200600_302600_NS6detail15normal_iteratorINS8_10device_ptrIdEEEENSA_INSB_IiEEEEZNS1_13binary_searchIS3_S5_SD_SD_SF_NS1_21lower_bound_search_opENS9_16wrapped_functionINS0_4lessIvEEbEEEE10hipError_tPvRmT1_T2_T3_mmT4_T5_P12ihipStream_tbEUlRKdE_EESM_SQ_SR_mSS_SV_bEUlT_E_NS1_11comp_targetILNS1_3genE10ELNS1_11target_archE1200ELNS1_3gpuE4ELNS1_3repE0EEENS1_30default_config_static_selectorELNS0_4arch9wavefront6targetE1EEEvSP_
		.amdhsa_group_segment_fixed_size 0
		.amdhsa_private_segment_fixed_size 0
		.amdhsa_kernarg_size 56
		.amdhsa_user_sgpr_count 6
		.amdhsa_user_sgpr_private_segment_buffer 1
		.amdhsa_user_sgpr_dispatch_ptr 0
		.amdhsa_user_sgpr_queue_ptr 0
		.amdhsa_user_sgpr_kernarg_segment_ptr 1
		.amdhsa_user_sgpr_dispatch_id 0
		.amdhsa_user_sgpr_flat_scratch_init 0
		.amdhsa_user_sgpr_kernarg_preload_length 0
		.amdhsa_user_sgpr_kernarg_preload_offset 0
		.amdhsa_user_sgpr_private_segment_size 0
		.amdhsa_uses_dynamic_stack 0
		.amdhsa_system_sgpr_private_segment_wavefront_offset 0
		.amdhsa_system_sgpr_workgroup_id_x 1
		.amdhsa_system_sgpr_workgroup_id_y 0
		.amdhsa_system_sgpr_workgroup_id_z 0
		.amdhsa_system_sgpr_workgroup_info 0
		.amdhsa_system_vgpr_workitem_id 0
		.amdhsa_next_free_vgpr 1
		.amdhsa_next_free_sgpr 0
		.amdhsa_accum_offset 4
		.amdhsa_reserve_vcc 0
		.amdhsa_reserve_flat_scratch 0
		.amdhsa_float_round_mode_32 0
		.amdhsa_float_round_mode_16_64 0
		.amdhsa_float_denorm_mode_32 3
		.amdhsa_float_denorm_mode_16_64 3
		.amdhsa_dx10_clamp 1
		.amdhsa_ieee_mode 1
		.amdhsa_fp16_overflow 0
		.amdhsa_tg_split 0
		.amdhsa_exception_fp_ieee_invalid_op 0
		.amdhsa_exception_fp_denorm_src 0
		.amdhsa_exception_fp_ieee_div_zero 0
		.amdhsa_exception_fp_ieee_overflow 0
		.amdhsa_exception_fp_ieee_underflow 0
		.amdhsa_exception_fp_ieee_inexact 0
		.amdhsa_exception_int_div_zero 0
	.end_amdhsa_kernel
	.section	.text._ZN7rocprim17ROCPRIM_400000_NS6detail17trampoline_kernelINS0_14default_configENS1_27lower_bound_config_selectorIdiEEZNS1_14transform_implILb0ES3_S5_N6thrust23THRUST_200600_302600_NS6detail15normal_iteratorINS8_10device_ptrIdEEEENSA_INSB_IiEEEEZNS1_13binary_searchIS3_S5_SD_SD_SF_NS1_21lower_bound_search_opENS9_16wrapped_functionINS0_4lessIvEEbEEEE10hipError_tPvRmT1_T2_T3_mmT4_T5_P12ihipStream_tbEUlRKdE_EESM_SQ_SR_mSS_SV_bEUlT_E_NS1_11comp_targetILNS1_3genE10ELNS1_11target_archE1200ELNS1_3gpuE4ELNS1_3repE0EEENS1_30default_config_static_selectorELNS0_4arch9wavefront6targetE1EEEvSP_,"axG",@progbits,_ZN7rocprim17ROCPRIM_400000_NS6detail17trampoline_kernelINS0_14default_configENS1_27lower_bound_config_selectorIdiEEZNS1_14transform_implILb0ES3_S5_N6thrust23THRUST_200600_302600_NS6detail15normal_iteratorINS8_10device_ptrIdEEEENSA_INSB_IiEEEEZNS1_13binary_searchIS3_S5_SD_SD_SF_NS1_21lower_bound_search_opENS9_16wrapped_functionINS0_4lessIvEEbEEEE10hipError_tPvRmT1_T2_T3_mmT4_T5_P12ihipStream_tbEUlRKdE_EESM_SQ_SR_mSS_SV_bEUlT_E_NS1_11comp_targetILNS1_3genE10ELNS1_11target_archE1200ELNS1_3gpuE4ELNS1_3repE0EEENS1_30default_config_static_selectorELNS0_4arch9wavefront6targetE1EEEvSP_,comdat
.Lfunc_end257:
	.size	_ZN7rocprim17ROCPRIM_400000_NS6detail17trampoline_kernelINS0_14default_configENS1_27lower_bound_config_selectorIdiEEZNS1_14transform_implILb0ES3_S5_N6thrust23THRUST_200600_302600_NS6detail15normal_iteratorINS8_10device_ptrIdEEEENSA_INSB_IiEEEEZNS1_13binary_searchIS3_S5_SD_SD_SF_NS1_21lower_bound_search_opENS9_16wrapped_functionINS0_4lessIvEEbEEEE10hipError_tPvRmT1_T2_T3_mmT4_T5_P12ihipStream_tbEUlRKdE_EESM_SQ_SR_mSS_SV_bEUlT_E_NS1_11comp_targetILNS1_3genE10ELNS1_11target_archE1200ELNS1_3gpuE4ELNS1_3repE0EEENS1_30default_config_static_selectorELNS0_4arch9wavefront6targetE1EEEvSP_, .Lfunc_end257-_ZN7rocprim17ROCPRIM_400000_NS6detail17trampoline_kernelINS0_14default_configENS1_27lower_bound_config_selectorIdiEEZNS1_14transform_implILb0ES3_S5_N6thrust23THRUST_200600_302600_NS6detail15normal_iteratorINS8_10device_ptrIdEEEENSA_INSB_IiEEEEZNS1_13binary_searchIS3_S5_SD_SD_SF_NS1_21lower_bound_search_opENS9_16wrapped_functionINS0_4lessIvEEbEEEE10hipError_tPvRmT1_T2_T3_mmT4_T5_P12ihipStream_tbEUlRKdE_EESM_SQ_SR_mSS_SV_bEUlT_E_NS1_11comp_targetILNS1_3genE10ELNS1_11target_archE1200ELNS1_3gpuE4ELNS1_3repE0EEENS1_30default_config_static_selectorELNS0_4arch9wavefront6targetE1EEEvSP_
                                        ; -- End function
	.section	.AMDGPU.csdata,"",@progbits
; Kernel info:
; codeLenInByte = 0
; NumSgprs: 4
; NumVgprs: 0
; NumAgprs: 0
; TotalNumVgprs: 0
; ScratchSize: 0
; MemoryBound: 0
; FloatMode: 240
; IeeeMode: 1
; LDSByteSize: 0 bytes/workgroup (compile time only)
; SGPRBlocks: 0
; VGPRBlocks: 0
; NumSGPRsForWavesPerEU: 4
; NumVGPRsForWavesPerEU: 1
; AccumOffset: 4
; Occupancy: 8
; WaveLimiterHint : 0
; COMPUTE_PGM_RSRC2:SCRATCH_EN: 0
; COMPUTE_PGM_RSRC2:USER_SGPR: 6
; COMPUTE_PGM_RSRC2:TRAP_HANDLER: 0
; COMPUTE_PGM_RSRC2:TGID_X_EN: 1
; COMPUTE_PGM_RSRC2:TGID_Y_EN: 0
; COMPUTE_PGM_RSRC2:TGID_Z_EN: 0
; COMPUTE_PGM_RSRC2:TIDIG_COMP_CNT: 0
; COMPUTE_PGM_RSRC3_GFX90A:ACCUM_OFFSET: 0
; COMPUTE_PGM_RSRC3_GFX90A:TG_SPLIT: 0
	.section	.text._ZN7rocprim17ROCPRIM_400000_NS6detail17trampoline_kernelINS0_14default_configENS1_27lower_bound_config_selectorIdiEEZNS1_14transform_implILb0ES3_S5_N6thrust23THRUST_200600_302600_NS6detail15normal_iteratorINS8_10device_ptrIdEEEENSA_INSB_IiEEEEZNS1_13binary_searchIS3_S5_SD_SD_SF_NS1_21lower_bound_search_opENS9_16wrapped_functionINS0_4lessIvEEbEEEE10hipError_tPvRmT1_T2_T3_mmT4_T5_P12ihipStream_tbEUlRKdE_EESM_SQ_SR_mSS_SV_bEUlT_E_NS1_11comp_targetILNS1_3genE9ELNS1_11target_archE1100ELNS1_3gpuE3ELNS1_3repE0EEENS1_30default_config_static_selectorELNS0_4arch9wavefront6targetE1EEEvSP_,"axG",@progbits,_ZN7rocprim17ROCPRIM_400000_NS6detail17trampoline_kernelINS0_14default_configENS1_27lower_bound_config_selectorIdiEEZNS1_14transform_implILb0ES3_S5_N6thrust23THRUST_200600_302600_NS6detail15normal_iteratorINS8_10device_ptrIdEEEENSA_INSB_IiEEEEZNS1_13binary_searchIS3_S5_SD_SD_SF_NS1_21lower_bound_search_opENS9_16wrapped_functionINS0_4lessIvEEbEEEE10hipError_tPvRmT1_T2_T3_mmT4_T5_P12ihipStream_tbEUlRKdE_EESM_SQ_SR_mSS_SV_bEUlT_E_NS1_11comp_targetILNS1_3genE9ELNS1_11target_archE1100ELNS1_3gpuE3ELNS1_3repE0EEENS1_30default_config_static_selectorELNS0_4arch9wavefront6targetE1EEEvSP_,comdat
	.protected	_ZN7rocprim17ROCPRIM_400000_NS6detail17trampoline_kernelINS0_14default_configENS1_27lower_bound_config_selectorIdiEEZNS1_14transform_implILb0ES3_S5_N6thrust23THRUST_200600_302600_NS6detail15normal_iteratorINS8_10device_ptrIdEEEENSA_INSB_IiEEEEZNS1_13binary_searchIS3_S5_SD_SD_SF_NS1_21lower_bound_search_opENS9_16wrapped_functionINS0_4lessIvEEbEEEE10hipError_tPvRmT1_T2_T3_mmT4_T5_P12ihipStream_tbEUlRKdE_EESM_SQ_SR_mSS_SV_bEUlT_E_NS1_11comp_targetILNS1_3genE9ELNS1_11target_archE1100ELNS1_3gpuE3ELNS1_3repE0EEENS1_30default_config_static_selectorELNS0_4arch9wavefront6targetE1EEEvSP_ ; -- Begin function _ZN7rocprim17ROCPRIM_400000_NS6detail17trampoline_kernelINS0_14default_configENS1_27lower_bound_config_selectorIdiEEZNS1_14transform_implILb0ES3_S5_N6thrust23THRUST_200600_302600_NS6detail15normal_iteratorINS8_10device_ptrIdEEEENSA_INSB_IiEEEEZNS1_13binary_searchIS3_S5_SD_SD_SF_NS1_21lower_bound_search_opENS9_16wrapped_functionINS0_4lessIvEEbEEEE10hipError_tPvRmT1_T2_T3_mmT4_T5_P12ihipStream_tbEUlRKdE_EESM_SQ_SR_mSS_SV_bEUlT_E_NS1_11comp_targetILNS1_3genE9ELNS1_11target_archE1100ELNS1_3gpuE3ELNS1_3repE0EEENS1_30default_config_static_selectorELNS0_4arch9wavefront6targetE1EEEvSP_
	.globl	_ZN7rocprim17ROCPRIM_400000_NS6detail17trampoline_kernelINS0_14default_configENS1_27lower_bound_config_selectorIdiEEZNS1_14transform_implILb0ES3_S5_N6thrust23THRUST_200600_302600_NS6detail15normal_iteratorINS8_10device_ptrIdEEEENSA_INSB_IiEEEEZNS1_13binary_searchIS3_S5_SD_SD_SF_NS1_21lower_bound_search_opENS9_16wrapped_functionINS0_4lessIvEEbEEEE10hipError_tPvRmT1_T2_T3_mmT4_T5_P12ihipStream_tbEUlRKdE_EESM_SQ_SR_mSS_SV_bEUlT_E_NS1_11comp_targetILNS1_3genE9ELNS1_11target_archE1100ELNS1_3gpuE3ELNS1_3repE0EEENS1_30default_config_static_selectorELNS0_4arch9wavefront6targetE1EEEvSP_
	.p2align	8
	.type	_ZN7rocprim17ROCPRIM_400000_NS6detail17trampoline_kernelINS0_14default_configENS1_27lower_bound_config_selectorIdiEEZNS1_14transform_implILb0ES3_S5_N6thrust23THRUST_200600_302600_NS6detail15normal_iteratorINS8_10device_ptrIdEEEENSA_INSB_IiEEEEZNS1_13binary_searchIS3_S5_SD_SD_SF_NS1_21lower_bound_search_opENS9_16wrapped_functionINS0_4lessIvEEbEEEE10hipError_tPvRmT1_T2_T3_mmT4_T5_P12ihipStream_tbEUlRKdE_EESM_SQ_SR_mSS_SV_bEUlT_E_NS1_11comp_targetILNS1_3genE9ELNS1_11target_archE1100ELNS1_3gpuE3ELNS1_3repE0EEENS1_30default_config_static_selectorELNS0_4arch9wavefront6targetE1EEEvSP_,@function
_ZN7rocprim17ROCPRIM_400000_NS6detail17trampoline_kernelINS0_14default_configENS1_27lower_bound_config_selectorIdiEEZNS1_14transform_implILb0ES3_S5_N6thrust23THRUST_200600_302600_NS6detail15normal_iteratorINS8_10device_ptrIdEEEENSA_INSB_IiEEEEZNS1_13binary_searchIS3_S5_SD_SD_SF_NS1_21lower_bound_search_opENS9_16wrapped_functionINS0_4lessIvEEbEEEE10hipError_tPvRmT1_T2_T3_mmT4_T5_P12ihipStream_tbEUlRKdE_EESM_SQ_SR_mSS_SV_bEUlT_E_NS1_11comp_targetILNS1_3genE9ELNS1_11target_archE1100ELNS1_3gpuE3ELNS1_3repE0EEENS1_30default_config_static_selectorELNS0_4arch9wavefront6targetE1EEEvSP_: ; @_ZN7rocprim17ROCPRIM_400000_NS6detail17trampoline_kernelINS0_14default_configENS1_27lower_bound_config_selectorIdiEEZNS1_14transform_implILb0ES3_S5_N6thrust23THRUST_200600_302600_NS6detail15normal_iteratorINS8_10device_ptrIdEEEENSA_INSB_IiEEEEZNS1_13binary_searchIS3_S5_SD_SD_SF_NS1_21lower_bound_search_opENS9_16wrapped_functionINS0_4lessIvEEbEEEE10hipError_tPvRmT1_T2_T3_mmT4_T5_P12ihipStream_tbEUlRKdE_EESM_SQ_SR_mSS_SV_bEUlT_E_NS1_11comp_targetILNS1_3genE9ELNS1_11target_archE1100ELNS1_3gpuE3ELNS1_3repE0EEENS1_30default_config_static_selectorELNS0_4arch9wavefront6targetE1EEEvSP_
; %bb.0:
	.section	.rodata,"a",@progbits
	.p2align	6, 0x0
	.amdhsa_kernel _ZN7rocprim17ROCPRIM_400000_NS6detail17trampoline_kernelINS0_14default_configENS1_27lower_bound_config_selectorIdiEEZNS1_14transform_implILb0ES3_S5_N6thrust23THRUST_200600_302600_NS6detail15normal_iteratorINS8_10device_ptrIdEEEENSA_INSB_IiEEEEZNS1_13binary_searchIS3_S5_SD_SD_SF_NS1_21lower_bound_search_opENS9_16wrapped_functionINS0_4lessIvEEbEEEE10hipError_tPvRmT1_T2_T3_mmT4_T5_P12ihipStream_tbEUlRKdE_EESM_SQ_SR_mSS_SV_bEUlT_E_NS1_11comp_targetILNS1_3genE9ELNS1_11target_archE1100ELNS1_3gpuE3ELNS1_3repE0EEENS1_30default_config_static_selectorELNS0_4arch9wavefront6targetE1EEEvSP_
		.amdhsa_group_segment_fixed_size 0
		.amdhsa_private_segment_fixed_size 0
		.amdhsa_kernarg_size 56
		.amdhsa_user_sgpr_count 6
		.amdhsa_user_sgpr_private_segment_buffer 1
		.amdhsa_user_sgpr_dispatch_ptr 0
		.amdhsa_user_sgpr_queue_ptr 0
		.amdhsa_user_sgpr_kernarg_segment_ptr 1
		.amdhsa_user_sgpr_dispatch_id 0
		.amdhsa_user_sgpr_flat_scratch_init 0
		.amdhsa_user_sgpr_kernarg_preload_length 0
		.amdhsa_user_sgpr_kernarg_preload_offset 0
		.amdhsa_user_sgpr_private_segment_size 0
		.amdhsa_uses_dynamic_stack 0
		.amdhsa_system_sgpr_private_segment_wavefront_offset 0
		.amdhsa_system_sgpr_workgroup_id_x 1
		.amdhsa_system_sgpr_workgroup_id_y 0
		.amdhsa_system_sgpr_workgroup_id_z 0
		.amdhsa_system_sgpr_workgroup_info 0
		.amdhsa_system_vgpr_workitem_id 0
		.amdhsa_next_free_vgpr 1
		.amdhsa_next_free_sgpr 0
		.amdhsa_accum_offset 4
		.amdhsa_reserve_vcc 0
		.amdhsa_reserve_flat_scratch 0
		.amdhsa_float_round_mode_32 0
		.amdhsa_float_round_mode_16_64 0
		.amdhsa_float_denorm_mode_32 3
		.amdhsa_float_denorm_mode_16_64 3
		.amdhsa_dx10_clamp 1
		.amdhsa_ieee_mode 1
		.amdhsa_fp16_overflow 0
		.amdhsa_tg_split 0
		.amdhsa_exception_fp_ieee_invalid_op 0
		.amdhsa_exception_fp_denorm_src 0
		.amdhsa_exception_fp_ieee_div_zero 0
		.amdhsa_exception_fp_ieee_overflow 0
		.amdhsa_exception_fp_ieee_underflow 0
		.amdhsa_exception_fp_ieee_inexact 0
		.amdhsa_exception_int_div_zero 0
	.end_amdhsa_kernel
	.section	.text._ZN7rocprim17ROCPRIM_400000_NS6detail17trampoline_kernelINS0_14default_configENS1_27lower_bound_config_selectorIdiEEZNS1_14transform_implILb0ES3_S5_N6thrust23THRUST_200600_302600_NS6detail15normal_iteratorINS8_10device_ptrIdEEEENSA_INSB_IiEEEEZNS1_13binary_searchIS3_S5_SD_SD_SF_NS1_21lower_bound_search_opENS9_16wrapped_functionINS0_4lessIvEEbEEEE10hipError_tPvRmT1_T2_T3_mmT4_T5_P12ihipStream_tbEUlRKdE_EESM_SQ_SR_mSS_SV_bEUlT_E_NS1_11comp_targetILNS1_3genE9ELNS1_11target_archE1100ELNS1_3gpuE3ELNS1_3repE0EEENS1_30default_config_static_selectorELNS0_4arch9wavefront6targetE1EEEvSP_,"axG",@progbits,_ZN7rocprim17ROCPRIM_400000_NS6detail17trampoline_kernelINS0_14default_configENS1_27lower_bound_config_selectorIdiEEZNS1_14transform_implILb0ES3_S5_N6thrust23THRUST_200600_302600_NS6detail15normal_iteratorINS8_10device_ptrIdEEEENSA_INSB_IiEEEEZNS1_13binary_searchIS3_S5_SD_SD_SF_NS1_21lower_bound_search_opENS9_16wrapped_functionINS0_4lessIvEEbEEEE10hipError_tPvRmT1_T2_T3_mmT4_T5_P12ihipStream_tbEUlRKdE_EESM_SQ_SR_mSS_SV_bEUlT_E_NS1_11comp_targetILNS1_3genE9ELNS1_11target_archE1100ELNS1_3gpuE3ELNS1_3repE0EEENS1_30default_config_static_selectorELNS0_4arch9wavefront6targetE1EEEvSP_,comdat
.Lfunc_end258:
	.size	_ZN7rocprim17ROCPRIM_400000_NS6detail17trampoline_kernelINS0_14default_configENS1_27lower_bound_config_selectorIdiEEZNS1_14transform_implILb0ES3_S5_N6thrust23THRUST_200600_302600_NS6detail15normal_iteratorINS8_10device_ptrIdEEEENSA_INSB_IiEEEEZNS1_13binary_searchIS3_S5_SD_SD_SF_NS1_21lower_bound_search_opENS9_16wrapped_functionINS0_4lessIvEEbEEEE10hipError_tPvRmT1_T2_T3_mmT4_T5_P12ihipStream_tbEUlRKdE_EESM_SQ_SR_mSS_SV_bEUlT_E_NS1_11comp_targetILNS1_3genE9ELNS1_11target_archE1100ELNS1_3gpuE3ELNS1_3repE0EEENS1_30default_config_static_selectorELNS0_4arch9wavefront6targetE1EEEvSP_, .Lfunc_end258-_ZN7rocprim17ROCPRIM_400000_NS6detail17trampoline_kernelINS0_14default_configENS1_27lower_bound_config_selectorIdiEEZNS1_14transform_implILb0ES3_S5_N6thrust23THRUST_200600_302600_NS6detail15normal_iteratorINS8_10device_ptrIdEEEENSA_INSB_IiEEEEZNS1_13binary_searchIS3_S5_SD_SD_SF_NS1_21lower_bound_search_opENS9_16wrapped_functionINS0_4lessIvEEbEEEE10hipError_tPvRmT1_T2_T3_mmT4_T5_P12ihipStream_tbEUlRKdE_EESM_SQ_SR_mSS_SV_bEUlT_E_NS1_11comp_targetILNS1_3genE9ELNS1_11target_archE1100ELNS1_3gpuE3ELNS1_3repE0EEENS1_30default_config_static_selectorELNS0_4arch9wavefront6targetE1EEEvSP_
                                        ; -- End function
	.section	.AMDGPU.csdata,"",@progbits
; Kernel info:
; codeLenInByte = 0
; NumSgprs: 4
; NumVgprs: 0
; NumAgprs: 0
; TotalNumVgprs: 0
; ScratchSize: 0
; MemoryBound: 0
; FloatMode: 240
; IeeeMode: 1
; LDSByteSize: 0 bytes/workgroup (compile time only)
; SGPRBlocks: 0
; VGPRBlocks: 0
; NumSGPRsForWavesPerEU: 4
; NumVGPRsForWavesPerEU: 1
; AccumOffset: 4
; Occupancy: 8
; WaveLimiterHint : 0
; COMPUTE_PGM_RSRC2:SCRATCH_EN: 0
; COMPUTE_PGM_RSRC2:USER_SGPR: 6
; COMPUTE_PGM_RSRC2:TRAP_HANDLER: 0
; COMPUTE_PGM_RSRC2:TGID_X_EN: 1
; COMPUTE_PGM_RSRC2:TGID_Y_EN: 0
; COMPUTE_PGM_RSRC2:TGID_Z_EN: 0
; COMPUTE_PGM_RSRC2:TIDIG_COMP_CNT: 0
; COMPUTE_PGM_RSRC3_GFX90A:ACCUM_OFFSET: 0
; COMPUTE_PGM_RSRC3_GFX90A:TG_SPLIT: 0
	.section	.text._ZN7rocprim17ROCPRIM_400000_NS6detail17trampoline_kernelINS0_14default_configENS1_27lower_bound_config_selectorIdiEEZNS1_14transform_implILb0ES3_S5_N6thrust23THRUST_200600_302600_NS6detail15normal_iteratorINS8_10device_ptrIdEEEENSA_INSB_IiEEEEZNS1_13binary_searchIS3_S5_SD_SD_SF_NS1_21lower_bound_search_opENS9_16wrapped_functionINS0_4lessIvEEbEEEE10hipError_tPvRmT1_T2_T3_mmT4_T5_P12ihipStream_tbEUlRKdE_EESM_SQ_SR_mSS_SV_bEUlT_E_NS1_11comp_targetILNS1_3genE8ELNS1_11target_archE1030ELNS1_3gpuE2ELNS1_3repE0EEENS1_30default_config_static_selectorELNS0_4arch9wavefront6targetE1EEEvSP_,"axG",@progbits,_ZN7rocprim17ROCPRIM_400000_NS6detail17trampoline_kernelINS0_14default_configENS1_27lower_bound_config_selectorIdiEEZNS1_14transform_implILb0ES3_S5_N6thrust23THRUST_200600_302600_NS6detail15normal_iteratorINS8_10device_ptrIdEEEENSA_INSB_IiEEEEZNS1_13binary_searchIS3_S5_SD_SD_SF_NS1_21lower_bound_search_opENS9_16wrapped_functionINS0_4lessIvEEbEEEE10hipError_tPvRmT1_T2_T3_mmT4_T5_P12ihipStream_tbEUlRKdE_EESM_SQ_SR_mSS_SV_bEUlT_E_NS1_11comp_targetILNS1_3genE8ELNS1_11target_archE1030ELNS1_3gpuE2ELNS1_3repE0EEENS1_30default_config_static_selectorELNS0_4arch9wavefront6targetE1EEEvSP_,comdat
	.protected	_ZN7rocprim17ROCPRIM_400000_NS6detail17trampoline_kernelINS0_14default_configENS1_27lower_bound_config_selectorIdiEEZNS1_14transform_implILb0ES3_S5_N6thrust23THRUST_200600_302600_NS6detail15normal_iteratorINS8_10device_ptrIdEEEENSA_INSB_IiEEEEZNS1_13binary_searchIS3_S5_SD_SD_SF_NS1_21lower_bound_search_opENS9_16wrapped_functionINS0_4lessIvEEbEEEE10hipError_tPvRmT1_T2_T3_mmT4_T5_P12ihipStream_tbEUlRKdE_EESM_SQ_SR_mSS_SV_bEUlT_E_NS1_11comp_targetILNS1_3genE8ELNS1_11target_archE1030ELNS1_3gpuE2ELNS1_3repE0EEENS1_30default_config_static_selectorELNS0_4arch9wavefront6targetE1EEEvSP_ ; -- Begin function _ZN7rocprim17ROCPRIM_400000_NS6detail17trampoline_kernelINS0_14default_configENS1_27lower_bound_config_selectorIdiEEZNS1_14transform_implILb0ES3_S5_N6thrust23THRUST_200600_302600_NS6detail15normal_iteratorINS8_10device_ptrIdEEEENSA_INSB_IiEEEEZNS1_13binary_searchIS3_S5_SD_SD_SF_NS1_21lower_bound_search_opENS9_16wrapped_functionINS0_4lessIvEEbEEEE10hipError_tPvRmT1_T2_T3_mmT4_T5_P12ihipStream_tbEUlRKdE_EESM_SQ_SR_mSS_SV_bEUlT_E_NS1_11comp_targetILNS1_3genE8ELNS1_11target_archE1030ELNS1_3gpuE2ELNS1_3repE0EEENS1_30default_config_static_selectorELNS0_4arch9wavefront6targetE1EEEvSP_
	.globl	_ZN7rocprim17ROCPRIM_400000_NS6detail17trampoline_kernelINS0_14default_configENS1_27lower_bound_config_selectorIdiEEZNS1_14transform_implILb0ES3_S5_N6thrust23THRUST_200600_302600_NS6detail15normal_iteratorINS8_10device_ptrIdEEEENSA_INSB_IiEEEEZNS1_13binary_searchIS3_S5_SD_SD_SF_NS1_21lower_bound_search_opENS9_16wrapped_functionINS0_4lessIvEEbEEEE10hipError_tPvRmT1_T2_T3_mmT4_T5_P12ihipStream_tbEUlRKdE_EESM_SQ_SR_mSS_SV_bEUlT_E_NS1_11comp_targetILNS1_3genE8ELNS1_11target_archE1030ELNS1_3gpuE2ELNS1_3repE0EEENS1_30default_config_static_selectorELNS0_4arch9wavefront6targetE1EEEvSP_
	.p2align	8
	.type	_ZN7rocprim17ROCPRIM_400000_NS6detail17trampoline_kernelINS0_14default_configENS1_27lower_bound_config_selectorIdiEEZNS1_14transform_implILb0ES3_S5_N6thrust23THRUST_200600_302600_NS6detail15normal_iteratorINS8_10device_ptrIdEEEENSA_INSB_IiEEEEZNS1_13binary_searchIS3_S5_SD_SD_SF_NS1_21lower_bound_search_opENS9_16wrapped_functionINS0_4lessIvEEbEEEE10hipError_tPvRmT1_T2_T3_mmT4_T5_P12ihipStream_tbEUlRKdE_EESM_SQ_SR_mSS_SV_bEUlT_E_NS1_11comp_targetILNS1_3genE8ELNS1_11target_archE1030ELNS1_3gpuE2ELNS1_3repE0EEENS1_30default_config_static_selectorELNS0_4arch9wavefront6targetE1EEEvSP_,@function
_ZN7rocprim17ROCPRIM_400000_NS6detail17trampoline_kernelINS0_14default_configENS1_27lower_bound_config_selectorIdiEEZNS1_14transform_implILb0ES3_S5_N6thrust23THRUST_200600_302600_NS6detail15normal_iteratorINS8_10device_ptrIdEEEENSA_INSB_IiEEEEZNS1_13binary_searchIS3_S5_SD_SD_SF_NS1_21lower_bound_search_opENS9_16wrapped_functionINS0_4lessIvEEbEEEE10hipError_tPvRmT1_T2_T3_mmT4_T5_P12ihipStream_tbEUlRKdE_EESM_SQ_SR_mSS_SV_bEUlT_E_NS1_11comp_targetILNS1_3genE8ELNS1_11target_archE1030ELNS1_3gpuE2ELNS1_3repE0EEENS1_30default_config_static_selectorELNS0_4arch9wavefront6targetE1EEEvSP_: ; @_ZN7rocprim17ROCPRIM_400000_NS6detail17trampoline_kernelINS0_14default_configENS1_27lower_bound_config_selectorIdiEEZNS1_14transform_implILb0ES3_S5_N6thrust23THRUST_200600_302600_NS6detail15normal_iteratorINS8_10device_ptrIdEEEENSA_INSB_IiEEEEZNS1_13binary_searchIS3_S5_SD_SD_SF_NS1_21lower_bound_search_opENS9_16wrapped_functionINS0_4lessIvEEbEEEE10hipError_tPvRmT1_T2_T3_mmT4_T5_P12ihipStream_tbEUlRKdE_EESM_SQ_SR_mSS_SV_bEUlT_E_NS1_11comp_targetILNS1_3genE8ELNS1_11target_archE1030ELNS1_3gpuE2ELNS1_3repE0EEENS1_30default_config_static_selectorELNS0_4arch9wavefront6targetE1EEEvSP_
; %bb.0:
	.section	.rodata,"a",@progbits
	.p2align	6, 0x0
	.amdhsa_kernel _ZN7rocprim17ROCPRIM_400000_NS6detail17trampoline_kernelINS0_14default_configENS1_27lower_bound_config_selectorIdiEEZNS1_14transform_implILb0ES3_S5_N6thrust23THRUST_200600_302600_NS6detail15normal_iteratorINS8_10device_ptrIdEEEENSA_INSB_IiEEEEZNS1_13binary_searchIS3_S5_SD_SD_SF_NS1_21lower_bound_search_opENS9_16wrapped_functionINS0_4lessIvEEbEEEE10hipError_tPvRmT1_T2_T3_mmT4_T5_P12ihipStream_tbEUlRKdE_EESM_SQ_SR_mSS_SV_bEUlT_E_NS1_11comp_targetILNS1_3genE8ELNS1_11target_archE1030ELNS1_3gpuE2ELNS1_3repE0EEENS1_30default_config_static_selectorELNS0_4arch9wavefront6targetE1EEEvSP_
		.amdhsa_group_segment_fixed_size 0
		.amdhsa_private_segment_fixed_size 0
		.amdhsa_kernarg_size 56
		.amdhsa_user_sgpr_count 6
		.amdhsa_user_sgpr_private_segment_buffer 1
		.amdhsa_user_sgpr_dispatch_ptr 0
		.amdhsa_user_sgpr_queue_ptr 0
		.amdhsa_user_sgpr_kernarg_segment_ptr 1
		.amdhsa_user_sgpr_dispatch_id 0
		.amdhsa_user_sgpr_flat_scratch_init 0
		.amdhsa_user_sgpr_kernarg_preload_length 0
		.amdhsa_user_sgpr_kernarg_preload_offset 0
		.amdhsa_user_sgpr_private_segment_size 0
		.amdhsa_uses_dynamic_stack 0
		.amdhsa_system_sgpr_private_segment_wavefront_offset 0
		.amdhsa_system_sgpr_workgroup_id_x 1
		.amdhsa_system_sgpr_workgroup_id_y 0
		.amdhsa_system_sgpr_workgroup_id_z 0
		.amdhsa_system_sgpr_workgroup_info 0
		.amdhsa_system_vgpr_workitem_id 0
		.amdhsa_next_free_vgpr 1
		.amdhsa_next_free_sgpr 0
		.amdhsa_accum_offset 4
		.amdhsa_reserve_vcc 0
		.amdhsa_reserve_flat_scratch 0
		.amdhsa_float_round_mode_32 0
		.amdhsa_float_round_mode_16_64 0
		.amdhsa_float_denorm_mode_32 3
		.amdhsa_float_denorm_mode_16_64 3
		.amdhsa_dx10_clamp 1
		.amdhsa_ieee_mode 1
		.amdhsa_fp16_overflow 0
		.amdhsa_tg_split 0
		.amdhsa_exception_fp_ieee_invalid_op 0
		.amdhsa_exception_fp_denorm_src 0
		.amdhsa_exception_fp_ieee_div_zero 0
		.amdhsa_exception_fp_ieee_overflow 0
		.amdhsa_exception_fp_ieee_underflow 0
		.amdhsa_exception_fp_ieee_inexact 0
		.amdhsa_exception_int_div_zero 0
	.end_amdhsa_kernel
	.section	.text._ZN7rocprim17ROCPRIM_400000_NS6detail17trampoline_kernelINS0_14default_configENS1_27lower_bound_config_selectorIdiEEZNS1_14transform_implILb0ES3_S5_N6thrust23THRUST_200600_302600_NS6detail15normal_iteratorINS8_10device_ptrIdEEEENSA_INSB_IiEEEEZNS1_13binary_searchIS3_S5_SD_SD_SF_NS1_21lower_bound_search_opENS9_16wrapped_functionINS0_4lessIvEEbEEEE10hipError_tPvRmT1_T2_T3_mmT4_T5_P12ihipStream_tbEUlRKdE_EESM_SQ_SR_mSS_SV_bEUlT_E_NS1_11comp_targetILNS1_3genE8ELNS1_11target_archE1030ELNS1_3gpuE2ELNS1_3repE0EEENS1_30default_config_static_selectorELNS0_4arch9wavefront6targetE1EEEvSP_,"axG",@progbits,_ZN7rocprim17ROCPRIM_400000_NS6detail17trampoline_kernelINS0_14default_configENS1_27lower_bound_config_selectorIdiEEZNS1_14transform_implILb0ES3_S5_N6thrust23THRUST_200600_302600_NS6detail15normal_iteratorINS8_10device_ptrIdEEEENSA_INSB_IiEEEEZNS1_13binary_searchIS3_S5_SD_SD_SF_NS1_21lower_bound_search_opENS9_16wrapped_functionINS0_4lessIvEEbEEEE10hipError_tPvRmT1_T2_T3_mmT4_T5_P12ihipStream_tbEUlRKdE_EESM_SQ_SR_mSS_SV_bEUlT_E_NS1_11comp_targetILNS1_3genE8ELNS1_11target_archE1030ELNS1_3gpuE2ELNS1_3repE0EEENS1_30default_config_static_selectorELNS0_4arch9wavefront6targetE1EEEvSP_,comdat
.Lfunc_end259:
	.size	_ZN7rocprim17ROCPRIM_400000_NS6detail17trampoline_kernelINS0_14default_configENS1_27lower_bound_config_selectorIdiEEZNS1_14transform_implILb0ES3_S5_N6thrust23THRUST_200600_302600_NS6detail15normal_iteratorINS8_10device_ptrIdEEEENSA_INSB_IiEEEEZNS1_13binary_searchIS3_S5_SD_SD_SF_NS1_21lower_bound_search_opENS9_16wrapped_functionINS0_4lessIvEEbEEEE10hipError_tPvRmT1_T2_T3_mmT4_T5_P12ihipStream_tbEUlRKdE_EESM_SQ_SR_mSS_SV_bEUlT_E_NS1_11comp_targetILNS1_3genE8ELNS1_11target_archE1030ELNS1_3gpuE2ELNS1_3repE0EEENS1_30default_config_static_selectorELNS0_4arch9wavefront6targetE1EEEvSP_, .Lfunc_end259-_ZN7rocprim17ROCPRIM_400000_NS6detail17trampoline_kernelINS0_14default_configENS1_27lower_bound_config_selectorIdiEEZNS1_14transform_implILb0ES3_S5_N6thrust23THRUST_200600_302600_NS6detail15normal_iteratorINS8_10device_ptrIdEEEENSA_INSB_IiEEEEZNS1_13binary_searchIS3_S5_SD_SD_SF_NS1_21lower_bound_search_opENS9_16wrapped_functionINS0_4lessIvEEbEEEE10hipError_tPvRmT1_T2_T3_mmT4_T5_P12ihipStream_tbEUlRKdE_EESM_SQ_SR_mSS_SV_bEUlT_E_NS1_11comp_targetILNS1_3genE8ELNS1_11target_archE1030ELNS1_3gpuE2ELNS1_3repE0EEENS1_30default_config_static_selectorELNS0_4arch9wavefront6targetE1EEEvSP_
                                        ; -- End function
	.section	.AMDGPU.csdata,"",@progbits
; Kernel info:
; codeLenInByte = 0
; NumSgprs: 4
; NumVgprs: 0
; NumAgprs: 0
; TotalNumVgprs: 0
; ScratchSize: 0
; MemoryBound: 0
; FloatMode: 240
; IeeeMode: 1
; LDSByteSize: 0 bytes/workgroup (compile time only)
; SGPRBlocks: 0
; VGPRBlocks: 0
; NumSGPRsForWavesPerEU: 4
; NumVGPRsForWavesPerEU: 1
; AccumOffset: 4
; Occupancy: 8
; WaveLimiterHint : 0
; COMPUTE_PGM_RSRC2:SCRATCH_EN: 0
; COMPUTE_PGM_RSRC2:USER_SGPR: 6
; COMPUTE_PGM_RSRC2:TRAP_HANDLER: 0
; COMPUTE_PGM_RSRC2:TGID_X_EN: 1
; COMPUTE_PGM_RSRC2:TGID_Y_EN: 0
; COMPUTE_PGM_RSRC2:TGID_Z_EN: 0
; COMPUTE_PGM_RSRC2:TIDIG_COMP_CNT: 0
; COMPUTE_PGM_RSRC3_GFX90A:ACCUM_OFFSET: 0
; COMPUTE_PGM_RSRC3_GFX90A:TG_SPLIT: 0
	.section	.text._ZN6thrust23THRUST_200600_302600_NS11hip_rocprim14__parallel_for6kernelILj256ENS1_10__tabulate7functorINS0_6detail15normal_iteratorINS0_10device_ptrIfEEEENS0_6system6detail7generic6detail22compute_sequence_valueIfvEElEElLj1EEEvT0_T1_SJ_,"axG",@progbits,_ZN6thrust23THRUST_200600_302600_NS11hip_rocprim14__parallel_for6kernelILj256ENS1_10__tabulate7functorINS0_6detail15normal_iteratorINS0_10device_ptrIfEEEENS0_6system6detail7generic6detail22compute_sequence_valueIfvEElEElLj1EEEvT0_T1_SJ_,comdat
	.protected	_ZN6thrust23THRUST_200600_302600_NS11hip_rocprim14__parallel_for6kernelILj256ENS1_10__tabulate7functorINS0_6detail15normal_iteratorINS0_10device_ptrIfEEEENS0_6system6detail7generic6detail22compute_sequence_valueIfvEElEElLj1EEEvT0_T1_SJ_ ; -- Begin function _ZN6thrust23THRUST_200600_302600_NS11hip_rocprim14__parallel_for6kernelILj256ENS1_10__tabulate7functorINS0_6detail15normal_iteratorINS0_10device_ptrIfEEEENS0_6system6detail7generic6detail22compute_sequence_valueIfvEElEElLj1EEEvT0_T1_SJ_
	.globl	_ZN6thrust23THRUST_200600_302600_NS11hip_rocprim14__parallel_for6kernelILj256ENS1_10__tabulate7functorINS0_6detail15normal_iteratorINS0_10device_ptrIfEEEENS0_6system6detail7generic6detail22compute_sequence_valueIfvEElEElLj1EEEvT0_T1_SJ_
	.p2align	8
	.type	_ZN6thrust23THRUST_200600_302600_NS11hip_rocprim14__parallel_for6kernelILj256ENS1_10__tabulate7functorINS0_6detail15normal_iteratorINS0_10device_ptrIfEEEENS0_6system6detail7generic6detail22compute_sequence_valueIfvEElEElLj1EEEvT0_T1_SJ_,@function
_ZN6thrust23THRUST_200600_302600_NS11hip_rocprim14__parallel_for6kernelILj256ENS1_10__tabulate7functorINS0_6detail15normal_iteratorINS0_10device_ptrIfEEEENS0_6system6detail7generic6detail22compute_sequence_valueIfvEElEElLj1EEEvT0_T1_SJ_: ; @_ZN6thrust23THRUST_200600_302600_NS11hip_rocprim14__parallel_for6kernelILj256ENS1_10__tabulate7functorINS0_6detail15normal_iteratorINS0_10device_ptrIfEEEENS0_6system6detail7generic6detail22compute_sequence_valueIfvEElEElLj1EEEvT0_T1_SJ_
; %bb.0:
	s_load_dwordx8 s[8:15], s[4:5], 0x0
	s_lshl_b32 s0, s6, 8
	v_mov_b32_e32 v2, 0x100
	v_mov_b32_e32 v3, 0
	s_waitcnt lgkmcnt(0)
	s_add_u32 s2, s0, s14
	s_addc_u32 s3, 0, s15
	s_sub_u32 s0, s12, s2
	s_subb_u32 s1, s13, s3
	v_cmp_lt_i64_e32 vcc, s[0:1], v[2:3]
	s_and_b64 s[4:5], vcc, exec
	s_cselect_b32 s4, s0, 0x100
	s_cmpk_lg_i32 s4, 0x100
	s_mov_b64 s[0:1], -1
	s_cbranch_scc1 .LBB260_3
; %bb.1:
	s_andn2_b64 vcc, exec, s[0:1]
	s_cbranch_vccz .LBB260_6
.LBB260_2:
	s_endpgm
.LBB260_3:
	v_cmp_gt_u32_e32 vcc, s4, v0
	s_and_saveexec_b64 s[0:1], vcc
	s_cbranch_execz .LBB260_5
; %bb.4:
	v_mov_b32_e32 v1, s3
	v_add_co_u32_e32 v2, vcc, s2, v0
	v_addc_co_u32_e32 v3, vcc, 0, v1, vcc
	v_ffbh_u32_e32 v6, v3
	v_min_u32_e32 v6, 32, v6
	v_lshlrev_b64 v[4:5], 2, v[2:3]
	v_lshlrev_b64 v[2:3], v6, v[2:3]
	v_min_u32_e32 v2, 1, v2
	v_or_b32_e32 v2, v3, v2
	v_cvt_f32_u32_e32 v7, v2
	v_mov_b32_e32 v1, s9
	v_add_co_u32_e32 v2, vcc, s8, v4
	v_addc_co_u32_e32 v3, vcc, v1, v5, vcc
	v_sub_u32_e32 v1, 32, v6
	v_ldexp_f32 v1, v7, v1
	v_mov_b32_e32 v4, s10
	v_fma_f32 v1, s11, v1, v4
	flat_store_dword v[2:3], v1
.LBB260_5:
	s_or_b64 exec, exec, s[0:1]
	s_cbranch_execnz .LBB260_2
.LBB260_6:
	v_mov_b32_e32 v1, s3
	v_add_co_u32_e32 v0, vcc, s2, v0
	v_addc_co_u32_e32 v1, vcc, 0, v1, vcc
	v_ffbh_u32_e32 v2, v1
	v_min_u32_e32 v4, 32, v2
	v_lshlrev_b64 v[2:3], v4, v[0:1]
	v_min_u32_e32 v2, 1, v2
	v_or_b32_e32 v2, v3, v2
	v_cvt_f32_u32_e32 v2, v2
	v_sub_u32_e32 v3, 32, v4
	v_lshlrev_b64 v[0:1], 2, v[0:1]
	v_add_co_u32_e32 v0, vcc, s8, v0
	v_ldexp_f32 v2, v2, v3
	v_mov_b32_e32 v3, s10
	v_fma_f32 v2, s11, v2, v3
	v_mov_b32_e32 v3, s9
	v_addc_co_u32_e32 v1, vcc, v3, v1, vcc
	flat_store_dword v[0:1], v2
	s_endpgm
	.section	.rodata,"a",@progbits
	.p2align	6, 0x0
	.amdhsa_kernel _ZN6thrust23THRUST_200600_302600_NS11hip_rocprim14__parallel_for6kernelILj256ENS1_10__tabulate7functorINS0_6detail15normal_iteratorINS0_10device_ptrIfEEEENS0_6system6detail7generic6detail22compute_sequence_valueIfvEElEElLj1EEEvT0_T1_SJ_
		.amdhsa_group_segment_fixed_size 0
		.amdhsa_private_segment_fixed_size 0
		.amdhsa_kernarg_size 32
		.amdhsa_user_sgpr_count 6
		.amdhsa_user_sgpr_private_segment_buffer 1
		.amdhsa_user_sgpr_dispatch_ptr 0
		.amdhsa_user_sgpr_queue_ptr 0
		.amdhsa_user_sgpr_kernarg_segment_ptr 1
		.amdhsa_user_sgpr_dispatch_id 0
		.amdhsa_user_sgpr_flat_scratch_init 0
		.amdhsa_user_sgpr_kernarg_preload_length 0
		.amdhsa_user_sgpr_kernarg_preload_offset 0
		.amdhsa_user_sgpr_private_segment_size 0
		.amdhsa_uses_dynamic_stack 0
		.amdhsa_system_sgpr_private_segment_wavefront_offset 0
		.amdhsa_system_sgpr_workgroup_id_x 1
		.amdhsa_system_sgpr_workgroup_id_y 0
		.amdhsa_system_sgpr_workgroup_id_z 0
		.amdhsa_system_sgpr_workgroup_info 0
		.amdhsa_system_vgpr_workitem_id 0
		.amdhsa_next_free_vgpr 8
		.amdhsa_next_free_sgpr 16
		.amdhsa_accum_offset 8
		.amdhsa_reserve_vcc 1
		.amdhsa_reserve_flat_scratch 0
		.amdhsa_float_round_mode_32 0
		.amdhsa_float_round_mode_16_64 0
		.amdhsa_float_denorm_mode_32 3
		.amdhsa_float_denorm_mode_16_64 3
		.amdhsa_dx10_clamp 1
		.amdhsa_ieee_mode 1
		.amdhsa_fp16_overflow 0
		.amdhsa_tg_split 0
		.amdhsa_exception_fp_ieee_invalid_op 0
		.amdhsa_exception_fp_denorm_src 0
		.amdhsa_exception_fp_ieee_div_zero 0
		.amdhsa_exception_fp_ieee_overflow 0
		.amdhsa_exception_fp_ieee_underflow 0
		.amdhsa_exception_fp_ieee_inexact 0
		.amdhsa_exception_int_div_zero 0
	.end_amdhsa_kernel
	.section	.text._ZN6thrust23THRUST_200600_302600_NS11hip_rocprim14__parallel_for6kernelILj256ENS1_10__tabulate7functorINS0_6detail15normal_iteratorINS0_10device_ptrIfEEEENS0_6system6detail7generic6detail22compute_sequence_valueIfvEElEElLj1EEEvT0_T1_SJ_,"axG",@progbits,_ZN6thrust23THRUST_200600_302600_NS11hip_rocprim14__parallel_for6kernelILj256ENS1_10__tabulate7functorINS0_6detail15normal_iteratorINS0_10device_ptrIfEEEENS0_6system6detail7generic6detail22compute_sequence_valueIfvEElEElLj1EEEvT0_T1_SJ_,comdat
.Lfunc_end260:
	.size	_ZN6thrust23THRUST_200600_302600_NS11hip_rocprim14__parallel_for6kernelILj256ENS1_10__tabulate7functorINS0_6detail15normal_iteratorINS0_10device_ptrIfEEEENS0_6system6detail7generic6detail22compute_sequence_valueIfvEElEElLj1EEEvT0_T1_SJ_, .Lfunc_end260-_ZN6thrust23THRUST_200600_302600_NS11hip_rocprim14__parallel_for6kernelILj256ENS1_10__tabulate7functorINS0_6detail15normal_iteratorINS0_10device_ptrIfEEEENS0_6system6detail7generic6detail22compute_sequence_valueIfvEElEElLj1EEEvT0_T1_SJ_
                                        ; -- End function
	.section	.AMDGPU.csdata,"",@progbits
; Kernel info:
; codeLenInByte = 292
; NumSgprs: 20
; NumVgprs: 8
; NumAgprs: 0
; TotalNumVgprs: 8
; ScratchSize: 0
; MemoryBound: 0
; FloatMode: 240
; IeeeMode: 1
; LDSByteSize: 0 bytes/workgroup (compile time only)
; SGPRBlocks: 2
; VGPRBlocks: 0
; NumSGPRsForWavesPerEU: 20
; NumVGPRsForWavesPerEU: 8
; AccumOffset: 8
; Occupancy: 8
; WaveLimiterHint : 0
; COMPUTE_PGM_RSRC2:SCRATCH_EN: 0
; COMPUTE_PGM_RSRC2:USER_SGPR: 6
; COMPUTE_PGM_RSRC2:TRAP_HANDLER: 0
; COMPUTE_PGM_RSRC2:TGID_X_EN: 1
; COMPUTE_PGM_RSRC2:TGID_Y_EN: 0
; COMPUTE_PGM_RSRC2:TGID_Z_EN: 0
; COMPUTE_PGM_RSRC2:TIDIG_COMP_CNT: 0
; COMPUTE_PGM_RSRC3_GFX90A:ACCUM_OFFSET: 1
; COMPUTE_PGM_RSRC3_GFX90A:TG_SPLIT: 0
	.section	.text._ZN7rocprim17ROCPRIM_400000_NS6detail17trampoline_kernelINS0_14default_configENS1_27lower_bound_config_selectorIfiEEZNS1_14transform_implILb0ES3_S5_N6thrust23THRUST_200600_302600_NS6detail15normal_iteratorINS8_10device_ptrIfEEEENSA_INSB_IiEEEEZNS1_13binary_searchIS3_S5_SD_SD_SF_NS1_21lower_bound_search_opENS9_16wrapped_functionINS0_4lessIvEEbEEEE10hipError_tPvRmT1_T2_T3_mmT4_T5_P12ihipStream_tbEUlRKfE_EESM_SQ_SR_mSS_SV_bEUlT_E_NS1_11comp_targetILNS1_3genE0ELNS1_11target_archE4294967295ELNS1_3gpuE0ELNS1_3repE0EEENS1_30default_config_static_selectorELNS0_4arch9wavefront6targetE1EEEvSP_,"axG",@progbits,_ZN7rocprim17ROCPRIM_400000_NS6detail17trampoline_kernelINS0_14default_configENS1_27lower_bound_config_selectorIfiEEZNS1_14transform_implILb0ES3_S5_N6thrust23THRUST_200600_302600_NS6detail15normal_iteratorINS8_10device_ptrIfEEEENSA_INSB_IiEEEEZNS1_13binary_searchIS3_S5_SD_SD_SF_NS1_21lower_bound_search_opENS9_16wrapped_functionINS0_4lessIvEEbEEEE10hipError_tPvRmT1_T2_T3_mmT4_T5_P12ihipStream_tbEUlRKfE_EESM_SQ_SR_mSS_SV_bEUlT_E_NS1_11comp_targetILNS1_3genE0ELNS1_11target_archE4294967295ELNS1_3gpuE0ELNS1_3repE0EEENS1_30default_config_static_selectorELNS0_4arch9wavefront6targetE1EEEvSP_,comdat
	.protected	_ZN7rocprim17ROCPRIM_400000_NS6detail17trampoline_kernelINS0_14default_configENS1_27lower_bound_config_selectorIfiEEZNS1_14transform_implILb0ES3_S5_N6thrust23THRUST_200600_302600_NS6detail15normal_iteratorINS8_10device_ptrIfEEEENSA_INSB_IiEEEEZNS1_13binary_searchIS3_S5_SD_SD_SF_NS1_21lower_bound_search_opENS9_16wrapped_functionINS0_4lessIvEEbEEEE10hipError_tPvRmT1_T2_T3_mmT4_T5_P12ihipStream_tbEUlRKfE_EESM_SQ_SR_mSS_SV_bEUlT_E_NS1_11comp_targetILNS1_3genE0ELNS1_11target_archE4294967295ELNS1_3gpuE0ELNS1_3repE0EEENS1_30default_config_static_selectorELNS0_4arch9wavefront6targetE1EEEvSP_ ; -- Begin function _ZN7rocprim17ROCPRIM_400000_NS6detail17trampoline_kernelINS0_14default_configENS1_27lower_bound_config_selectorIfiEEZNS1_14transform_implILb0ES3_S5_N6thrust23THRUST_200600_302600_NS6detail15normal_iteratorINS8_10device_ptrIfEEEENSA_INSB_IiEEEEZNS1_13binary_searchIS3_S5_SD_SD_SF_NS1_21lower_bound_search_opENS9_16wrapped_functionINS0_4lessIvEEbEEEE10hipError_tPvRmT1_T2_T3_mmT4_T5_P12ihipStream_tbEUlRKfE_EESM_SQ_SR_mSS_SV_bEUlT_E_NS1_11comp_targetILNS1_3genE0ELNS1_11target_archE4294967295ELNS1_3gpuE0ELNS1_3repE0EEENS1_30default_config_static_selectorELNS0_4arch9wavefront6targetE1EEEvSP_
	.globl	_ZN7rocprim17ROCPRIM_400000_NS6detail17trampoline_kernelINS0_14default_configENS1_27lower_bound_config_selectorIfiEEZNS1_14transform_implILb0ES3_S5_N6thrust23THRUST_200600_302600_NS6detail15normal_iteratorINS8_10device_ptrIfEEEENSA_INSB_IiEEEEZNS1_13binary_searchIS3_S5_SD_SD_SF_NS1_21lower_bound_search_opENS9_16wrapped_functionINS0_4lessIvEEbEEEE10hipError_tPvRmT1_T2_T3_mmT4_T5_P12ihipStream_tbEUlRKfE_EESM_SQ_SR_mSS_SV_bEUlT_E_NS1_11comp_targetILNS1_3genE0ELNS1_11target_archE4294967295ELNS1_3gpuE0ELNS1_3repE0EEENS1_30default_config_static_selectorELNS0_4arch9wavefront6targetE1EEEvSP_
	.p2align	8
	.type	_ZN7rocprim17ROCPRIM_400000_NS6detail17trampoline_kernelINS0_14default_configENS1_27lower_bound_config_selectorIfiEEZNS1_14transform_implILb0ES3_S5_N6thrust23THRUST_200600_302600_NS6detail15normal_iteratorINS8_10device_ptrIfEEEENSA_INSB_IiEEEEZNS1_13binary_searchIS3_S5_SD_SD_SF_NS1_21lower_bound_search_opENS9_16wrapped_functionINS0_4lessIvEEbEEEE10hipError_tPvRmT1_T2_T3_mmT4_T5_P12ihipStream_tbEUlRKfE_EESM_SQ_SR_mSS_SV_bEUlT_E_NS1_11comp_targetILNS1_3genE0ELNS1_11target_archE4294967295ELNS1_3gpuE0ELNS1_3repE0EEENS1_30default_config_static_selectorELNS0_4arch9wavefront6targetE1EEEvSP_,@function
_ZN7rocprim17ROCPRIM_400000_NS6detail17trampoline_kernelINS0_14default_configENS1_27lower_bound_config_selectorIfiEEZNS1_14transform_implILb0ES3_S5_N6thrust23THRUST_200600_302600_NS6detail15normal_iteratorINS8_10device_ptrIfEEEENSA_INSB_IiEEEEZNS1_13binary_searchIS3_S5_SD_SD_SF_NS1_21lower_bound_search_opENS9_16wrapped_functionINS0_4lessIvEEbEEEE10hipError_tPvRmT1_T2_T3_mmT4_T5_P12ihipStream_tbEUlRKfE_EESM_SQ_SR_mSS_SV_bEUlT_E_NS1_11comp_targetILNS1_3genE0ELNS1_11target_archE4294967295ELNS1_3gpuE0ELNS1_3repE0EEENS1_30default_config_static_selectorELNS0_4arch9wavefront6targetE1EEEvSP_: ; @_ZN7rocprim17ROCPRIM_400000_NS6detail17trampoline_kernelINS0_14default_configENS1_27lower_bound_config_selectorIfiEEZNS1_14transform_implILb0ES3_S5_N6thrust23THRUST_200600_302600_NS6detail15normal_iteratorINS8_10device_ptrIfEEEENSA_INSB_IiEEEEZNS1_13binary_searchIS3_S5_SD_SD_SF_NS1_21lower_bound_search_opENS9_16wrapped_functionINS0_4lessIvEEbEEEE10hipError_tPvRmT1_T2_T3_mmT4_T5_P12ihipStream_tbEUlRKfE_EESM_SQ_SR_mSS_SV_bEUlT_E_NS1_11comp_targetILNS1_3genE0ELNS1_11target_archE4294967295ELNS1_3gpuE0ELNS1_3repE0EEENS1_30default_config_static_selectorELNS0_4arch9wavefront6targetE1EEEvSP_
; %bb.0:
	.section	.rodata,"a",@progbits
	.p2align	6, 0x0
	.amdhsa_kernel _ZN7rocprim17ROCPRIM_400000_NS6detail17trampoline_kernelINS0_14default_configENS1_27lower_bound_config_selectorIfiEEZNS1_14transform_implILb0ES3_S5_N6thrust23THRUST_200600_302600_NS6detail15normal_iteratorINS8_10device_ptrIfEEEENSA_INSB_IiEEEEZNS1_13binary_searchIS3_S5_SD_SD_SF_NS1_21lower_bound_search_opENS9_16wrapped_functionINS0_4lessIvEEbEEEE10hipError_tPvRmT1_T2_T3_mmT4_T5_P12ihipStream_tbEUlRKfE_EESM_SQ_SR_mSS_SV_bEUlT_E_NS1_11comp_targetILNS1_3genE0ELNS1_11target_archE4294967295ELNS1_3gpuE0ELNS1_3repE0EEENS1_30default_config_static_selectorELNS0_4arch9wavefront6targetE1EEEvSP_
		.amdhsa_group_segment_fixed_size 0
		.amdhsa_private_segment_fixed_size 0
		.amdhsa_kernarg_size 56
		.amdhsa_user_sgpr_count 6
		.amdhsa_user_sgpr_private_segment_buffer 1
		.amdhsa_user_sgpr_dispatch_ptr 0
		.amdhsa_user_sgpr_queue_ptr 0
		.amdhsa_user_sgpr_kernarg_segment_ptr 1
		.amdhsa_user_sgpr_dispatch_id 0
		.amdhsa_user_sgpr_flat_scratch_init 0
		.amdhsa_user_sgpr_kernarg_preload_length 0
		.amdhsa_user_sgpr_kernarg_preload_offset 0
		.amdhsa_user_sgpr_private_segment_size 0
		.amdhsa_uses_dynamic_stack 0
		.amdhsa_system_sgpr_private_segment_wavefront_offset 0
		.amdhsa_system_sgpr_workgroup_id_x 1
		.amdhsa_system_sgpr_workgroup_id_y 0
		.amdhsa_system_sgpr_workgroup_id_z 0
		.amdhsa_system_sgpr_workgroup_info 0
		.amdhsa_system_vgpr_workitem_id 0
		.amdhsa_next_free_vgpr 1
		.amdhsa_next_free_sgpr 0
		.amdhsa_accum_offset 4
		.amdhsa_reserve_vcc 0
		.amdhsa_reserve_flat_scratch 0
		.amdhsa_float_round_mode_32 0
		.amdhsa_float_round_mode_16_64 0
		.amdhsa_float_denorm_mode_32 3
		.amdhsa_float_denorm_mode_16_64 3
		.amdhsa_dx10_clamp 1
		.amdhsa_ieee_mode 1
		.amdhsa_fp16_overflow 0
		.amdhsa_tg_split 0
		.amdhsa_exception_fp_ieee_invalid_op 0
		.amdhsa_exception_fp_denorm_src 0
		.amdhsa_exception_fp_ieee_div_zero 0
		.amdhsa_exception_fp_ieee_overflow 0
		.amdhsa_exception_fp_ieee_underflow 0
		.amdhsa_exception_fp_ieee_inexact 0
		.amdhsa_exception_int_div_zero 0
	.end_amdhsa_kernel
	.section	.text._ZN7rocprim17ROCPRIM_400000_NS6detail17trampoline_kernelINS0_14default_configENS1_27lower_bound_config_selectorIfiEEZNS1_14transform_implILb0ES3_S5_N6thrust23THRUST_200600_302600_NS6detail15normal_iteratorINS8_10device_ptrIfEEEENSA_INSB_IiEEEEZNS1_13binary_searchIS3_S5_SD_SD_SF_NS1_21lower_bound_search_opENS9_16wrapped_functionINS0_4lessIvEEbEEEE10hipError_tPvRmT1_T2_T3_mmT4_T5_P12ihipStream_tbEUlRKfE_EESM_SQ_SR_mSS_SV_bEUlT_E_NS1_11comp_targetILNS1_3genE0ELNS1_11target_archE4294967295ELNS1_3gpuE0ELNS1_3repE0EEENS1_30default_config_static_selectorELNS0_4arch9wavefront6targetE1EEEvSP_,"axG",@progbits,_ZN7rocprim17ROCPRIM_400000_NS6detail17trampoline_kernelINS0_14default_configENS1_27lower_bound_config_selectorIfiEEZNS1_14transform_implILb0ES3_S5_N6thrust23THRUST_200600_302600_NS6detail15normal_iteratorINS8_10device_ptrIfEEEENSA_INSB_IiEEEEZNS1_13binary_searchIS3_S5_SD_SD_SF_NS1_21lower_bound_search_opENS9_16wrapped_functionINS0_4lessIvEEbEEEE10hipError_tPvRmT1_T2_T3_mmT4_T5_P12ihipStream_tbEUlRKfE_EESM_SQ_SR_mSS_SV_bEUlT_E_NS1_11comp_targetILNS1_3genE0ELNS1_11target_archE4294967295ELNS1_3gpuE0ELNS1_3repE0EEENS1_30default_config_static_selectorELNS0_4arch9wavefront6targetE1EEEvSP_,comdat
.Lfunc_end261:
	.size	_ZN7rocprim17ROCPRIM_400000_NS6detail17trampoline_kernelINS0_14default_configENS1_27lower_bound_config_selectorIfiEEZNS1_14transform_implILb0ES3_S5_N6thrust23THRUST_200600_302600_NS6detail15normal_iteratorINS8_10device_ptrIfEEEENSA_INSB_IiEEEEZNS1_13binary_searchIS3_S5_SD_SD_SF_NS1_21lower_bound_search_opENS9_16wrapped_functionINS0_4lessIvEEbEEEE10hipError_tPvRmT1_T2_T3_mmT4_T5_P12ihipStream_tbEUlRKfE_EESM_SQ_SR_mSS_SV_bEUlT_E_NS1_11comp_targetILNS1_3genE0ELNS1_11target_archE4294967295ELNS1_3gpuE0ELNS1_3repE0EEENS1_30default_config_static_selectorELNS0_4arch9wavefront6targetE1EEEvSP_, .Lfunc_end261-_ZN7rocprim17ROCPRIM_400000_NS6detail17trampoline_kernelINS0_14default_configENS1_27lower_bound_config_selectorIfiEEZNS1_14transform_implILb0ES3_S5_N6thrust23THRUST_200600_302600_NS6detail15normal_iteratorINS8_10device_ptrIfEEEENSA_INSB_IiEEEEZNS1_13binary_searchIS3_S5_SD_SD_SF_NS1_21lower_bound_search_opENS9_16wrapped_functionINS0_4lessIvEEbEEEE10hipError_tPvRmT1_T2_T3_mmT4_T5_P12ihipStream_tbEUlRKfE_EESM_SQ_SR_mSS_SV_bEUlT_E_NS1_11comp_targetILNS1_3genE0ELNS1_11target_archE4294967295ELNS1_3gpuE0ELNS1_3repE0EEENS1_30default_config_static_selectorELNS0_4arch9wavefront6targetE1EEEvSP_
                                        ; -- End function
	.section	.AMDGPU.csdata,"",@progbits
; Kernel info:
; codeLenInByte = 0
; NumSgprs: 4
; NumVgprs: 0
; NumAgprs: 0
; TotalNumVgprs: 0
; ScratchSize: 0
; MemoryBound: 0
; FloatMode: 240
; IeeeMode: 1
; LDSByteSize: 0 bytes/workgroup (compile time only)
; SGPRBlocks: 0
; VGPRBlocks: 0
; NumSGPRsForWavesPerEU: 4
; NumVGPRsForWavesPerEU: 1
; AccumOffset: 4
; Occupancy: 8
; WaveLimiterHint : 0
; COMPUTE_PGM_RSRC2:SCRATCH_EN: 0
; COMPUTE_PGM_RSRC2:USER_SGPR: 6
; COMPUTE_PGM_RSRC2:TRAP_HANDLER: 0
; COMPUTE_PGM_RSRC2:TGID_X_EN: 1
; COMPUTE_PGM_RSRC2:TGID_Y_EN: 0
; COMPUTE_PGM_RSRC2:TGID_Z_EN: 0
; COMPUTE_PGM_RSRC2:TIDIG_COMP_CNT: 0
; COMPUTE_PGM_RSRC3_GFX90A:ACCUM_OFFSET: 0
; COMPUTE_PGM_RSRC3_GFX90A:TG_SPLIT: 0
	.section	.text._ZN7rocprim17ROCPRIM_400000_NS6detail17trampoline_kernelINS0_14default_configENS1_27lower_bound_config_selectorIfiEEZNS1_14transform_implILb0ES3_S5_N6thrust23THRUST_200600_302600_NS6detail15normal_iteratorINS8_10device_ptrIfEEEENSA_INSB_IiEEEEZNS1_13binary_searchIS3_S5_SD_SD_SF_NS1_21lower_bound_search_opENS9_16wrapped_functionINS0_4lessIvEEbEEEE10hipError_tPvRmT1_T2_T3_mmT4_T5_P12ihipStream_tbEUlRKfE_EESM_SQ_SR_mSS_SV_bEUlT_E_NS1_11comp_targetILNS1_3genE5ELNS1_11target_archE942ELNS1_3gpuE9ELNS1_3repE0EEENS1_30default_config_static_selectorELNS0_4arch9wavefront6targetE1EEEvSP_,"axG",@progbits,_ZN7rocprim17ROCPRIM_400000_NS6detail17trampoline_kernelINS0_14default_configENS1_27lower_bound_config_selectorIfiEEZNS1_14transform_implILb0ES3_S5_N6thrust23THRUST_200600_302600_NS6detail15normal_iteratorINS8_10device_ptrIfEEEENSA_INSB_IiEEEEZNS1_13binary_searchIS3_S5_SD_SD_SF_NS1_21lower_bound_search_opENS9_16wrapped_functionINS0_4lessIvEEbEEEE10hipError_tPvRmT1_T2_T3_mmT4_T5_P12ihipStream_tbEUlRKfE_EESM_SQ_SR_mSS_SV_bEUlT_E_NS1_11comp_targetILNS1_3genE5ELNS1_11target_archE942ELNS1_3gpuE9ELNS1_3repE0EEENS1_30default_config_static_selectorELNS0_4arch9wavefront6targetE1EEEvSP_,comdat
	.protected	_ZN7rocprim17ROCPRIM_400000_NS6detail17trampoline_kernelINS0_14default_configENS1_27lower_bound_config_selectorIfiEEZNS1_14transform_implILb0ES3_S5_N6thrust23THRUST_200600_302600_NS6detail15normal_iteratorINS8_10device_ptrIfEEEENSA_INSB_IiEEEEZNS1_13binary_searchIS3_S5_SD_SD_SF_NS1_21lower_bound_search_opENS9_16wrapped_functionINS0_4lessIvEEbEEEE10hipError_tPvRmT1_T2_T3_mmT4_T5_P12ihipStream_tbEUlRKfE_EESM_SQ_SR_mSS_SV_bEUlT_E_NS1_11comp_targetILNS1_3genE5ELNS1_11target_archE942ELNS1_3gpuE9ELNS1_3repE0EEENS1_30default_config_static_selectorELNS0_4arch9wavefront6targetE1EEEvSP_ ; -- Begin function _ZN7rocprim17ROCPRIM_400000_NS6detail17trampoline_kernelINS0_14default_configENS1_27lower_bound_config_selectorIfiEEZNS1_14transform_implILb0ES3_S5_N6thrust23THRUST_200600_302600_NS6detail15normal_iteratorINS8_10device_ptrIfEEEENSA_INSB_IiEEEEZNS1_13binary_searchIS3_S5_SD_SD_SF_NS1_21lower_bound_search_opENS9_16wrapped_functionINS0_4lessIvEEbEEEE10hipError_tPvRmT1_T2_T3_mmT4_T5_P12ihipStream_tbEUlRKfE_EESM_SQ_SR_mSS_SV_bEUlT_E_NS1_11comp_targetILNS1_3genE5ELNS1_11target_archE942ELNS1_3gpuE9ELNS1_3repE0EEENS1_30default_config_static_selectorELNS0_4arch9wavefront6targetE1EEEvSP_
	.globl	_ZN7rocprim17ROCPRIM_400000_NS6detail17trampoline_kernelINS0_14default_configENS1_27lower_bound_config_selectorIfiEEZNS1_14transform_implILb0ES3_S5_N6thrust23THRUST_200600_302600_NS6detail15normal_iteratorINS8_10device_ptrIfEEEENSA_INSB_IiEEEEZNS1_13binary_searchIS3_S5_SD_SD_SF_NS1_21lower_bound_search_opENS9_16wrapped_functionINS0_4lessIvEEbEEEE10hipError_tPvRmT1_T2_T3_mmT4_T5_P12ihipStream_tbEUlRKfE_EESM_SQ_SR_mSS_SV_bEUlT_E_NS1_11comp_targetILNS1_3genE5ELNS1_11target_archE942ELNS1_3gpuE9ELNS1_3repE0EEENS1_30default_config_static_selectorELNS0_4arch9wavefront6targetE1EEEvSP_
	.p2align	8
	.type	_ZN7rocprim17ROCPRIM_400000_NS6detail17trampoline_kernelINS0_14default_configENS1_27lower_bound_config_selectorIfiEEZNS1_14transform_implILb0ES3_S5_N6thrust23THRUST_200600_302600_NS6detail15normal_iteratorINS8_10device_ptrIfEEEENSA_INSB_IiEEEEZNS1_13binary_searchIS3_S5_SD_SD_SF_NS1_21lower_bound_search_opENS9_16wrapped_functionINS0_4lessIvEEbEEEE10hipError_tPvRmT1_T2_T3_mmT4_T5_P12ihipStream_tbEUlRKfE_EESM_SQ_SR_mSS_SV_bEUlT_E_NS1_11comp_targetILNS1_3genE5ELNS1_11target_archE942ELNS1_3gpuE9ELNS1_3repE0EEENS1_30default_config_static_selectorELNS0_4arch9wavefront6targetE1EEEvSP_,@function
_ZN7rocprim17ROCPRIM_400000_NS6detail17trampoline_kernelINS0_14default_configENS1_27lower_bound_config_selectorIfiEEZNS1_14transform_implILb0ES3_S5_N6thrust23THRUST_200600_302600_NS6detail15normal_iteratorINS8_10device_ptrIfEEEENSA_INSB_IiEEEEZNS1_13binary_searchIS3_S5_SD_SD_SF_NS1_21lower_bound_search_opENS9_16wrapped_functionINS0_4lessIvEEbEEEE10hipError_tPvRmT1_T2_T3_mmT4_T5_P12ihipStream_tbEUlRKfE_EESM_SQ_SR_mSS_SV_bEUlT_E_NS1_11comp_targetILNS1_3genE5ELNS1_11target_archE942ELNS1_3gpuE9ELNS1_3repE0EEENS1_30default_config_static_selectorELNS0_4arch9wavefront6targetE1EEEvSP_: ; @_ZN7rocprim17ROCPRIM_400000_NS6detail17trampoline_kernelINS0_14default_configENS1_27lower_bound_config_selectorIfiEEZNS1_14transform_implILb0ES3_S5_N6thrust23THRUST_200600_302600_NS6detail15normal_iteratorINS8_10device_ptrIfEEEENSA_INSB_IiEEEEZNS1_13binary_searchIS3_S5_SD_SD_SF_NS1_21lower_bound_search_opENS9_16wrapped_functionINS0_4lessIvEEbEEEE10hipError_tPvRmT1_T2_T3_mmT4_T5_P12ihipStream_tbEUlRKfE_EESM_SQ_SR_mSS_SV_bEUlT_E_NS1_11comp_targetILNS1_3genE5ELNS1_11target_archE942ELNS1_3gpuE9ELNS1_3repE0EEENS1_30default_config_static_selectorELNS0_4arch9wavefront6targetE1EEEvSP_
; %bb.0:
	.section	.rodata,"a",@progbits
	.p2align	6, 0x0
	.amdhsa_kernel _ZN7rocprim17ROCPRIM_400000_NS6detail17trampoline_kernelINS0_14default_configENS1_27lower_bound_config_selectorIfiEEZNS1_14transform_implILb0ES3_S5_N6thrust23THRUST_200600_302600_NS6detail15normal_iteratorINS8_10device_ptrIfEEEENSA_INSB_IiEEEEZNS1_13binary_searchIS3_S5_SD_SD_SF_NS1_21lower_bound_search_opENS9_16wrapped_functionINS0_4lessIvEEbEEEE10hipError_tPvRmT1_T2_T3_mmT4_T5_P12ihipStream_tbEUlRKfE_EESM_SQ_SR_mSS_SV_bEUlT_E_NS1_11comp_targetILNS1_3genE5ELNS1_11target_archE942ELNS1_3gpuE9ELNS1_3repE0EEENS1_30default_config_static_selectorELNS0_4arch9wavefront6targetE1EEEvSP_
		.amdhsa_group_segment_fixed_size 0
		.amdhsa_private_segment_fixed_size 0
		.amdhsa_kernarg_size 56
		.amdhsa_user_sgpr_count 6
		.amdhsa_user_sgpr_private_segment_buffer 1
		.amdhsa_user_sgpr_dispatch_ptr 0
		.amdhsa_user_sgpr_queue_ptr 0
		.amdhsa_user_sgpr_kernarg_segment_ptr 1
		.amdhsa_user_sgpr_dispatch_id 0
		.amdhsa_user_sgpr_flat_scratch_init 0
		.amdhsa_user_sgpr_kernarg_preload_length 0
		.amdhsa_user_sgpr_kernarg_preload_offset 0
		.amdhsa_user_sgpr_private_segment_size 0
		.amdhsa_uses_dynamic_stack 0
		.amdhsa_system_sgpr_private_segment_wavefront_offset 0
		.amdhsa_system_sgpr_workgroup_id_x 1
		.amdhsa_system_sgpr_workgroup_id_y 0
		.amdhsa_system_sgpr_workgroup_id_z 0
		.amdhsa_system_sgpr_workgroup_info 0
		.amdhsa_system_vgpr_workitem_id 0
		.amdhsa_next_free_vgpr 1
		.amdhsa_next_free_sgpr 0
		.amdhsa_accum_offset 4
		.amdhsa_reserve_vcc 0
		.amdhsa_reserve_flat_scratch 0
		.amdhsa_float_round_mode_32 0
		.amdhsa_float_round_mode_16_64 0
		.amdhsa_float_denorm_mode_32 3
		.amdhsa_float_denorm_mode_16_64 3
		.amdhsa_dx10_clamp 1
		.amdhsa_ieee_mode 1
		.amdhsa_fp16_overflow 0
		.amdhsa_tg_split 0
		.amdhsa_exception_fp_ieee_invalid_op 0
		.amdhsa_exception_fp_denorm_src 0
		.amdhsa_exception_fp_ieee_div_zero 0
		.amdhsa_exception_fp_ieee_overflow 0
		.amdhsa_exception_fp_ieee_underflow 0
		.amdhsa_exception_fp_ieee_inexact 0
		.amdhsa_exception_int_div_zero 0
	.end_amdhsa_kernel
	.section	.text._ZN7rocprim17ROCPRIM_400000_NS6detail17trampoline_kernelINS0_14default_configENS1_27lower_bound_config_selectorIfiEEZNS1_14transform_implILb0ES3_S5_N6thrust23THRUST_200600_302600_NS6detail15normal_iteratorINS8_10device_ptrIfEEEENSA_INSB_IiEEEEZNS1_13binary_searchIS3_S5_SD_SD_SF_NS1_21lower_bound_search_opENS9_16wrapped_functionINS0_4lessIvEEbEEEE10hipError_tPvRmT1_T2_T3_mmT4_T5_P12ihipStream_tbEUlRKfE_EESM_SQ_SR_mSS_SV_bEUlT_E_NS1_11comp_targetILNS1_3genE5ELNS1_11target_archE942ELNS1_3gpuE9ELNS1_3repE0EEENS1_30default_config_static_selectorELNS0_4arch9wavefront6targetE1EEEvSP_,"axG",@progbits,_ZN7rocprim17ROCPRIM_400000_NS6detail17trampoline_kernelINS0_14default_configENS1_27lower_bound_config_selectorIfiEEZNS1_14transform_implILb0ES3_S5_N6thrust23THRUST_200600_302600_NS6detail15normal_iteratorINS8_10device_ptrIfEEEENSA_INSB_IiEEEEZNS1_13binary_searchIS3_S5_SD_SD_SF_NS1_21lower_bound_search_opENS9_16wrapped_functionINS0_4lessIvEEbEEEE10hipError_tPvRmT1_T2_T3_mmT4_T5_P12ihipStream_tbEUlRKfE_EESM_SQ_SR_mSS_SV_bEUlT_E_NS1_11comp_targetILNS1_3genE5ELNS1_11target_archE942ELNS1_3gpuE9ELNS1_3repE0EEENS1_30default_config_static_selectorELNS0_4arch9wavefront6targetE1EEEvSP_,comdat
.Lfunc_end262:
	.size	_ZN7rocprim17ROCPRIM_400000_NS6detail17trampoline_kernelINS0_14default_configENS1_27lower_bound_config_selectorIfiEEZNS1_14transform_implILb0ES3_S5_N6thrust23THRUST_200600_302600_NS6detail15normal_iteratorINS8_10device_ptrIfEEEENSA_INSB_IiEEEEZNS1_13binary_searchIS3_S5_SD_SD_SF_NS1_21lower_bound_search_opENS9_16wrapped_functionINS0_4lessIvEEbEEEE10hipError_tPvRmT1_T2_T3_mmT4_T5_P12ihipStream_tbEUlRKfE_EESM_SQ_SR_mSS_SV_bEUlT_E_NS1_11comp_targetILNS1_3genE5ELNS1_11target_archE942ELNS1_3gpuE9ELNS1_3repE0EEENS1_30default_config_static_selectorELNS0_4arch9wavefront6targetE1EEEvSP_, .Lfunc_end262-_ZN7rocprim17ROCPRIM_400000_NS6detail17trampoline_kernelINS0_14default_configENS1_27lower_bound_config_selectorIfiEEZNS1_14transform_implILb0ES3_S5_N6thrust23THRUST_200600_302600_NS6detail15normal_iteratorINS8_10device_ptrIfEEEENSA_INSB_IiEEEEZNS1_13binary_searchIS3_S5_SD_SD_SF_NS1_21lower_bound_search_opENS9_16wrapped_functionINS0_4lessIvEEbEEEE10hipError_tPvRmT1_T2_T3_mmT4_T5_P12ihipStream_tbEUlRKfE_EESM_SQ_SR_mSS_SV_bEUlT_E_NS1_11comp_targetILNS1_3genE5ELNS1_11target_archE942ELNS1_3gpuE9ELNS1_3repE0EEENS1_30default_config_static_selectorELNS0_4arch9wavefront6targetE1EEEvSP_
                                        ; -- End function
	.section	.AMDGPU.csdata,"",@progbits
; Kernel info:
; codeLenInByte = 0
; NumSgprs: 4
; NumVgprs: 0
; NumAgprs: 0
; TotalNumVgprs: 0
; ScratchSize: 0
; MemoryBound: 0
; FloatMode: 240
; IeeeMode: 1
; LDSByteSize: 0 bytes/workgroup (compile time only)
; SGPRBlocks: 0
; VGPRBlocks: 0
; NumSGPRsForWavesPerEU: 4
; NumVGPRsForWavesPerEU: 1
; AccumOffset: 4
; Occupancy: 8
; WaveLimiterHint : 0
; COMPUTE_PGM_RSRC2:SCRATCH_EN: 0
; COMPUTE_PGM_RSRC2:USER_SGPR: 6
; COMPUTE_PGM_RSRC2:TRAP_HANDLER: 0
; COMPUTE_PGM_RSRC2:TGID_X_EN: 1
; COMPUTE_PGM_RSRC2:TGID_Y_EN: 0
; COMPUTE_PGM_RSRC2:TGID_Z_EN: 0
; COMPUTE_PGM_RSRC2:TIDIG_COMP_CNT: 0
; COMPUTE_PGM_RSRC3_GFX90A:ACCUM_OFFSET: 0
; COMPUTE_PGM_RSRC3_GFX90A:TG_SPLIT: 0
	.section	.text._ZN7rocprim17ROCPRIM_400000_NS6detail17trampoline_kernelINS0_14default_configENS1_27lower_bound_config_selectorIfiEEZNS1_14transform_implILb0ES3_S5_N6thrust23THRUST_200600_302600_NS6detail15normal_iteratorINS8_10device_ptrIfEEEENSA_INSB_IiEEEEZNS1_13binary_searchIS3_S5_SD_SD_SF_NS1_21lower_bound_search_opENS9_16wrapped_functionINS0_4lessIvEEbEEEE10hipError_tPvRmT1_T2_T3_mmT4_T5_P12ihipStream_tbEUlRKfE_EESM_SQ_SR_mSS_SV_bEUlT_E_NS1_11comp_targetILNS1_3genE4ELNS1_11target_archE910ELNS1_3gpuE8ELNS1_3repE0EEENS1_30default_config_static_selectorELNS0_4arch9wavefront6targetE1EEEvSP_,"axG",@progbits,_ZN7rocprim17ROCPRIM_400000_NS6detail17trampoline_kernelINS0_14default_configENS1_27lower_bound_config_selectorIfiEEZNS1_14transform_implILb0ES3_S5_N6thrust23THRUST_200600_302600_NS6detail15normal_iteratorINS8_10device_ptrIfEEEENSA_INSB_IiEEEEZNS1_13binary_searchIS3_S5_SD_SD_SF_NS1_21lower_bound_search_opENS9_16wrapped_functionINS0_4lessIvEEbEEEE10hipError_tPvRmT1_T2_T3_mmT4_T5_P12ihipStream_tbEUlRKfE_EESM_SQ_SR_mSS_SV_bEUlT_E_NS1_11comp_targetILNS1_3genE4ELNS1_11target_archE910ELNS1_3gpuE8ELNS1_3repE0EEENS1_30default_config_static_selectorELNS0_4arch9wavefront6targetE1EEEvSP_,comdat
	.protected	_ZN7rocprim17ROCPRIM_400000_NS6detail17trampoline_kernelINS0_14default_configENS1_27lower_bound_config_selectorIfiEEZNS1_14transform_implILb0ES3_S5_N6thrust23THRUST_200600_302600_NS6detail15normal_iteratorINS8_10device_ptrIfEEEENSA_INSB_IiEEEEZNS1_13binary_searchIS3_S5_SD_SD_SF_NS1_21lower_bound_search_opENS9_16wrapped_functionINS0_4lessIvEEbEEEE10hipError_tPvRmT1_T2_T3_mmT4_T5_P12ihipStream_tbEUlRKfE_EESM_SQ_SR_mSS_SV_bEUlT_E_NS1_11comp_targetILNS1_3genE4ELNS1_11target_archE910ELNS1_3gpuE8ELNS1_3repE0EEENS1_30default_config_static_selectorELNS0_4arch9wavefront6targetE1EEEvSP_ ; -- Begin function _ZN7rocprim17ROCPRIM_400000_NS6detail17trampoline_kernelINS0_14default_configENS1_27lower_bound_config_selectorIfiEEZNS1_14transform_implILb0ES3_S5_N6thrust23THRUST_200600_302600_NS6detail15normal_iteratorINS8_10device_ptrIfEEEENSA_INSB_IiEEEEZNS1_13binary_searchIS3_S5_SD_SD_SF_NS1_21lower_bound_search_opENS9_16wrapped_functionINS0_4lessIvEEbEEEE10hipError_tPvRmT1_T2_T3_mmT4_T5_P12ihipStream_tbEUlRKfE_EESM_SQ_SR_mSS_SV_bEUlT_E_NS1_11comp_targetILNS1_3genE4ELNS1_11target_archE910ELNS1_3gpuE8ELNS1_3repE0EEENS1_30default_config_static_selectorELNS0_4arch9wavefront6targetE1EEEvSP_
	.globl	_ZN7rocprim17ROCPRIM_400000_NS6detail17trampoline_kernelINS0_14default_configENS1_27lower_bound_config_selectorIfiEEZNS1_14transform_implILb0ES3_S5_N6thrust23THRUST_200600_302600_NS6detail15normal_iteratorINS8_10device_ptrIfEEEENSA_INSB_IiEEEEZNS1_13binary_searchIS3_S5_SD_SD_SF_NS1_21lower_bound_search_opENS9_16wrapped_functionINS0_4lessIvEEbEEEE10hipError_tPvRmT1_T2_T3_mmT4_T5_P12ihipStream_tbEUlRKfE_EESM_SQ_SR_mSS_SV_bEUlT_E_NS1_11comp_targetILNS1_3genE4ELNS1_11target_archE910ELNS1_3gpuE8ELNS1_3repE0EEENS1_30default_config_static_selectorELNS0_4arch9wavefront6targetE1EEEvSP_
	.p2align	8
	.type	_ZN7rocprim17ROCPRIM_400000_NS6detail17trampoline_kernelINS0_14default_configENS1_27lower_bound_config_selectorIfiEEZNS1_14transform_implILb0ES3_S5_N6thrust23THRUST_200600_302600_NS6detail15normal_iteratorINS8_10device_ptrIfEEEENSA_INSB_IiEEEEZNS1_13binary_searchIS3_S5_SD_SD_SF_NS1_21lower_bound_search_opENS9_16wrapped_functionINS0_4lessIvEEbEEEE10hipError_tPvRmT1_T2_T3_mmT4_T5_P12ihipStream_tbEUlRKfE_EESM_SQ_SR_mSS_SV_bEUlT_E_NS1_11comp_targetILNS1_3genE4ELNS1_11target_archE910ELNS1_3gpuE8ELNS1_3repE0EEENS1_30default_config_static_selectorELNS0_4arch9wavefront6targetE1EEEvSP_,@function
_ZN7rocprim17ROCPRIM_400000_NS6detail17trampoline_kernelINS0_14default_configENS1_27lower_bound_config_selectorIfiEEZNS1_14transform_implILb0ES3_S5_N6thrust23THRUST_200600_302600_NS6detail15normal_iteratorINS8_10device_ptrIfEEEENSA_INSB_IiEEEEZNS1_13binary_searchIS3_S5_SD_SD_SF_NS1_21lower_bound_search_opENS9_16wrapped_functionINS0_4lessIvEEbEEEE10hipError_tPvRmT1_T2_T3_mmT4_T5_P12ihipStream_tbEUlRKfE_EESM_SQ_SR_mSS_SV_bEUlT_E_NS1_11comp_targetILNS1_3genE4ELNS1_11target_archE910ELNS1_3gpuE8ELNS1_3repE0EEENS1_30default_config_static_selectorELNS0_4arch9wavefront6targetE1EEEvSP_: ; @_ZN7rocprim17ROCPRIM_400000_NS6detail17trampoline_kernelINS0_14default_configENS1_27lower_bound_config_selectorIfiEEZNS1_14transform_implILb0ES3_S5_N6thrust23THRUST_200600_302600_NS6detail15normal_iteratorINS8_10device_ptrIfEEEENSA_INSB_IiEEEEZNS1_13binary_searchIS3_S5_SD_SD_SF_NS1_21lower_bound_search_opENS9_16wrapped_functionINS0_4lessIvEEbEEEE10hipError_tPvRmT1_T2_T3_mmT4_T5_P12ihipStream_tbEUlRKfE_EESM_SQ_SR_mSS_SV_bEUlT_E_NS1_11comp_targetILNS1_3genE4ELNS1_11target_archE910ELNS1_3gpuE8ELNS1_3repE0EEENS1_30default_config_static_selectorELNS0_4arch9wavefront6targetE1EEEvSP_
; %bb.0:
	s_load_dwordx4 s[12:15], s[4:5], 0x0
	s_load_dwordx4 s[0:3], s[4:5], 0x18
	s_load_dwordx2 s[10:11], s[4:5], 0x28
	s_load_dword s16, s[4:5], 0x38
	s_waitcnt lgkmcnt(0)
	s_lshl_b64 s[8:9], s[14:15], 2
	s_add_u32 s7, s12, s8
	s_addc_u32 s14, s13, s9
	s_add_u32 s12, s0, s8
	s_addc_u32 s13, s1, s9
	s_lshl_b32 s8, s6, 8
	s_add_i32 s16, s16, -1
	s_mov_b32 s9, 0
	s_cmp_lg_u32 s6, s16
	s_mov_b64 s[0:1], -1
	s_cbranch_scc0 .LBB263_6
; %bb.1:
	v_mov_b32_e32 v2, 0
	s_cmp_eq_u64 s[10:11], 0
	s_mov_b64 s[0:1], 0
	s_cbranch_scc1 .LBB263_5
; %bb.2:
	s_lshl_b64 s[16:17], s[8:9], 2
	s_add_u32 s6, s7, s16
	s_addc_u32 s15, s14, s17
	v_lshlrev_b32_e32 v1, 2, v0
	v_mov_b32_e32 v3, s15
	v_add_co_u32_e32 v2, vcc, s6, v1
	v_addc_co_u32_e32 v3, vcc, 0, v3, vcc
	flat_load_dword v1, v[2:3]
	v_pk_mov_b32 v[2:3], 0, 0
	v_pk_mov_b32 v[4:5], s[10:11], s[10:11] op_sel:[0,1]
	v_mov_b32_e32 v6, s3
.LBB263_3:                              ; =>This Inner Loop Header: Depth=1
	v_sub_co_u32_e32 v8, vcc, v4, v2
	v_subb_co_u32_e32 v9, vcc, v5, v3, vcc
	v_lshrrev_b64 v[10:11], 1, v[8:9]
	v_add_co_u32_e32 v7, vcc, v10, v2
	v_lshrrev_b64 v[8:9], 6, v[8:9]
	v_addc_co_u32_e32 v10, vcc, v11, v3, vcc
	v_add_co_u32_e32 v8, vcc, v7, v8
	v_addc_co_u32_e32 v9, vcc, v10, v9, vcc
	v_lshlrev_b64 v[10:11], 2, v[8:9]
	v_add_co_u32_e32 v10, vcc, s2, v10
	v_addc_co_u32_e32 v11, vcc, v6, v11, vcc
	global_load_dword v7, v[10:11], off
	v_add_co_u32_e32 v10, vcc, 1, v8
	v_addc_co_u32_e32 v11, vcc, 0, v9, vcc
	s_waitcnt vmcnt(0) lgkmcnt(0)
	v_cmp_lt_f32_e32 vcc, v7, v1
	v_cndmask_b32_e32 v5, v9, v5, vcc
	v_cndmask_b32_e32 v4, v8, v4, vcc
	;; [unrolled: 1-line block ×4, first 2 shown]
	v_cmp_ge_u64_e32 vcc, v[2:3], v[4:5]
	s_or_b64 s[0:1], vcc, s[0:1]
	s_andn2_b64 exec, exec, s[0:1]
	s_cbranch_execnz .LBB263_3
; %bb.4:
	s_or_b64 exec, exec, s[0:1]
.LBB263_5:
	s_lshl_b64 s[0:1], s[8:9], 2
	s_add_u32 s0, s12, s0
	s_addc_u32 s1, s13, s1
	v_lshlrev_b32_e32 v1, 2, v0
	v_mov_b32_e32 v3, s1
	v_add_co_u32_e32 v4, vcc, s0, v1
	v_addc_co_u32_e32 v5, vcc, 0, v3, vcc
	s_mov_b64 s[0:1], 0
	flat_store_dword v[4:5], v2
.LBB263_6:
	s_and_b64 vcc, exec, s[0:1]
	s_cbranch_vccz .LBB263_11
; %bb.7:
	s_load_dword s0, s[4:5], 0x10
                                        ; implicit-def: $vgpr1
	s_waitcnt lgkmcnt(0)
	s_sub_i32 s0, s0, s8
	v_cmp_gt_u32_e32 vcc, s0, v0
	s_and_saveexec_b64 s[4:5], vcc
	s_cbranch_execnz .LBB263_12
; %bb.8:
	s_or_b64 exec, exec, s[4:5]
                                        ; implicit-def: $vgpr2
	s_and_saveexec_b64 s[4:5], vcc
	s_cbranch_execnz .LBB263_13
.LBB263_9:
	s_or_b64 exec, exec, s[4:5]
	s_and_saveexec_b64 s[0:1], vcc
	s_cbranch_execz .LBB263_11
.LBB263_10:
	s_lshl_b64 s[0:1], s[8:9], 2
	s_add_u32 s0, s12, s0
	s_addc_u32 s1, s13, s1
	v_lshlrev_b32_e32 v0, 2, v0
	s_waitcnt vmcnt(0) lgkmcnt(0)
	v_mov_b32_e32 v1, s1
	v_add_co_u32_e32 v0, vcc, s0, v0
	v_addc_co_u32_e32 v1, vcc, 0, v1, vcc
	flat_store_dword v[0:1], v2
.LBB263_11:
	s_endpgm
.LBB263_12:
	s_lshl_b64 s[0:1], s[8:9], 2
	s_add_u32 s0, s7, s0
	s_addc_u32 s1, s14, s1
	v_lshlrev_b32_e32 v1, 2, v0
	v_mov_b32_e32 v3, s1
	v_add_co_u32_e64 v2, s[0:1], s0, v1
	v_addc_co_u32_e64 v3, s[0:1], 0, v3, s[0:1]
	flat_load_dword v1, v[2:3]
	s_or_b64 exec, exec, s[4:5]
                                        ; implicit-def: $vgpr2
	s_and_saveexec_b64 s[4:5], vcc
	s_cbranch_execz .LBB263_9
.LBB263_13:
	s_cmp_eq_u64 s[10:11], 0
	s_mov_b64 s[6:7], 0
	s_cbranch_scc1 .LBB263_17
; %bb.14:
	v_pk_mov_b32 v[2:3], 0, 0
	v_pk_mov_b32 v[4:5], s[10:11], s[10:11] op_sel:[0,1]
	v_mov_b32_e32 v6, s3
.LBB263_15:                             ; =>This Inner Loop Header: Depth=1
	v_sub_co_u32_e64 v8, s[0:1], v4, v2
	v_subb_co_u32_e64 v9, s[0:1], v5, v3, s[0:1]
	v_lshrrev_b64 v[10:11], 1, v[8:9]
	v_add_co_u32_e64 v7, s[0:1], v10, v2
	v_lshrrev_b64 v[8:9], 6, v[8:9]
	v_addc_co_u32_e64 v10, s[0:1], v11, v3, s[0:1]
	v_add_co_u32_e64 v8, s[0:1], v7, v8
	v_addc_co_u32_e64 v9, s[0:1], v10, v9, s[0:1]
	v_lshlrev_b64 v[10:11], 2, v[8:9]
	v_add_co_u32_e64 v10, s[0:1], s2, v10
	v_addc_co_u32_e64 v11, s[0:1], v6, v11, s[0:1]
	global_load_dword v7, v[10:11], off
	v_add_co_u32_e64 v10, s[0:1], 1, v8
	v_addc_co_u32_e64 v11, s[0:1], 0, v9, s[0:1]
	s_waitcnt vmcnt(0) lgkmcnt(0)
	v_cmp_lt_f32_e64 s[0:1], v7, v1
	v_cndmask_b32_e64 v5, v9, v5, s[0:1]
	v_cndmask_b32_e64 v4, v8, v4, s[0:1]
	;; [unrolled: 1-line block ×4, first 2 shown]
	v_cmp_ge_u64_e64 s[0:1], v[2:3], v[4:5]
	s_or_b64 s[6:7], s[0:1], s[6:7]
	s_andn2_b64 exec, exec, s[6:7]
	s_cbranch_execnz .LBB263_15
; %bb.16:
	s_or_b64 exec, exec, s[6:7]
	s_or_b64 exec, exec, s[4:5]
	s_and_saveexec_b64 s[0:1], vcc
	s_cbranch_execnz .LBB263_10
	s_branch .LBB263_11
.LBB263_17:
	v_mov_b32_e32 v2, 0
	s_or_b64 exec, exec, s[4:5]
	s_and_saveexec_b64 s[0:1], vcc
	s_cbranch_execnz .LBB263_10
	s_branch .LBB263_11
	.section	.rodata,"a",@progbits
	.p2align	6, 0x0
	.amdhsa_kernel _ZN7rocprim17ROCPRIM_400000_NS6detail17trampoline_kernelINS0_14default_configENS1_27lower_bound_config_selectorIfiEEZNS1_14transform_implILb0ES3_S5_N6thrust23THRUST_200600_302600_NS6detail15normal_iteratorINS8_10device_ptrIfEEEENSA_INSB_IiEEEEZNS1_13binary_searchIS3_S5_SD_SD_SF_NS1_21lower_bound_search_opENS9_16wrapped_functionINS0_4lessIvEEbEEEE10hipError_tPvRmT1_T2_T3_mmT4_T5_P12ihipStream_tbEUlRKfE_EESM_SQ_SR_mSS_SV_bEUlT_E_NS1_11comp_targetILNS1_3genE4ELNS1_11target_archE910ELNS1_3gpuE8ELNS1_3repE0EEENS1_30default_config_static_selectorELNS0_4arch9wavefront6targetE1EEEvSP_
		.amdhsa_group_segment_fixed_size 0
		.amdhsa_private_segment_fixed_size 0
		.amdhsa_kernarg_size 312
		.amdhsa_user_sgpr_count 6
		.amdhsa_user_sgpr_private_segment_buffer 1
		.amdhsa_user_sgpr_dispatch_ptr 0
		.amdhsa_user_sgpr_queue_ptr 0
		.amdhsa_user_sgpr_kernarg_segment_ptr 1
		.amdhsa_user_sgpr_dispatch_id 0
		.amdhsa_user_sgpr_flat_scratch_init 0
		.amdhsa_user_sgpr_kernarg_preload_length 0
		.amdhsa_user_sgpr_kernarg_preload_offset 0
		.amdhsa_user_sgpr_private_segment_size 0
		.amdhsa_uses_dynamic_stack 0
		.amdhsa_system_sgpr_private_segment_wavefront_offset 0
		.amdhsa_system_sgpr_workgroup_id_x 1
		.amdhsa_system_sgpr_workgroup_id_y 0
		.amdhsa_system_sgpr_workgroup_id_z 0
		.amdhsa_system_sgpr_workgroup_info 0
		.amdhsa_system_vgpr_workitem_id 0
		.amdhsa_next_free_vgpr 12
		.amdhsa_next_free_sgpr 18
		.amdhsa_accum_offset 12
		.amdhsa_reserve_vcc 1
		.amdhsa_reserve_flat_scratch 0
		.amdhsa_float_round_mode_32 0
		.amdhsa_float_round_mode_16_64 0
		.amdhsa_float_denorm_mode_32 3
		.amdhsa_float_denorm_mode_16_64 3
		.amdhsa_dx10_clamp 1
		.amdhsa_ieee_mode 1
		.amdhsa_fp16_overflow 0
		.amdhsa_tg_split 0
		.amdhsa_exception_fp_ieee_invalid_op 0
		.amdhsa_exception_fp_denorm_src 0
		.amdhsa_exception_fp_ieee_div_zero 0
		.amdhsa_exception_fp_ieee_overflow 0
		.amdhsa_exception_fp_ieee_underflow 0
		.amdhsa_exception_fp_ieee_inexact 0
		.amdhsa_exception_int_div_zero 0
	.end_amdhsa_kernel
	.section	.text._ZN7rocprim17ROCPRIM_400000_NS6detail17trampoline_kernelINS0_14default_configENS1_27lower_bound_config_selectorIfiEEZNS1_14transform_implILb0ES3_S5_N6thrust23THRUST_200600_302600_NS6detail15normal_iteratorINS8_10device_ptrIfEEEENSA_INSB_IiEEEEZNS1_13binary_searchIS3_S5_SD_SD_SF_NS1_21lower_bound_search_opENS9_16wrapped_functionINS0_4lessIvEEbEEEE10hipError_tPvRmT1_T2_T3_mmT4_T5_P12ihipStream_tbEUlRKfE_EESM_SQ_SR_mSS_SV_bEUlT_E_NS1_11comp_targetILNS1_3genE4ELNS1_11target_archE910ELNS1_3gpuE8ELNS1_3repE0EEENS1_30default_config_static_selectorELNS0_4arch9wavefront6targetE1EEEvSP_,"axG",@progbits,_ZN7rocprim17ROCPRIM_400000_NS6detail17trampoline_kernelINS0_14default_configENS1_27lower_bound_config_selectorIfiEEZNS1_14transform_implILb0ES3_S5_N6thrust23THRUST_200600_302600_NS6detail15normal_iteratorINS8_10device_ptrIfEEEENSA_INSB_IiEEEEZNS1_13binary_searchIS3_S5_SD_SD_SF_NS1_21lower_bound_search_opENS9_16wrapped_functionINS0_4lessIvEEbEEEE10hipError_tPvRmT1_T2_T3_mmT4_T5_P12ihipStream_tbEUlRKfE_EESM_SQ_SR_mSS_SV_bEUlT_E_NS1_11comp_targetILNS1_3genE4ELNS1_11target_archE910ELNS1_3gpuE8ELNS1_3repE0EEENS1_30default_config_static_selectorELNS0_4arch9wavefront6targetE1EEEvSP_,comdat
.Lfunc_end263:
	.size	_ZN7rocprim17ROCPRIM_400000_NS6detail17trampoline_kernelINS0_14default_configENS1_27lower_bound_config_selectorIfiEEZNS1_14transform_implILb0ES3_S5_N6thrust23THRUST_200600_302600_NS6detail15normal_iteratorINS8_10device_ptrIfEEEENSA_INSB_IiEEEEZNS1_13binary_searchIS3_S5_SD_SD_SF_NS1_21lower_bound_search_opENS9_16wrapped_functionINS0_4lessIvEEbEEEE10hipError_tPvRmT1_T2_T3_mmT4_T5_P12ihipStream_tbEUlRKfE_EESM_SQ_SR_mSS_SV_bEUlT_E_NS1_11comp_targetILNS1_3genE4ELNS1_11target_archE910ELNS1_3gpuE8ELNS1_3repE0EEENS1_30default_config_static_selectorELNS0_4arch9wavefront6targetE1EEEvSP_, .Lfunc_end263-_ZN7rocprim17ROCPRIM_400000_NS6detail17trampoline_kernelINS0_14default_configENS1_27lower_bound_config_selectorIfiEEZNS1_14transform_implILb0ES3_S5_N6thrust23THRUST_200600_302600_NS6detail15normal_iteratorINS8_10device_ptrIfEEEENSA_INSB_IiEEEEZNS1_13binary_searchIS3_S5_SD_SD_SF_NS1_21lower_bound_search_opENS9_16wrapped_functionINS0_4lessIvEEbEEEE10hipError_tPvRmT1_T2_T3_mmT4_T5_P12ihipStream_tbEUlRKfE_EESM_SQ_SR_mSS_SV_bEUlT_E_NS1_11comp_targetILNS1_3genE4ELNS1_11target_archE910ELNS1_3gpuE8ELNS1_3repE0EEENS1_30default_config_static_selectorELNS0_4arch9wavefront6targetE1EEEvSP_
                                        ; -- End function
	.section	.AMDGPU.csdata,"",@progbits
; Kernel info:
; codeLenInByte = 716
; NumSgprs: 22
; NumVgprs: 12
; NumAgprs: 0
; TotalNumVgprs: 12
; ScratchSize: 0
; MemoryBound: 0
; FloatMode: 240
; IeeeMode: 1
; LDSByteSize: 0 bytes/workgroup (compile time only)
; SGPRBlocks: 2
; VGPRBlocks: 1
; NumSGPRsForWavesPerEU: 22
; NumVGPRsForWavesPerEU: 12
; AccumOffset: 12
; Occupancy: 8
; WaveLimiterHint : 0
; COMPUTE_PGM_RSRC2:SCRATCH_EN: 0
; COMPUTE_PGM_RSRC2:USER_SGPR: 6
; COMPUTE_PGM_RSRC2:TRAP_HANDLER: 0
; COMPUTE_PGM_RSRC2:TGID_X_EN: 1
; COMPUTE_PGM_RSRC2:TGID_Y_EN: 0
; COMPUTE_PGM_RSRC2:TGID_Z_EN: 0
; COMPUTE_PGM_RSRC2:TIDIG_COMP_CNT: 0
; COMPUTE_PGM_RSRC3_GFX90A:ACCUM_OFFSET: 2
; COMPUTE_PGM_RSRC3_GFX90A:TG_SPLIT: 0
	.section	.text._ZN7rocprim17ROCPRIM_400000_NS6detail17trampoline_kernelINS0_14default_configENS1_27lower_bound_config_selectorIfiEEZNS1_14transform_implILb0ES3_S5_N6thrust23THRUST_200600_302600_NS6detail15normal_iteratorINS8_10device_ptrIfEEEENSA_INSB_IiEEEEZNS1_13binary_searchIS3_S5_SD_SD_SF_NS1_21lower_bound_search_opENS9_16wrapped_functionINS0_4lessIvEEbEEEE10hipError_tPvRmT1_T2_T3_mmT4_T5_P12ihipStream_tbEUlRKfE_EESM_SQ_SR_mSS_SV_bEUlT_E_NS1_11comp_targetILNS1_3genE3ELNS1_11target_archE908ELNS1_3gpuE7ELNS1_3repE0EEENS1_30default_config_static_selectorELNS0_4arch9wavefront6targetE1EEEvSP_,"axG",@progbits,_ZN7rocprim17ROCPRIM_400000_NS6detail17trampoline_kernelINS0_14default_configENS1_27lower_bound_config_selectorIfiEEZNS1_14transform_implILb0ES3_S5_N6thrust23THRUST_200600_302600_NS6detail15normal_iteratorINS8_10device_ptrIfEEEENSA_INSB_IiEEEEZNS1_13binary_searchIS3_S5_SD_SD_SF_NS1_21lower_bound_search_opENS9_16wrapped_functionINS0_4lessIvEEbEEEE10hipError_tPvRmT1_T2_T3_mmT4_T5_P12ihipStream_tbEUlRKfE_EESM_SQ_SR_mSS_SV_bEUlT_E_NS1_11comp_targetILNS1_3genE3ELNS1_11target_archE908ELNS1_3gpuE7ELNS1_3repE0EEENS1_30default_config_static_selectorELNS0_4arch9wavefront6targetE1EEEvSP_,comdat
	.protected	_ZN7rocprim17ROCPRIM_400000_NS6detail17trampoline_kernelINS0_14default_configENS1_27lower_bound_config_selectorIfiEEZNS1_14transform_implILb0ES3_S5_N6thrust23THRUST_200600_302600_NS6detail15normal_iteratorINS8_10device_ptrIfEEEENSA_INSB_IiEEEEZNS1_13binary_searchIS3_S5_SD_SD_SF_NS1_21lower_bound_search_opENS9_16wrapped_functionINS0_4lessIvEEbEEEE10hipError_tPvRmT1_T2_T3_mmT4_T5_P12ihipStream_tbEUlRKfE_EESM_SQ_SR_mSS_SV_bEUlT_E_NS1_11comp_targetILNS1_3genE3ELNS1_11target_archE908ELNS1_3gpuE7ELNS1_3repE0EEENS1_30default_config_static_selectorELNS0_4arch9wavefront6targetE1EEEvSP_ ; -- Begin function _ZN7rocprim17ROCPRIM_400000_NS6detail17trampoline_kernelINS0_14default_configENS1_27lower_bound_config_selectorIfiEEZNS1_14transform_implILb0ES3_S5_N6thrust23THRUST_200600_302600_NS6detail15normal_iteratorINS8_10device_ptrIfEEEENSA_INSB_IiEEEEZNS1_13binary_searchIS3_S5_SD_SD_SF_NS1_21lower_bound_search_opENS9_16wrapped_functionINS0_4lessIvEEbEEEE10hipError_tPvRmT1_T2_T3_mmT4_T5_P12ihipStream_tbEUlRKfE_EESM_SQ_SR_mSS_SV_bEUlT_E_NS1_11comp_targetILNS1_3genE3ELNS1_11target_archE908ELNS1_3gpuE7ELNS1_3repE0EEENS1_30default_config_static_selectorELNS0_4arch9wavefront6targetE1EEEvSP_
	.globl	_ZN7rocprim17ROCPRIM_400000_NS6detail17trampoline_kernelINS0_14default_configENS1_27lower_bound_config_selectorIfiEEZNS1_14transform_implILb0ES3_S5_N6thrust23THRUST_200600_302600_NS6detail15normal_iteratorINS8_10device_ptrIfEEEENSA_INSB_IiEEEEZNS1_13binary_searchIS3_S5_SD_SD_SF_NS1_21lower_bound_search_opENS9_16wrapped_functionINS0_4lessIvEEbEEEE10hipError_tPvRmT1_T2_T3_mmT4_T5_P12ihipStream_tbEUlRKfE_EESM_SQ_SR_mSS_SV_bEUlT_E_NS1_11comp_targetILNS1_3genE3ELNS1_11target_archE908ELNS1_3gpuE7ELNS1_3repE0EEENS1_30default_config_static_selectorELNS0_4arch9wavefront6targetE1EEEvSP_
	.p2align	8
	.type	_ZN7rocprim17ROCPRIM_400000_NS6detail17trampoline_kernelINS0_14default_configENS1_27lower_bound_config_selectorIfiEEZNS1_14transform_implILb0ES3_S5_N6thrust23THRUST_200600_302600_NS6detail15normal_iteratorINS8_10device_ptrIfEEEENSA_INSB_IiEEEEZNS1_13binary_searchIS3_S5_SD_SD_SF_NS1_21lower_bound_search_opENS9_16wrapped_functionINS0_4lessIvEEbEEEE10hipError_tPvRmT1_T2_T3_mmT4_T5_P12ihipStream_tbEUlRKfE_EESM_SQ_SR_mSS_SV_bEUlT_E_NS1_11comp_targetILNS1_3genE3ELNS1_11target_archE908ELNS1_3gpuE7ELNS1_3repE0EEENS1_30default_config_static_selectorELNS0_4arch9wavefront6targetE1EEEvSP_,@function
_ZN7rocprim17ROCPRIM_400000_NS6detail17trampoline_kernelINS0_14default_configENS1_27lower_bound_config_selectorIfiEEZNS1_14transform_implILb0ES3_S5_N6thrust23THRUST_200600_302600_NS6detail15normal_iteratorINS8_10device_ptrIfEEEENSA_INSB_IiEEEEZNS1_13binary_searchIS3_S5_SD_SD_SF_NS1_21lower_bound_search_opENS9_16wrapped_functionINS0_4lessIvEEbEEEE10hipError_tPvRmT1_T2_T3_mmT4_T5_P12ihipStream_tbEUlRKfE_EESM_SQ_SR_mSS_SV_bEUlT_E_NS1_11comp_targetILNS1_3genE3ELNS1_11target_archE908ELNS1_3gpuE7ELNS1_3repE0EEENS1_30default_config_static_selectorELNS0_4arch9wavefront6targetE1EEEvSP_: ; @_ZN7rocprim17ROCPRIM_400000_NS6detail17trampoline_kernelINS0_14default_configENS1_27lower_bound_config_selectorIfiEEZNS1_14transform_implILb0ES3_S5_N6thrust23THRUST_200600_302600_NS6detail15normal_iteratorINS8_10device_ptrIfEEEENSA_INSB_IiEEEEZNS1_13binary_searchIS3_S5_SD_SD_SF_NS1_21lower_bound_search_opENS9_16wrapped_functionINS0_4lessIvEEbEEEE10hipError_tPvRmT1_T2_T3_mmT4_T5_P12ihipStream_tbEUlRKfE_EESM_SQ_SR_mSS_SV_bEUlT_E_NS1_11comp_targetILNS1_3genE3ELNS1_11target_archE908ELNS1_3gpuE7ELNS1_3repE0EEENS1_30default_config_static_selectorELNS0_4arch9wavefront6targetE1EEEvSP_
; %bb.0:
	.section	.rodata,"a",@progbits
	.p2align	6, 0x0
	.amdhsa_kernel _ZN7rocprim17ROCPRIM_400000_NS6detail17trampoline_kernelINS0_14default_configENS1_27lower_bound_config_selectorIfiEEZNS1_14transform_implILb0ES3_S5_N6thrust23THRUST_200600_302600_NS6detail15normal_iteratorINS8_10device_ptrIfEEEENSA_INSB_IiEEEEZNS1_13binary_searchIS3_S5_SD_SD_SF_NS1_21lower_bound_search_opENS9_16wrapped_functionINS0_4lessIvEEbEEEE10hipError_tPvRmT1_T2_T3_mmT4_T5_P12ihipStream_tbEUlRKfE_EESM_SQ_SR_mSS_SV_bEUlT_E_NS1_11comp_targetILNS1_3genE3ELNS1_11target_archE908ELNS1_3gpuE7ELNS1_3repE0EEENS1_30default_config_static_selectorELNS0_4arch9wavefront6targetE1EEEvSP_
		.amdhsa_group_segment_fixed_size 0
		.amdhsa_private_segment_fixed_size 0
		.amdhsa_kernarg_size 56
		.amdhsa_user_sgpr_count 6
		.amdhsa_user_sgpr_private_segment_buffer 1
		.amdhsa_user_sgpr_dispatch_ptr 0
		.amdhsa_user_sgpr_queue_ptr 0
		.amdhsa_user_sgpr_kernarg_segment_ptr 1
		.amdhsa_user_sgpr_dispatch_id 0
		.amdhsa_user_sgpr_flat_scratch_init 0
		.amdhsa_user_sgpr_kernarg_preload_length 0
		.amdhsa_user_sgpr_kernarg_preload_offset 0
		.amdhsa_user_sgpr_private_segment_size 0
		.amdhsa_uses_dynamic_stack 0
		.amdhsa_system_sgpr_private_segment_wavefront_offset 0
		.amdhsa_system_sgpr_workgroup_id_x 1
		.amdhsa_system_sgpr_workgroup_id_y 0
		.amdhsa_system_sgpr_workgroup_id_z 0
		.amdhsa_system_sgpr_workgroup_info 0
		.amdhsa_system_vgpr_workitem_id 0
		.amdhsa_next_free_vgpr 1
		.amdhsa_next_free_sgpr 0
		.amdhsa_accum_offset 4
		.amdhsa_reserve_vcc 0
		.amdhsa_reserve_flat_scratch 0
		.amdhsa_float_round_mode_32 0
		.amdhsa_float_round_mode_16_64 0
		.amdhsa_float_denorm_mode_32 3
		.amdhsa_float_denorm_mode_16_64 3
		.amdhsa_dx10_clamp 1
		.amdhsa_ieee_mode 1
		.amdhsa_fp16_overflow 0
		.amdhsa_tg_split 0
		.amdhsa_exception_fp_ieee_invalid_op 0
		.amdhsa_exception_fp_denorm_src 0
		.amdhsa_exception_fp_ieee_div_zero 0
		.amdhsa_exception_fp_ieee_overflow 0
		.amdhsa_exception_fp_ieee_underflow 0
		.amdhsa_exception_fp_ieee_inexact 0
		.amdhsa_exception_int_div_zero 0
	.end_amdhsa_kernel
	.section	.text._ZN7rocprim17ROCPRIM_400000_NS6detail17trampoline_kernelINS0_14default_configENS1_27lower_bound_config_selectorIfiEEZNS1_14transform_implILb0ES3_S5_N6thrust23THRUST_200600_302600_NS6detail15normal_iteratorINS8_10device_ptrIfEEEENSA_INSB_IiEEEEZNS1_13binary_searchIS3_S5_SD_SD_SF_NS1_21lower_bound_search_opENS9_16wrapped_functionINS0_4lessIvEEbEEEE10hipError_tPvRmT1_T2_T3_mmT4_T5_P12ihipStream_tbEUlRKfE_EESM_SQ_SR_mSS_SV_bEUlT_E_NS1_11comp_targetILNS1_3genE3ELNS1_11target_archE908ELNS1_3gpuE7ELNS1_3repE0EEENS1_30default_config_static_selectorELNS0_4arch9wavefront6targetE1EEEvSP_,"axG",@progbits,_ZN7rocprim17ROCPRIM_400000_NS6detail17trampoline_kernelINS0_14default_configENS1_27lower_bound_config_selectorIfiEEZNS1_14transform_implILb0ES3_S5_N6thrust23THRUST_200600_302600_NS6detail15normal_iteratorINS8_10device_ptrIfEEEENSA_INSB_IiEEEEZNS1_13binary_searchIS3_S5_SD_SD_SF_NS1_21lower_bound_search_opENS9_16wrapped_functionINS0_4lessIvEEbEEEE10hipError_tPvRmT1_T2_T3_mmT4_T5_P12ihipStream_tbEUlRKfE_EESM_SQ_SR_mSS_SV_bEUlT_E_NS1_11comp_targetILNS1_3genE3ELNS1_11target_archE908ELNS1_3gpuE7ELNS1_3repE0EEENS1_30default_config_static_selectorELNS0_4arch9wavefront6targetE1EEEvSP_,comdat
.Lfunc_end264:
	.size	_ZN7rocprim17ROCPRIM_400000_NS6detail17trampoline_kernelINS0_14default_configENS1_27lower_bound_config_selectorIfiEEZNS1_14transform_implILb0ES3_S5_N6thrust23THRUST_200600_302600_NS6detail15normal_iteratorINS8_10device_ptrIfEEEENSA_INSB_IiEEEEZNS1_13binary_searchIS3_S5_SD_SD_SF_NS1_21lower_bound_search_opENS9_16wrapped_functionINS0_4lessIvEEbEEEE10hipError_tPvRmT1_T2_T3_mmT4_T5_P12ihipStream_tbEUlRKfE_EESM_SQ_SR_mSS_SV_bEUlT_E_NS1_11comp_targetILNS1_3genE3ELNS1_11target_archE908ELNS1_3gpuE7ELNS1_3repE0EEENS1_30default_config_static_selectorELNS0_4arch9wavefront6targetE1EEEvSP_, .Lfunc_end264-_ZN7rocprim17ROCPRIM_400000_NS6detail17trampoline_kernelINS0_14default_configENS1_27lower_bound_config_selectorIfiEEZNS1_14transform_implILb0ES3_S5_N6thrust23THRUST_200600_302600_NS6detail15normal_iteratorINS8_10device_ptrIfEEEENSA_INSB_IiEEEEZNS1_13binary_searchIS3_S5_SD_SD_SF_NS1_21lower_bound_search_opENS9_16wrapped_functionINS0_4lessIvEEbEEEE10hipError_tPvRmT1_T2_T3_mmT4_T5_P12ihipStream_tbEUlRKfE_EESM_SQ_SR_mSS_SV_bEUlT_E_NS1_11comp_targetILNS1_3genE3ELNS1_11target_archE908ELNS1_3gpuE7ELNS1_3repE0EEENS1_30default_config_static_selectorELNS0_4arch9wavefront6targetE1EEEvSP_
                                        ; -- End function
	.section	.AMDGPU.csdata,"",@progbits
; Kernel info:
; codeLenInByte = 0
; NumSgprs: 4
; NumVgprs: 0
; NumAgprs: 0
; TotalNumVgprs: 0
; ScratchSize: 0
; MemoryBound: 0
; FloatMode: 240
; IeeeMode: 1
; LDSByteSize: 0 bytes/workgroup (compile time only)
; SGPRBlocks: 0
; VGPRBlocks: 0
; NumSGPRsForWavesPerEU: 4
; NumVGPRsForWavesPerEU: 1
; AccumOffset: 4
; Occupancy: 8
; WaveLimiterHint : 0
; COMPUTE_PGM_RSRC2:SCRATCH_EN: 0
; COMPUTE_PGM_RSRC2:USER_SGPR: 6
; COMPUTE_PGM_RSRC2:TRAP_HANDLER: 0
; COMPUTE_PGM_RSRC2:TGID_X_EN: 1
; COMPUTE_PGM_RSRC2:TGID_Y_EN: 0
; COMPUTE_PGM_RSRC2:TGID_Z_EN: 0
; COMPUTE_PGM_RSRC2:TIDIG_COMP_CNT: 0
; COMPUTE_PGM_RSRC3_GFX90A:ACCUM_OFFSET: 0
; COMPUTE_PGM_RSRC3_GFX90A:TG_SPLIT: 0
	.section	.text._ZN7rocprim17ROCPRIM_400000_NS6detail17trampoline_kernelINS0_14default_configENS1_27lower_bound_config_selectorIfiEEZNS1_14transform_implILb0ES3_S5_N6thrust23THRUST_200600_302600_NS6detail15normal_iteratorINS8_10device_ptrIfEEEENSA_INSB_IiEEEEZNS1_13binary_searchIS3_S5_SD_SD_SF_NS1_21lower_bound_search_opENS9_16wrapped_functionINS0_4lessIvEEbEEEE10hipError_tPvRmT1_T2_T3_mmT4_T5_P12ihipStream_tbEUlRKfE_EESM_SQ_SR_mSS_SV_bEUlT_E_NS1_11comp_targetILNS1_3genE2ELNS1_11target_archE906ELNS1_3gpuE6ELNS1_3repE0EEENS1_30default_config_static_selectorELNS0_4arch9wavefront6targetE1EEEvSP_,"axG",@progbits,_ZN7rocprim17ROCPRIM_400000_NS6detail17trampoline_kernelINS0_14default_configENS1_27lower_bound_config_selectorIfiEEZNS1_14transform_implILb0ES3_S5_N6thrust23THRUST_200600_302600_NS6detail15normal_iteratorINS8_10device_ptrIfEEEENSA_INSB_IiEEEEZNS1_13binary_searchIS3_S5_SD_SD_SF_NS1_21lower_bound_search_opENS9_16wrapped_functionINS0_4lessIvEEbEEEE10hipError_tPvRmT1_T2_T3_mmT4_T5_P12ihipStream_tbEUlRKfE_EESM_SQ_SR_mSS_SV_bEUlT_E_NS1_11comp_targetILNS1_3genE2ELNS1_11target_archE906ELNS1_3gpuE6ELNS1_3repE0EEENS1_30default_config_static_selectorELNS0_4arch9wavefront6targetE1EEEvSP_,comdat
	.protected	_ZN7rocprim17ROCPRIM_400000_NS6detail17trampoline_kernelINS0_14default_configENS1_27lower_bound_config_selectorIfiEEZNS1_14transform_implILb0ES3_S5_N6thrust23THRUST_200600_302600_NS6detail15normal_iteratorINS8_10device_ptrIfEEEENSA_INSB_IiEEEEZNS1_13binary_searchIS3_S5_SD_SD_SF_NS1_21lower_bound_search_opENS9_16wrapped_functionINS0_4lessIvEEbEEEE10hipError_tPvRmT1_T2_T3_mmT4_T5_P12ihipStream_tbEUlRKfE_EESM_SQ_SR_mSS_SV_bEUlT_E_NS1_11comp_targetILNS1_3genE2ELNS1_11target_archE906ELNS1_3gpuE6ELNS1_3repE0EEENS1_30default_config_static_selectorELNS0_4arch9wavefront6targetE1EEEvSP_ ; -- Begin function _ZN7rocprim17ROCPRIM_400000_NS6detail17trampoline_kernelINS0_14default_configENS1_27lower_bound_config_selectorIfiEEZNS1_14transform_implILb0ES3_S5_N6thrust23THRUST_200600_302600_NS6detail15normal_iteratorINS8_10device_ptrIfEEEENSA_INSB_IiEEEEZNS1_13binary_searchIS3_S5_SD_SD_SF_NS1_21lower_bound_search_opENS9_16wrapped_functionINS0_4lessIvEEbEEEE10hipError_tPvRmT1_T2_T3_mmT4_T5_P12ihipStream_tbEUlRKfE_EESM_SQ_SR_mSS_SV_bEUlT_E_NS1_11comp_targetILNS1_3genE2ELNS1_11target_archE906ELNS1_3gpuE6ELNS1_3repE0EEENS1_30default_config_static_selectorELNS0_4arch9wavefront6targetE1EEEvSP_
	.globl	_ZN7rocprim17ROCPRIM_400000_NS6detail17trampoline_kernelINS0_14default_configENS1_27lower_bound_config_selectorIfiEEZNS1_14transform_implILb0ES3_S5_N6thrust23THRUST_200600_302600_NS6detail15normal_iteratorINS8_10device_ptrIfEEEENSA_INSB_IiEEEEZNS1_13binary_searchIS3_S5_SD_SD_SF_NS1_21lower_bound_search_opENS9_16wrapped_functionINS0_4lessIvEEbEEEE10hipError_tPvRmT1_T2_T3_mmT4_T5_P12ihipStream_tbEUlRKfE_EESM_SQ_SR_mSS_SV_bEUlT_E_NS1_11comp_targetILNS1_3genE2ELNS1_11target_archE906ELNS1_3gpuE6ELNS1_3repE0EEENS1_30default_config_static_selectorELNS0_4arch9wavefront6targetE1EEEvSP_
	.p2align	8
	.type	_ZN7rocprim17ROCPRIM_400000_NS6detail17trampoline_kernelINS0_14default_configENS1_27lower_bound_config_selectorIfiEEZNS1_14transform_implILb0ES3_S5_N6thrust23THRUST_200600_302600_NS6detail15normal_iteratorINS8_10device_ptrIfEEEENSA_INSB_IiEEEEZNS1_13binary_searchIS3_S5_SD_SD_SF_NS1_21lower_bound_search_opENS9_16wrapped_functionINS0_4lessIvEEbEEEE10hipError_tPvRmT1_T2_T3_mmT4_T5_P12ihipStream_tbEUlRKfE_EESM_SQ_SR_mSS_SV_bEUlT_E_NS1_11comp_targetILNS1_3genE2ELNS1_11target_archE906ELNS1_3gpuE6ELNS1_3repE0EEENS1_30default_config_static_selectorELNS0_4arch9wavefront6targetE1EEEvSP_,@function
_ZN7rocprim17ROCPRIM_400000_NS6detail17trampoline_kernelINS0_14default_configENS1_27lower_bound_config_selectorIfiEEZNS1_14transform_implILb0ES3_S5_N6thrust23THRUST_200600_302600_NS6detail15normal_iteratorINS8_10device_ptrIfEEEENSA_INSB_IiEEEEZNS1_13binary_searchIS3_S5_SD_SD_SF_NS1_21lower_bound_search_opENS9_16wrapped_functionINS0_4lessIvEEbEEEE10hipError_tPvRmT1_T2_T3_mmT4_T5_P12ihipStream_tbEUlRKfE_EESM_SQ_SR_mSS_SV_bEUlT_E_NS1_11comp_targetILNS1_3genE2ELNS1_11target_archE906ELNS1_3gpuE6ELNS1_3repE0EEENS1_30default_config_static_selectorELNS0_4arch9wavefront6targetE1EEEvSP_: ; @_ZN7rocprim17ROCPRIM_400000_NS6detail17trampoline_kernelINS0_14default_configENS1_27lower_bound_config_selectorIfiEEZNS1_14transform_implILb0ES3_S5_N6thrust23THRUST_200600_302600_NS6detail15normal_iteratorINS8_10device_ptrIfEEEENSA_INSB_IiEEEEZNS1_13binary_searchIS3_S5_SD_SD_SF_NS1_21lower_bound_search_opENS9_16wrapped_functionINS0_4lessIvEEbEEEE10hipError_tPvRmT1_T2_T3_mmT4_T5_P12ihipStream_tbEUlRKfE_EESM_SQ_SR_mSS_SV_bEUlT_E_NS1_11comp_targetILNS1_3genE2ELNS1_11target_archE906ELNS1_3gpuE6ELNS1_3repE0EEENS1_30default_config_static_selectorELNS0_4arch9wavefront6targetE1EEEvSP_
; %bb.0:
	.section	.rodata,"a",@progbits
	.p2align	6, 0x0
	.amdhsa_kernel _ZN7rocprim17ROCPRIM_400000_NS6detail17trampoline_kernelINS0_14default_configENS1_27lower_bound_config_selectorIfiEEZNS1_14transform_implILb0ES3_S5_N6thrust23THRUST_200600_302600_NS6detail15normal_iteratorINS8_10device_ptrIfEEEENSA_INSB_IiEEEEZNS1_13binary_searchIS3_S5_SD_SD_SF_NS1_21lower_bound_search_opENS9_16wrapped_functionINS0_4lessIvEEbEEEE10hipError_tPvRmT1_T2_T3_mmT4_T5_P12ihipStream_tbEUlRKfE_EESM_SQ_SR_mSS_SV_bEUlT_E_NS1_11comp_targetILNS1_3genE2ELNS1_11target_archE906ELNS1_3gpuE6ELNS1_3repE0EEENS1_30default_config_static_selectorELNS0_4arch9wavefront6targetE1EEEvSP_
		.amdhsa_group_segment_fixed_size 0
		.amdhsa_private_segment_fixed_size 0
		.amdhsa_kernarg_size 56
		.amdhsa_user_sgpr_count 6
		.amdhsa_user_sgpr_private_segment_buffer 1
		.amdhsa_user_sgpr_dispatch_ptr 0
		.amdhsa_user_sgpr_queue_ptr 0
		.amdhsa_user_sgpr_kernarg_segment_ptr 1
		.amdhsa_user_sgpr_dispatch_id 0
		.amdhsa_user_sgpr_flat_scratch_init 0
		.amdhsa_user_sgpr_kernarg_preload_length 0
		.amdhsa_user_sgpr_kernarg_preload_offset 0
		.amdhsa_user_sgpr_private_segment_size 0
		.amdhsa_uses_dynamic_stack 0
		.amdhsa_system_sgpr_private_segment_wavefront_offset 0
		.amdhsa_system_sgpr_workgroup_id_x 1
		.amdhsa_system_sgpr_workgroup_id_y 0
		.amdhsa_system_sgpr_workgroup_id_z 0
		.amdhsa_system_sgpr_workgroup_info 0
		.amdhsa_system_vgpr_workitem_id 0
		.amdhsa_next_free_vgpr 1
		.amdhsa_next_free_sgpr 0
		.amdhsa_accum_offset 4
		.amdhsa_reserve_vcc 0
		.amdhsa_reserve_flat_scratch 0
		.amdhsa_float_round_mode_32 0
		.amdhsa_float_round_mode_16_64 0
		.amdhsa_float_denorm_mode_32 3
		.amdhsa_float_denorm_mode_16_64 3
		.amdhsa_dx10_clamp 1
		.amdhsa_ieee_mode 1
		.amdhsa_fp16_overflow 0
		.amdhsa_tg_split 0
		.amdhsa_exception_fp_ieee_invalid_op 0
		.amdhsa_exception_fp_denorm_src 0
		.amdhsa_exception_fp_ieee_div_zero 0
		.amdhsa_exception_fp_ieee_overflow 0
		.amdhsa_exception_fp_ieee_underflow 0
		.amdhsa_exception_fp_ieee_inexact 0
		.amdhsa_exception_int_div_zero 0
	.end_amdhsa_kernel
	.section	.text._ZN7rocprim17ROCPRIM_400000_NS6detail17trampoline_kernelINS0_14default_configENS1_27lower_bound_config_selectorIfiEEZNS1_14transform_implILb0ES3_S5_N6thrust23THRUST_200600_302600_NS6detail15normal_iteratorINS8_10device_ptrIfEEEENSA_INSB_IiEEEEZNS1_13binary_searchIS3_S5_SD_SD_SF_NS1_21lower_bound_search_opENS9_16wrapped_functionINS0_4lessIvEEbEEEE10hipError_tPvRmT1_T2_T3_mmT4_T5_P12ihipStream_tbEUlRKfE_EESM_SQ_SR_mSS_SV_bEUlT_E_NS1_11comp_targetILNS1_3genE2ELNS1_11target_archE906ELNS1_3gpuE6ELNS1_3repE0EEENS1_30default_config_static_selectorELNS0_4arch9wavefront6targetE1EEEvSP_,"axG",@progbits,_ZN7rocprim17ROCPRIM_400000_NS6detail17trampoline_kernelINS0_14default_configENS1_27lower_bound_config_selectorIfiEEZNS1_14transform_implILb0ES3_S5_N6thrust23THRUST_200600_302600_NS6detail15normal_iteratorINS8_10device_ptrIfEEEENSA_INSB_IiEEEEZNS1_13binary_searchIS3_S5_SD_SD_SF_NS1_21lower_bound_search_opENS9_16wrapped_functionINS0_4lessIvEEbEEEE10hipError_tPvRmT1_T2_T3_mmT4_T5_P12ihipStream_tbEUlRKfE_EESM_SQ_SR_mSS_SV_bEUlT_E_NS1_11comp_targetILNS1_3genE2ELNS1_11target_archE906ELNS1_3gpuE6ELNS1_3repE0EEENS1_30default_config_static_selectorELNS0_4arch9wavefront6targetE1EEEvSP_,comdat
.Lfunc_end265:
	.size	_ZN7rocprim17ROCPRIM_400000_NS6detail17trampoline_kernelINS0_14default_configENS1_27lower_bound_config_selectorIfiEEZNS1_14transform_implILb0ES3_S5_N6thrust23THRUST_200600_302600_NS6detail15normal_iteratorINS8_10device_ptrIfEEEENSA_INSB_IiEEEEZNS1_13binary_searchIS3_S5_SD_SD_SF_NS1_21lower_bound_search_opENS9_16wrapped_functionINS0_4lessIvEEbEEEE10hipError_tPvRmT1_T2_T3_mmT4_T5_P12ihipStream_tbEUlRKfE_EESM_SQ_SR_mSS_SV_bEUlT_E_NS1_11comp_targetILNS1_3genE2ELNS1_11target_archE906ELNS1_3gpuE6ELNS1_3repE0EEENS1_30default_config_static_selectorELNS0_4arch9wavefront6targetE1EEEvSP_, .Lfunc_end265-_ZN7rocprim17ROCPRIM_400000_NS6detail17trampoline_kernelINS0_14default_configENS1_27lower_bound_config_selectorIfiEEZNS1_14transform_implILb0ES3_S5_N6thrust23THRUST_200600_302600_NS6detail15normal_iteratorINS8_10device_ptrIfEEEENSA_INSB_IiEEEEZNS1_13binary_searchIS3_S5_SD_SD_SF_NS1_21lower_bound_search_opENS9_16wrapped_functionINS0_4lessIvEEbEEEE10hipError_tPvRmT1_T2_T3_mmT4_T5_P12ihipStream_tbEUlRKfE_EESM_SQ_SR_mSS_SV_bEUlT_E_NS1_11comp_targetILNS1_3genE2ELNS1_11target_archE906ELNS1_3gpuE6ELNS1_3repE0EEENS1_30default_config_static_selectorELNS0_4arch9wavefront6targetE1EEEvSP_
                                        ; -- End function
	.section	.AMDGPU.csdata,"",@progbits
; Kernel info:
; codeLenInByte = 0
; NumSgprs: 4
; NumVgprs: 0
; NumAgprs: 0
; TotalNumVgprs: 0
; ScratchSize: 0
; MemoryBound: 0
; FloatMode: 240
; IeeeMode: 1
; LDSByteSize: 0 bytes/workgroup (compile time only)
; SGPRBlocks: 0
; VGPRBlocks: 0
; NumSGPRsForWavesPerEU: 4
; NumVGPRsForWavesPerEU: 1
; AccumOffset: 4
; Occupancy: 8
; WaveLimiterHint : 0
; COMPUTE_PGM_RSRC2:SCRATCH_EN: 0
; COMPUTE_PGM_RSRC2:USER_SGPR: 6
; COMPUTE_PGM_RSRC2:TRAP_HANDLER: 0
; COMPUTE_PGM_RSRC2:TGID_X_EN: 1
; COMPUTE_PGM_RSRC2:TGID_Y_EN: 0
; COMPUTE_PGM_RSRC2:TGID_Z_EN: 0
; COMPUTE_PGM_RSRC2:TIDIG_COMP_CNT: 0
; COMPUTE_PGM_RSRC3_GFX90A:ACCUM_OFFSET: 0
; COMPUTE_PGM_RSRC3_GFX90A:TG_SPLIT: 0
	.section	.text._ZN7rocprim17ROCPRIM_400000_NS6detail17trampoline_kernelINS0_14default_configENS1_27lower_bound_config_selectorIfiEEZNS1_14transform_implILb0ES3_S5_N6thrust23THRUST_200600_302600_NS6detail15normal_iteratorINS8_10device_ptrIfEEEENSA_INSB_IiEEEEZNS1_13binary_searchIS3_S5_SD_SD_SF_NS1_21lower_bound_search_opENS9_16wrapped_functionINS0_4lessIvEEbEEEE10hipError_tPvRmT1_T2_T3_mmT4_T5_P12ihipStream_tbEUlRKfE_EESM_SQ_SR_mSS_SV_bEUlT_E_NS1_11comp_targetILNS1_3genE10ELNS1_11target_archE1201ELNS1_3gpuE5ELNS1_3repE0EEENS1_30default_config_static_selectorELNS0_4arch9wavefront6targetE1EEEvSP_,"axG",@progbits,_ZN7rocprim17ROCPRIM_400000_NS6detail17trampoline_kernelINS0_14default_configENS1_27lower_bound_config_selectorIfiEEZNS1_14transform_implILb0ES3_S5_N6thrust23THRUST_200600_302600_NS6detail15normal_iteratorINS8_10device_ptrIfEEEENSA_INSB_IiEEEEZNS1_13binary_searchIS3_S5_SD_SD_SF_NS1_21lower_bound_search_opENS9_16wrapped_functionINS0_4lessIvEEbEEEE10hipError_tPvRmT1_T2_T3_mmT4_T5_P12ihipStream_tbEUlRKfE_EESM_SQ_SR_mSS_SV_bEUlT_E_NS1_11comp_targetILNS1_3genE10ELNS1_11target_archE1201ELNS1_3gpuE5ELNS1_3repE0EEENS1_30default_config_static_selectorELNS0_4arch9wavefront6targetE1EEEvSP_,comdat
	.protected	_ZN7rocprim17ROCPRIM_400000_NS6detail17trampoline_kernelINS0_14default_configENS1_27lower_bound_config_selectorIfiEEZNS1_14transform_implILb0ES3_S5_N6thrust23THRUST_200600_302600_NS6detail15normal_iteratorINS8_10device_ptrIfEEEENSA_INSB_IiEEEEZNS1_13binary_searchIS3_S5_SD_SD_SF_NS1_21lower_bound_search_opENS9_16wrapped_functionINS0_4lessIvEEbEEEE10hipError_tPvRmT1_T2_T3_mmT4_T5_P12ihipStream_tbEUlRKfE_EESM_SQ_SR_mSS_SV_bEUlT_E_NS1_11comp_targetILNS1_3genE10ELNS1_11target_archE1201ELNS1_3gpuE5ELNS1_3repE0EEENS1_30default_config_static_selectorELNS0_4arch9wavefront6targetE1EEEvSP_ ; -- Begin function _ZN7rocprim17ROCPRIM_400000_NS6detail17trampoline_kernelINS0_14default_configENS1_27lower_bound_config_selectorIfiEEZNS1_14transform_implILb0ES3_S5_N6thrust23THRUST_200600_302600_NS6detail15normal_iteratorINS8_10device_ptrIfEEEENSA_INSB_IiEEEEZNS1_13binary_searchIS3_S5_SD_SD_SF_NS1_21lower_bound_search_opENS9_16wrapped_functionINS0_4lessIvEEbEEEE10hipError_tPvRmT1_T2_T3_mmT4_T5_P12ihipStream_tbEUlRKfE_EESM_SQ_SR_mSS_SV_bEUlT_E_NS1_11comp_targetILNS1_3genE10ELNS1_11target_archE1201ELNS1_3gpuE5ELNS1_3repE0EEENS1_30default_config_static_selectorELNS0_4arch9wavefront6targetE1EEEvSP_
	.globl	_ZN7rocprim17ROCPRIM_400000_NS6detail17trampoline_kernelINS0_14default_configENS1_27lower_bound_config_selectorIfiEEZNS1_14transform_implILb0ES3_S5_N6thrust23THRUST_200600_302600_NS6detail15normal_iteratorINS8_10device_ptrIfEEEENSA_INSB_IiEEEEZNS1_13binary_searchIS3_S5_SD_SD_SF_NS1_21lower_bound_search_opENS9_16wrapped_functionINS0_4lessIvEEbEEEE10hipError_tPvRmT1_T2_T3_mmT4_T5_P12ihipStream_tbEUlRKfE_EESM_SQ_SR_mSS_SV_bEUlT_E_NS1_11comp_targetILNS1_3genE10ELNS1_11target_archE1201ELNS1_3gpuE5ELNS1_3repE0EEENS1_30default_config_static_selectorELNS0_4arch9wavefront6targetE1EEEvSP_
	.p2align	8
	.type	_ZN7rocprim17ROCPRIM_400000_NS6detail17trampoline_kernelINS0_14default_configENS1_27lower_bound_config_selectorIfiEEZNS1_14transform_implILb0ES3_S5_N6thrust23THRUST_200600_302600_NS6detail15normal_iteratorINS8_10device_ptrIfEEEENSA_INSB_IiEEEEZNS1_13binary_searchIS3_S5_SD_SD_SF_NS1_21lower_bound_search_opENS9_16wrapped_functionINS0_4lessIvEEbEEEE10hipError_tPvRmT1_T2_T3_mmT4_T5_P12ihipStream_tbEUlRKfE_EESM_SQ_SR_mSS_SV_bEUlT_E_NS1_11comp_targetILNS1_3genE10ELNS1_11target_archE1201ELNS1_3gpuE5ELNS1_3repE0EEENS1_30default_config_static_selectorELNS0_4arch9wavefront6targetE1EEEvSP_,@function
_ZN7rocprim17ROCPRIM_400000_NS6detail17trampoline_kernelINS0_14default_configENS1_27lower_bound_config_selectorIfiEEZNS1_14transform_implILb0ES3_S5_N6thrust23THRUST_200600_302600_NS6detail15normal_iteratorINS8_10device_ptrIfEEEENSA_INSB_IiEEEEZNS1_13binary_searchIS3_S5_SD_SD_SF_NS1_21lower_bound_search_opENS9_16wrapped_functionINS0_4lessIvEEbEEEE10hipError_tPvRmT1_T2_T3_mmT4_T5_P12ihipStream_tbEUlRKfE_EESM_SQ_SR_mSS_SV_bEUlT_E_NS1_11comp_targetILNS1_3genE10ELNS1_11target_archE1201ELNS1_3gpuE5ELNS1_3repE0EEENS1_30default_config_static_selectorELNS0_4arch9wavefront6targetE1EEEvSP_: ; @_ZN7rocprim17ROCPRIM_400000_NS6detail17trampoline_kernelINS0_14default_configENS1_27lower_bound_config_selectorIfiEEZNS1_14transform_implILb0ES3_S5_N6thrust23THRUST_200600_302600_NS6detail15normal_iteratorINS8_10device_ptrIfEEEENSA_INSB_IiEEEEZNS1_13binary_searchIS3_S5_SD_SD_SF_NS1_21lower_bound_search_opENS9_16wrapped_functionINS0_4lessIvEEbEEEE10hipError_tPvRmT1_T2_T3_mmT4_T5_P12ihipStream_tbEUlRKfE_EESM_SQ_SR_mSS_SV_bEUlT_E_NS1_11comp_targetILNS1_3genE10ELNS1_11target_archE1201ELNS1_3gpuE5ELNS1_3repE0EEENS1_30default_config_static_selectorELNS0_4arch9wavefront6targetE1EEEvSP_
; %bb.0:
	.section	.rodata,"a",@progbits
	.p2align	6, 0x0
	.amdhsa_kernel _ZN7rocprim17ROCPRIM_400000_NS6detail17trampoline_kernelINS0_14default_configENS1_27lower_bound_config_selectorIfiEEZNS1_14transform_implILb0ES3_S5_N6thrust23THRUST_200600_302600_NS6detail15normal_iteratorINS8_10device_ptrIfEEEENSA_INSB_IiEEEEZNS1_13binary_searchIS3_S5_SD_SD_SF_NS1_21lower_bound_search_opENS9_16wrapped_functionINS0_4lessIvEEbEEEE10hipError_tPvRmT1_T2_T3_mmT4_T5_P12ihipStream_tbEUlRKfE_EESM_SQ_SR_mSS_SV_bEUlT_E_NS1_11comp_targetILNS1_3genE10ELNS1_11target_archE1201ELNS1_3gpuE5ELNS1_3repE0EEENS1_30default_config_static_selectorELNS0_4arch9wavefront6targetE1EEEvSP_
		.amdhsa_group_segment_fixed_size 0
		.amdhsa_private_segment_fixed_size 0
		.amdhsa_kernarg_size 56
		.amdhsa_user_sgpr_count 6
		.amdhsa_user_sgpr_private_segment_buffer 1
		.amdhsa_user_sgpr_dispatch_ptr 0
		.amdhsa_user_sgpr_queue_ptr 0
		.amdhsa_user_sgpr_kernarg_segment_ptr 1
		.amdhsa_user_sgpr_dispatch_id 0
		.amdhsa_user_sgpr_flat_scratch_init 0
		.amdhsa_user_sgpr_kernarg_preload_length 0
		.amdhsa_user_sgpr_kernarg_preload_offset 0
		.amdhsa_user_sgpr_private_segment_size 0
		.amdhsa_uses_dynamic_stack 0
		.amdhsa_system_sgpr_private_segment_wavefront_offset 0
		.amdhsa_system_sgpr_workgroup_id_x 1
		.amdhsa_system_sgpr_workgroup_id_y 0
		.amdhsa_system_sgpr_workgroup_id_z 0
		.amdhsa_system_sgpr_workgroup_info 0
		.amdhsa_system_vgpr_workitem_id 0
		.amdhsa_next_free_vgpr 1
		.amdhsa_next_free_sgpr 0
		.amdhsa_accum_offset 4
		.amdhsa_reserve_vcc 0
		.amdhsa_reserve_flat_scratch 0
		.amdhsa_float_round_mode_32 0
		.amdhsa_float_round_mode_16_64 0
		.amdhsa_float_denorm_mode_32 3
		.amdhsa_float_denorm_mode_16_64 3
		.amdhsa_dx10_clamp 1
		.amdhsa_ieee_mode 1
		.amdhsa_fp16_overflow 0
		.amdhsa_tg_split 0
		.amdhsa_exception_fp_ieee_invalid_op 0
		.amdhsa_exception_fp_denorm_src 0
		.amdhsa_exception_fp_ieee_div_zero 0
		.amdhsa_exception_fp_ieee_overflow 0
		.amdhsa_exception_fp_ieee_underflow 0
		.amdhsa_exception_fp_ieee_inexact 0
		.amdhsa_exception_int_div_zero 0
	.end_amdhsa_kernel
	.section	.text._ZN7rocprim17ROCPRIM_400000_NS6detail17trampoline_kernelINS0_14default_configENS1_27lower_bound_config_selectorIfiEEZNS1_14transform_implILb0ES3_S5_N6thrust23THRUST_200600_302600_NS6detail15normal_iteratorINS8_10device_ptrIfEEEENSA_INSB_IiEEEEZNS1_13binary_searchIS3_S5_SD_SD_SF_NS1_21lower_bound_search_opENS9_16wrapped_functionINS0_4lessIvEEbEEEE10hipError_tPvRmT1_T2_T3_mmT4_T5_P12ihipStream_tbEUlRKfE_EESM_SQ_SR_mSS_SV_bEUlT_E_NS1_11comp_targetILNS1_3genE10ELNS1_11target_archE1201ELNS1_3gpuE5ELNS1_3repE0EEENS1_30default_config_static_selectorELNS0_4arch9wavefront6targetE1EEEvSP_,"axG",@progbits,_ZN7rocprim17ROCPRIM_400000_NS6detail17trampoline_kernelINS0_14default_configENS1_27lower_bound_config_selectorIfiEEZNS1_14transform_implILb0ES3_S5_N6thrust23THRUST_200600_302600_NS6detail15normal_iteratorINS8_10device_ptrIfEEEENSA_INSB_IiEEEEZNS1_13binary_searchIS3_S5_SD_SD_SF_NS1_21lower_bound_search_opENS9_16wrapped_functionINS0_4lessIvEEbEEEE10hipError_tPvRmT1_T2_T3_mmT4_T5_P12ihipStream_tbEUlRKfE_EESM_SQ_SR_mSS_SV_bEUlT_E_NS1_11comp_targetILNS1_3genE10ELNS1_11target_archE1201ELNS1_3gpuE5ELNS1_3repE0EEENS1_30default_config_static_selectorELNS0_4arch9wavefront6targetE1EEEvSP_,comdat
.Lfunc_end266:
	.size	_ZN7rocprim17ROCPRIM_400000_NS6detail17trampoline_kernelINS0_14default_configENS1_27lower_bound_config_selectorIfiEEZNS1_14transform_implILb0ES3_S5_N6thrust23THRUST_200600_302600_NS6detail15normal_iteratorINS8_10device_ptrIfEEEENSA_INSB_IiEEEEZNS1_13binary_searchIS3_S5_SD_SD_SF_NS1_21lower_bound_search_opENS9_16wrapped_functionINS0_4lessIvEEbEEEE10hipError_tPvRmT1_T2_T3_mmT4_T5_P12ihipStream_tbEUlRKfE_EESM_SQ_SR_mSS_SV_bEUlT_E_NS1_11comp_targetILNS1_3genE10ELNS1_11target_archE1201ELNS1_3gpuE5ELNS1_3repE0EEENS1_30default_config_static_selectorELNS0_4arch9wavefront6targetE1EEEvSP_, .Lfunc_end266-_ZN7rocprim17ROCPRIM_400000_NS6detail17trampoline_kernelINS0_14default_configENS1_27lower_bound_config_selectorIfiEEZNS1_14transform_implILb0ES3_S5_N6thrust23THRUST_200600_302600_NS6detail15normal_iteratorINS8_10device_ptrIfEEEENSA_INSB_IiEEEEZNS1_13binary_searchIS3_S5_SD_SD_SF_NS1_21lower_bound_search_opENS9_16wrapped_functionINS0_4lessIvEEbEEEE10hipError_tPvRmT1_T2_T3_mmT4_T5_P12ihipStream_tbEUlRKfE_EESM_SQ_SR_mSS_SV_bEUlT_E_NS1_11comp_targetILNS1_3genE10ELNS1_11target_archE1201ELNS1_3gpuE5ELNS1_3repE0EEENS1_30default_config_static_selectorELNS0_4arch9wavefront6targetE1EEEvSP_
                                        ; -- End function
	.section	.AMDGPU.csdata,"",@progbits
; Kernel info:
; codeLenInByte = 0
; NumSgprs: 4
; NumVgprs: 0
; NumAgprs: 0
; TotalNumVgprs: 0
; ScratchSize: 0
; MemoryBound: 0
; FloatMode: 240
; IeeeMode: 1
; LDSByteSize: 0 bytes/workgroup (compile time only)
; SGPRBlocks: 0
; VGPRBlocks: 0
; NumSGPRsForWavesPerEU: 4
; NumVGPRsForWavesPerEU: 1
; AccumOffset: 4
; Occupancy: 8
; WaveLimiterHint : 0
; COMPUTE_PGM_RSRC2:SCRATCH_EN: 0
; COMPUTE_PGM_RSRC2:USER_SGPR: 6
; COMPUTE_PGM_RSRC2:TRAP_HANDLER: 0
; COMPUTE_PGM_RSRC2:TGID_X_EN: 1
; COMPUTE_PGM_RSRC2:TGID_Y_EN: 0
; COMPUTE_PGM_RSRC2:TGID_Z_EN: 0
; COMPUTE_PGM_RSRC2:TIDIG_COMP_CNT: 0
; COMPUTE_PGM_RSRC3_GFX90A:ACCUM_OFFSET: 0
; COMPUTE_PGM_RSRC3_GFX90A:TG_SPLIT: 0
	.section	.text._ZN7rocprim17ROCPRIM_400000_NS6detail17trampoline_kernelINS0_14default_configENS1_27lower_bound_config_selectorIfiEEZNS1_14transform_implILb0ES3_S5_N6thrust23THRUST_200600_302600_NS6detail15normal_iteratorINS8_10device_ptrIfEEEENSA_INSB_IiEEEEZNS1_13binary_searchIS3_S5_SD_SD_SF_NS1_21lower_bound_search_opENS9_16wrapped_functionINS0_4lessIvEEbEEEE10hipError_tPvRmT1_T2_T3_mmT4_T5_P12ihipStream_tbEUlRKfE_EESM_SQ_SR_mSS_SV_bEUlT_E_NS1_11comp_targetILNS1_3genE10ELNS1_11target_archE1200ELNS1_3gpuE4ELNS1_3repE0EEENS1_30default_config_static_selectorELNS0_4arch9wavefront6targetE1EEEvSP_,"axG",@progbits,_ZN7rocprim17ROCPRIM_400000_NS6detail17trampoline_kernelINS0_14default_configENS1_27lower_bound_config_selectorIfiEEZNS1_14transform_implILb0ES3_S5_N6thrust23THRUST_200600_302600_NS6detail15normal_iteratorINS8_10device_ptrIfEEEENSA_INSB_IiEEEEZNS1_13binary_searchIS3_S5_SD_SD_SF_NS1_21lower_bound_search_opENS9_16wrapped_functionINS0_4lessIvEEbEEEE10hipError_tPvRmT1_T2_T3_mmT4_T5_P12ihipStream_tbEUlRKfE_EESM_SQ_SR_mSS_SV_bEUlT_E_NS1_11comp_targetILNS1_3genE10ELNS1_11target_archE1200ELNS1_3gpuE4ELNS1_3repE0EEENS1_30default_config_static_selectorELNS0_4arch9wavefront6targetE1EEEvSP_,comdat
	.protected	_ZN7rocprim17ROCPRIM_400000_NS6detail17trampoline_kernelINS0_14default_configENS1_27lower_bound_config_selectorIfiEEZNS1_14transform_implILb0ES3_S5_N6thrust23THRUST_200600_302600_NS6detail15normal_iteratorINS8_10device_ptrIfEEEENSA_INSB_IiEEEEZNS1_13binary_searchIS3_S5_SD_SD_SF_NS1_21lower_bound_search_opENS9_16wrapped_functionINS0_4lessIvEEbEEEE10hipError_tPvRmT1_T2_T3_mmT4_T5_P12ihipStream_tbEUlRKfE_EESM_SQ_SR_mSS_SV_bEUlT_E_NS1_11comp_targetILNS1_3genE10ELNS1_11target_archE1200ELNS1_3gpuE4ELNS1_3repE0EEENS1_30default_config_static_selectorELNS0_4arch9wavefront6targetE1EEEvSP_ ; -- Begin function _ZN7rocprim17ROCPRIM_400000_NS6detail17trampoline_kernelINS0_14default_configENS1_27lower_bound_config_selectorIfiEEZNS1_14transform_implILb0ES3_S5_N6thrust23THRUST_200600_302600_NS6detail15normal_iteratorINS8_10device_ptrIfEEEENSA_INSB_IiEEEEZNS1_13binary_searchIS3_S5_SD_SD_SF_NS1_21lower_bound_search_opENS9_16wrapped_functionINS0_4lessIvEEbEEEE10hipError_tPvRmT1_T2_T3_mmT4_T5_P12ihipStream_tbEUlRKfE_EESM_SQ_SR_mSS_SV_bEUlT_E_NS1_11comp_targetILNS1_3genE10ELNS1_11target_archE1200ELNS1_3gpuE4ELNS1_3repE0EEENS1_30default_config_static_selectorELNS0_4arch9wavefront6targetE1EEEvSP_
	.globl	_ZN7rocprim17ROCPRIM_400000_NS6detail17trampoline_kernelINS0_14default_configENS1_27lower_bound_config_selectorIfiEEZNS1_14transform_implILb0ES3_S5_N6thrust23THRUST_200600_302600_NS6detail15normal_iteratorINS8_10device_ptrIfEEEENSA_INSB_IiEEEEZNS1_13binary_searchIS3_S5_SD_SD_SF_NS1_21lower_bound_search_opENS9_16wrapped_functionINS0_4lessIvEEbEEEE10hipError_tPvRmT1_T2_T3_mmT4_T5_P12ihipStream_tbEUlRKfE_EESM_SQ_SR_mSS_SV_bEUlT_E_NS1_11comp_targetILNS1_3genE10ELNS1_11target_archE1200ELNS1_3gpuE4ELNS1_3repE0EEENS1_30default_config_static_selectorELNS0_4arch9wavefront6targetE1EEEvSP_
	.p2align	8
	.type	_ZN7rocprim17ROCPRIM_400000_NS6detail17trampoline_kernelINS0_14default_configENS1_27lower_bound_config_selectorIfiEEZNS1_14transform_implILb0ES3_S5_N6thrust23THRUST_200600_302600_NS6detail15normal_iteratorINS8_10device_ptrIfEEEENSA_INSB_IiEEEEZNS1_13binary_searchIS3_S5_SD_SD_SF_NS1_21lower_bound_search_opENS9_16wrapped_functionINS0_4lessIvEEbEEEE10hipError_tPvRmT1_T2_T3_mmT4_T5_P12ihipStream_tbEUlRKfE_EESM_SQ_SR_mSS_SV_bEUlT_E_NS1_11comp_targetILNS1_3genE10ELNS1_11target_archE1200ELNS1_3gpuE4ELNS1_3repE0EEENS1_30default_config_static_selectorELNS0_4arch9wavefront6targetE1EEEvSP_,@function
_ZN7rocprim17ROCPRIM_400000_NS6detail17trampoline_kernelINS0_14default_configENS1_27lower_bound_config_selectorIfiEEZNS1_14transform_implILb0ES3_S5_N6thrust23THRUST_200600_302600_NS6detail15normal_iteratorINS8_10device_ptrIfEEEENSA_INSB_IiEEEEZNS1_13binary_searchIS3_S5_SD_SD_SF_NS1_21lower_bound_search_opENS9_16wrapped_functionINS0_4lessIvEEbEEEE10hipError_tPvRmT1_T2_T3_mmT4_T5_P12ihipStream_tbEUlRKfE_EESM_SQ_SR_mSS_SV_bEUlT_E_NS1_11comp_targetILNS1_3genE10ELNS1_11target_archE1200ELNS1_3gpuE4ELNS1_3repE0EEENS1_30default_config_static_selectorELNS0_4arch9wavefront6targetE1EEEvSP_: ; @_ZN7rocprim17ROCPRIM_400000_NS6detail17trampoline_kernelINS0_14default_configENS1_27lower_bound_config_selectorIfiEEZNS1_14transform_implILb0ES3_S5_N6thrust23THRUST_200600_302600_NS6detail15normal_iteratorINS8_10device_ptrIfEEEENSA_INSB_IiEEEEZNS1_13binary_searchIS3_S5_SD_SD_SF_NS1_21lower_bound_search_opENS9_16wrapped_functionINS0_4lessIvEEbEEEE10hipError_tPvRmT1_T2_T3_mmT4_T5_P12ihipStream_tbEUlRKfE_EESM_SQ_SR_mSS_SV_bEUlT_E_NS1_11comp_targetILNS1_3genE10ELNS1_11target_archE1200ELNS1_3gpuE4ELNS1_3repE0EEENS1_30default_config_static_selectorELNS0_4arch9wavefront6targetE1EEEvSP_
; %bb.0:
	.section	.rodata,"a",@progbits
	.p2align	6, 0x0
	.amdhsa_kernel _ZN7rocprim17ROCPRIM_400000_NS6detail17trampoline_kernelINS0_14default_configENS1_27lower_bound_config_selectorIfiEEZNS1_14transform_implILb0ES3_S5_N6thrust23THRUST_200600_302600_NS6detail15normal_iteratorINS8_10device_ptrIfEEEENSA_INSB_IiEEEEZNS1_13binary_searchIS3_S5_SD_SD_SF_NS1_21lower_bound_search_opENS9_16wrapped_functionINS0_4lessIvEEbEEEE10hipError_tPvRmT1_T2_T3_mmT4_T5_P12ihipStream_tbEUlRKfE_EESM_SQ_SR_mSS_SV_bEUlT_E_NS1_11comp_targetILNS1_3genE10ELNS1_11target_archE1200ELNS1_3gpuE4ELNS1_3repE0EEENS1_30default_config_static_selectorELNS0_4arch9wavefront6targetE1EEEvSP_
		.amdhsa_group_segment_fixed_size 0
		.amdhsa_private_segment_fixed_size 0
		.amdhsa_kernarg_size 56
		.amdhsa_user_sgpr_count 6
		.amdhsa_user_sgpr_private_segment_buffer 1
		.amdhsa_user_sgpr_dispatch_ptr 0
		.amdhsa_user_sgpr_queue_ptr 0
		.amdhsa_user_sgpr_kernarg_segment_ptr 1
		.amdhsa_user_sgpr_dispatch_id 0
		.amdhsa_user_sgpr_flat_scratch_init 0
		.amdhsa_user_sgpr_kernarg_preload_length 0
		.amdhsa_user_sgpr_kernarg_preload_offset 0
		.amdhsa_user_sgpr_private_segment_size 0
		.amdhsa_uses_dynamic_stack 0
		.amdhsa_system_sgpr_private_segment_wavefront_offset 0
		.amdhsa_system_sgpr_workgroup_id_x 1
		.amdhsa_system_sgpr_workgroup_id_y 0
		.amdhsa_system_sgpr_workgroup_id_z 0
		.amdhsa_system_sgpr_workgroup_info 0
		.amdhsa_system_vgpr_workitem_id 0
		.amdhsa_next_free_vgpr 1
		.amdhsa_next_free_sgpr 0
		.amdhsa_accum_offset 4
		.amdhsa_reserve_vcc 0
		.amdhsa_reserve_flat_scratch 0
		.amdhsa_float_round_mode_32 0
		.amdhsa_float_round_mode_16_64 0
		.amdhsa_float_denorm_mode_32 3
		.amdhsa_float_denorm_mode_16_64 3
		.amdhsa_dx10_clamp 1
		.amdhsa_ieee_mode 1
		.amdhsa_fp16_overflow 0
		.amdhsa_tg_split 0
		.amdhsa_exception_fp_ieee_invalid_op 0
		.amdhsa_exception_fp_denorm_src 0
		.amdhsa_exception_fp_ieee_div_zero 0
		.amdhsa_exception_fp_ieee_overflow 0
		.amdhsa_exception_fp_ieee_underflow 0
		.amdhsa_exception_fp_ieee_inexact 0
		.amdhsa_exception_int_div_zero 0
	.end_amdhsa_kernel
	.section	.text._ZN7rocprim17ROCPRIM_400000_NS6detail17trampoline_kernelINS0_14default_configENS1_27lower_bound_config_selectorIfiEEZNS1_14transform_implILb0ES3_S5_N6thrust23THRUST_200600_302600_NS6detail15normal_iteratorINS8_10device_ptrIfEEEENSA_INSB_IiEEEEZNS1_13binary_searchIS3_S5_SD_SD_SF_NS1_21lower_bound_search_opENS9_16wrapped_functionINS0_4lessIvEEbEEEE10hipError_tPvRmT1_T2_T3_mmT4_T5_P12ihipStream_tbEUlRKfE_EESM_SQ_SR_mSS_SV_bEUlT_E_NS1_11comp_targetILNS1_3genE10ELNS1_11target_archE1200ELNS1_3gpuE4ELNS1_3repE0EEENS1_30default_config_static_selectorELNS0_4arch9wavefront6targetE1EEEvSP_,"axG",@progbits,_ZN7rocprim17ROCPRIM_400000_NS6detail17trampoline_kernelINS0_14default_configENS1_27lower_bound_config_selectorIfiEEZNS1_14transform_implILb0ES3_S5_N6thrust23THRUST_200600_302600_NS6detail15normal_iteratorINS8_10device_ptrIfEEEENSA_INSB_IiEEEEZNS1_13binary_searchIS3_S5_SD_SD_SF_NS1_21lower_bound_search_opENS9_16wrapped_functionINS0_4lessIvEEbEEEE10hipError_tPvRmT1_T2_T3_mmT4_T5_P12ihipStream_tbEUlRKfE_EESM_SQ_SR_mSS_SV_bEUlT_E_NS1_11comp_targetILNS1_3genE10ELNS1_11target_archE1200ELNS1_3gpuE4ELNS1_3repE0EEENS1_30default_config_static_selectorELNS0_4arch9wavefront6targetE1EEEvSP_,comdat
.Lfunc_end267:
	.size	_ZN7rocprim17ROCPRIM_400000_NS6detail17trampoline_kernelINS0_14default_configENS1_27lower_bound_config_selectorIfiEEZNS1_14transform_implILb0ES3_S5_N6thrust23THRUST_200600_302600_NS6detail15normal_iteratorINS8_10device_ptrIfEEEENSA_INSB_IiEEEEZNS1_13binary_searchIS3_S5_SD_SD_SF_NS1_21lower_bound_search_opENS9_16wrapped_functionINS0_4lessIvEEbEEEE10hipError_tPvRmT1_T2_T3_mmT4_T5_P12ihipStream_tbEUlRKfE_EESM_SQ_SR_mSS_SV_bEUlT_E_NS1_11comp_targetILNS1_3genE10ELNS1_11target_archE1200ELNS1_3gpuE4ELNS1_3repE0EEENS1_30default_config_static_selectorELNS0_4arch9wavefront6targetE1EEEvSP_, .Lfunc_end267-_ZN7rocprim17ROCPRIM_400000_NS6detail17trampoline_kernelINS0_14default_configENS1_27lower_bound_config_selectorIfiEEZNS1_14transform_implILb0ES3_S5_N6thrust23THRUST_200600_302600_NS6detail15normal_iteratorINS8_10device_ptrIfEEEENSA_INSB_IiEEEEZNS1_13binary_searchIS3_S5_SD_SD_SF_NS1_21lower_bound_search_opENS9_16wrapped_functionINS0_4lessIvEEbEEEE10hipError_tPvRmT1_T2_T3_mmT4_T5_P12ihipStream_tbEUlRKfE_EESM_SQ_SR_mSS_SV_bEUlT_E_NS1_11comp_targetILNS1_3genE10ELNS1_11target_archE1200ELNS1_3gpuE4ELNS1_3repE0EEENS1_30default_config_static_selectorELNS0_4arch9wavefront6targetE1EEEvSP_
                                        ; -- End function
	.section	.AMDGPU.csdata,"",@progbits
; Kernel info:
; codeLenInByte = 0
; NumSgprs: 4
; NumVgprs: 0
; NumAgprs: 0
; TotalNumVgprs: 0
; ScratchSize: 0
; MemoryBound: 0
; FloatMode: 240
; IeeeMode: 1
; LDSByteSize: 0 bytes/workgroup (compile time only)
; SGPRBlocks: 0
; VGPRBlocks: 0
; NumSGPRsForWavesPerEU: 4
; NumVGPRsForWavesPerEU: 1
; AccumOffset: 4
; Occupancy: 8
; WaveLimiterHint : 0
; COMPUTE_PGM_RSRC2:SCRATCH_EN: 0
; COMPUTE_PGM_RSRC2:USER_SGPR: 6
; COMPUTE_PGM_RSRC2:TRAP_HANDLER: 0
; COMPUTE_PGM_RSRC2:TGID_X_EN: 1
; COMPUTE_PGM_RSRC2:TGID_Y_EN: 0
; COMPUTE_PGM_RSRC2:TGID_Z_EN: 0
; COMPUTE_PGM_RSRC2:TIDIG_COMP_CNT: 0
; COMPUTE_PGM_RSRC3_GFX90A:ACCUM_OFFSET: 0
; COMPUTE_PGM_RSRC3_GFX90A:TG_SPLIT: 0
	.section	.text._ZN7rocprim17ROCPRIM_400000_NS6detail17trampoline_kernelINS0_14default_configENS1_27lower_bound_config_selectorIfiEEZNS1_14transform_implILb0ES3_S5_N6thrust23THRUST_200600_302600_NS6detail15normal_iteratorINS8_10device_ptrIfEEEENSA_INSB_IiEEEEZNS1_13binary_searchIS3_S5_SD_SD_SF_NS1_21lower_bound_search_opENS9_16wrapped_functionINS0_4lessIvEEbEEEE10hipError_tPvRmT1_T2_T3_mmT4_T5_P12ihipStream_tbEUlRKfE_EESM_SQ_SR_mSS_SV_bEUlT_E_NS1_11comp_targetILNS1_3genE9ELNS1_11target_archE1100ELNS1_3gpuE3ELNS1_3repE0EEENS1_30default_config_static_selectorELNS0_4arch9wavefront6targetE1EEEvSP_,"axG",@progbits,_ZN7rocprim17ROCPRIM_400000_NS6detail17trampoline_kernelINS0_14default_configENS1_27lower_bound_config_selectorIfiEEZNS1_14transform_implILb0ES3_S5_N6thrust23THRUST_200600_302600_NS6detail15normal_iteratorINS8_10device_ptrIfEEEENSA_INSB_IiEEEEZNS1_13binary_searchIS3_S5_SD_SD_SF_NS1_21lower_bound_search_opENS9_16wrapped_functionINS0_4lessIvEEbEEEE10hipError_tPvRmT1_T2_T3_mmT4_T5_P12ihipStream_tbEUlRKfE_EESM_SQ_SR_mSS_SV_bEUlT_E_NS1_11comp_targetILNS1_3genE9ELNS1_11target_archE1100ELNS1_3gpuE3ELNS1_3repE0EEENS1_30default_config_static_selectorELNS0_4arch9wavefront6targetE1EEEvSP_,comdat
	.protected	_ZN7rocprim17ROCPRIM_400000_NS6detail17trampoline_kernelINS0_14default_configENS1_27lower_bound_config_selectorIfiEEZNS1_14transform_implILb0ES3_S5_N6thrust23THRUST_200600_302600_NS6detail15normal_iteratorINS8_10device_ptrIfEEEENSA_INSB_IiEEEEZNS1_13binary_searchIS3_S5_SD_SD_SF_NS1_21lower_bound_search_opENS9_16wrapped_functionINS0_4lessIvEEbEEEE10hipError_tPvRmT1_T2_T3_mmT4_T5_P12ihipStream_tbEUlRKfE_EESM_SQ_SR_mSS_SV_bEUlT_E_NS1_11comp_targetILNS1_3genE9ELNS1_11target_archE1100ELNS1_3gpuE3ELNS1_3repE0EEENS1_30default_config_static_selectorELNS0_4arch9wavefront6targetE1EEEvSP_ ; -- Begin function _ZN7rocprim17ROCPRIM_400000_NS6detail17trampoline_kernelINS0_14default_configENS1_27lower_bound_config_selectorIfiEEZNS1_14transform_implILb0ES3_S5_N6thrust23THRUST_200600_302600_NS6detail15normal_iteratorINS8_10device_ptrIfEEEENSA_INSB_IiEEEEZNS1_13binary_searchIS3_S5_SD_SD_SF_NS1_21lower_bound_search_opENS9_16wrapped_functionINS0_4lessIvEEbEEEE10hipError_tPvRmT1_T2_T3_mmT4_T5_P12ihipStream_tbEUlRKfE_EESM_SQ_SR_mSS_SV_bEUlT_E_NS1_11comp_targetILNS1_3genE9ELNS1_11target_archE1100ELNS1_3gpuE3ELNS1_3repE0EEENS1_30default_config_static_selectorELNS0_4arch9wavefront6targetE1EEEvSP_
	.globl	_ZN7rocprim17ROCPRIM_400000_NS6detail17trampoline_kernelINS0_14default_configENS1_27lower_bound_config_selectorIfiEEZNS1_14transform_implILb0ES3_S5_N6thrust23THRUST_200600_302600_NS6detail15normal_iteratorINS8_10device_ptrIfEEEENSA_INSB_IiEEEEZNS1_13binary_searchIS3_S5_SD_SD_SF_NS1_21lower_bound_search_opENS9_16wrapped_functionINS0_4lessIvEEbEEEE10hipError_tPvRmT1_T2_T3_mmT4_T5_P12ihipStream_tbEUlRKfE_EESM_SQ_SR_mSS_SV_bEUlT_E_NS1_11comp_targetILNS1_3genE9ELNS1_11target_archE1100ELNS1_3gpuE3ELNS1_3repE0EEENS1_30default_config_static_selectorELNS0_4arch9wavefront6targetE1EEEvSP_
	.p2align	8
	.type	_ZN7rocprim17ROCPRIM_400000_NS6detail17trampoline_kernelINS0_14default_configENS1_27lower_bound_config_selectorIfiEEZNS1_14transform_implILb0ES3_S5_N6thrust23THRUST_200600_302600_NS6detail15normal_iteratorINS8_10device_ptrIfEEEENSA_INSB_IiEEEEZNS1_13binary_searchIS3_S5_SD_SD_SF_NS1_21lower_bound_search_opENS9_16wrapped_functionINS0_4lessIvEEbEEEE10hipError_tPvRmT1_T2_T3_mmT4_T5_P12ihipStream_tbEUlRKfE_EESM_SQ_SR_mSS_SV_bEUlT_E_NS1_11comp_targetILNS1_3genE9ELNS1_11target_archE1100ELNS1_3gpuE3ELNS1_3repE0EEENS1_30default_config_static_selectorELNS0_4arch9wavefront6targetE1EEEvSP_,@function
_ZN7rocprim17ROCPRIM_400000_NS6detail17trampoline_kernelINS0_14default_configENS1_27lower_bound_config_selectorIfiEEZNS1_14transform_implILb0ES3_S5_N6thrust23THRUST_200600_302600_NS6detail15normal_iteratorINS8_10device_ptrIfEEEENSA_INSB_IiEEEEZNS1_13binary_searchIS3_S5_SD_SD_SF_NS1_21lower_bound_search_opENS9_16wrapped_functionINS0_4lessIvEEbEEEE10hipError_tPvRmT1_T2_T3_mmT4_T5_P12ihipStream_tbEUlRKfE_EESM_SQ_SR_mSS_SV_bEUlT_E_NS1_11comp_targetILNS1_3genE9ELNS1_11target_archE1100ELNS1_3gpuE3ELNS1_3repE0EEENS1_30default_config_static_selectorELNS0_4arch9wavefront6targetE1EEEvSP_: ; @_ZN7rocprim17ROCPRIM_400000_NS6detail17trampoline_kernelINS0_14default_configENS1_27lower_bound_config_selectorIfiEEZNS1_14transform_implILb0ES3_S5_N6thrust23THRUST_200600_302600_NS6detail15normal_iteratorINS8_10device_ptrIfEEEENSA_INSB_IiEEEEZNS1_13binary_searchIS3_S5_SD_SD_SF_NS1_21lower_bound_search_opENS9_16wrapped_functionINS0_4lessIvEEbEEEE10hipError_tPvRmT1_T2_T3_mmT4_T5_P12ihipStream_tbEUlRKfE_EESM_SQ_SR_mSS_SV_bEUlT_E_NS1_11comp_targetILNS1_3genE9ELNS1_11target_archE1100ELNS1_3gpuE3ELNS1_3repE0EEENS1_30default_config_static_selectorELNS0_4arch9wavefront6targetE1EEEvSP_
; %bb.0:
	.section	.rodata,"a",@progbits
	.p2align	6, 0x0
	.amdhsa_kernel _ZN7rocprim17ROCPRIM_400000_NS6detail17trampoline_kernelINS0_14default_configENS1_27lower_bound_config_selectorIfiEEZNS1_14transform_implILb0ES3_S5_N6thrust23THRUST_200600_302600_NS6detail15normal_iteratorINS8_10device_ptrIfEEEENSA_INSB_IiEEEEZNS1_13binary_searchIS3_S5_SD_SD_SF_NS1_21lower_bound_search_opENS9_16wrapped_functionINS0_4lessIvEEbEEEE10hipError_tPvRmT1_T2_T3_mmT4_T5_P12ihipStream_tbEUlRKfE_EESM_SQ_SR_mSS_SV_bEUlT_E_NS1_11comp_targetILNS1_3genE9ELNS1_11target_archE1100ELNS1_3gpuE3ELNS1_3repE0EEENS1_30default_config_static_selectorELNS0_4arch9wavefront6targetE1EEEvSP_
		.amdhsa_group_segment_fixed_size 0
		.amdhsa_private_segment_fixed_size 0
		.amdhsa_kernarg_size 56
		.amdhsa_user_sgpr_count 6
		.amdhsa_user_sgpr_private_segment_buffer 1
		.amdhsa_user_sgpr_dispatch_ptr 0
		.amdhsa_user_sgpr_queue_ptr 0
		.amdhsa_user_sgpr_kernarg_segment_ptr 1
		.amdhsa_user_sgpr_dispatch_id 0
		.amdhsa_user_sgpr_flat_scratch_init 0
		.amdhsa_user_sgpr_kernarg_preload_length 0
		.amdhsa_user_sgpr_kernarg_preload_offset 0
		.amdhsa_user_sgpr_private_segment_size 0
		.amdhsa_uses_dynamic_stack 0
		.amdhsa_system_sgpr_private_segment_wavefront_offset 0
		.amdhsa_system_sgpr_workgroup_id_x 1
		.amdhsa_system_sgpr_workgroup_id_y 0
		.amdhsa_system_sgpr_workgroup_id_z 0
		.amdhsa_system_sgpr_workgroup_info 0
		.amdhsa_system_vgpr_workitem_id 0
		.amdhsa_next_free_vgpr 1
		.amdhsa_next_free_sgpr 0
		.amdhsa_accum_offset 4
		.amdhsa_reserve_vcc 0
		.amdhsa_reserve_flat_scratch 0
		.amdhsa_float_round_mode_32 0
		.amdhsa_float_round_mode_16_64 0
		.amdhsa_float_denorm_mode_32 3
		.amdhsa_float_denorm_mode_16_64 3
		.amdhsa_dx10_clamp 1
		.amdhsa_ieee_mode 1
		.amdhsa_fp16_overflow 0
		.amdhsa_tg_split 0
		.amdhsa_exception_fp_ieee_invalid_op 0
		.amdhsa_exception_fp_denorm_src 0
		.amdhsa_exception_fp_ieee_div_zero 0
		.amdhsa_exception_fp_ieee_overflow 0
		.amdhsa_exception_fp_ieee_underflow 0
		.amdhsa_exception_fp_ieee_inexact 0
		.amdhsa_exception_int_div_zero 0
	.end_amdhsa_kernel
	.section	.text._ZN7rocprim17ROCPRIM_400000_NS6detail17trampoline_kernelINS0_14default_configENS1_27lower_bound_config_selectorIfiEEZNS1_14transform_implILb0ES3_S5_N6thrust23THRUST_200600_302600_NS6detail15normal_iteratorINS8_10device_ptrIfEEEENSA_INSB_IiEEEEZNS1_13binary_searchIS3_S5_SD_SD_SF_NS1_21lower_bound_search_opENS9_16wrapped_functionINS0_4lessIvEEbEEEE10hipError_tPvRmT1_T2_T3_mmT4_T5_P12ihipStream_tbEUlRKfE_EESM_SQ_SR_mSS_SV_bEUlT_E_NS1_11comp_targetILNS1_3genE9ELNS1_11target_archE1100ELNS1_3gpuE3ELNS1_3repE0EEENS1_30default_config_static_selectorELNS0_4arch9wavefront6targetE1EEEvSP_,"axG",@progbits,_ZN7rocprim17ROCPRIM_400000_NS6detail17trampoline_kernelINS0_14default_configENS1_27lower_bound_config_selectorIfiEEZNS1_14transform_implILb0ES3_S5_N6thrust23THRUST_200600_302600_NS6detail15normal_iteratorINS8_10device_ptrIfEEEENSA_INSB_IiEEEEZNS1_13binary_searchIS3_S5_SD_SD_SF_NS1_21lower_bound_search_opENS9_16wrapped_functionINS0_4lessIvEEbEEEE10hipError_tPvRmT1_T2_T3_mmT4_T5_P12ihipStream_tbEUlRKfE_EESM_SQ_SR_mSS_SV_bEUlT_E_NS1_11comp_targetILNS1_3genE9ELNS1_11target_archE1100ELNS1_3gpuE3ELNS1_3repE0EEENS1_30default_config_static_selectorELNS0_4arch9wavefront6targetE1EEEvSP_,comdat
.Lfunc_end268:
	.size	_ZN7rocprim17ROCPRIM_400000_NS6detail17trampoline_kernelINS0_14default_configENS1_27lower_bound_config_selectorIfiEEZNS1_14transform_implILb0ES3_S5_N6thrust23THRUST_200600_302600_NS6detail15normal_iteratorINS8_10device_ptrIfEEEENSA_INSB_IiEEEEZNS1_13binary_searchIS3_S5_SD_SD_SF_NS1_21lower_bound_search_opENS9_16wrapped_functionINS0_4lessIvEEbEEEE10hipError_tPvRmT1_T2_T3_mmT4_T5_P12ihipStream_tbEUlRKfE_EESM_SQ_SR_mSS_SV_bEUlT_E_NS1_11comp_targetILNS1_3genE9ELNS1_11target_archE1100ELNS1_3gpuE3ELNS1_3repE0EEENS1_30default_config_static_selectorELNS0_4arch9wavefront6targetE1EEEvSP_, .Lfunc_end268-_ZN7rocprim17ROCPRIM_400000_NS6detail17trampoline_kernelINS0_14default_configENS1_27lower_bound_config_selectorIfiEEZNS1_14transform_implILb0ES3_S5_N6thrust23THRUST_200600_302600_NS6detail15normal_iteratorINS8_10device_ptrIfEEEENSA_INSB_IiEEEEZNS1_13binary_searchIS3_S5_SD_SD_SF_NS1_21lower_bound_search_opENS9_16wrapped_functionINS0_4lessIvEEbEEEE10hipError_tPvRmT1_T2_T3_mmT4_T5_P12ihipStream_tbEUlRKfE_EESM_SQ_SR_mSS_SV_bEUlT_E_NS1_11comp_targetILNS1_3genE9ELNS1_11target_archE1100ELNS1_3gpuE3ELNS1_3repE0EEENS1_30default_config_static_selectorELNS0_4arch9wavefront6targetE1EEEvSP_
                                        ; -- End function
	.section	.AMDGPU.csdata,"",@progbits
; Kernel info:
; codeLenInByte = 0
; NumSgprs: 4
; NumVgprs: 0
; NumAgprs: 0
; TotalNumVgprs: 0
; ScratchSize: 0
; MemoryBound: 0
; FloatMode: 240
; IeeeMode: 1
; LDSByteSize: 0 bytes/workgroup (compile time only)
; SGPRBlocks: 0
; VGPRBlocks: 0
; NumSGPRsForWavesPerEU: 4
; NumVGPRsForWavesPerEU: 1
; AccumOffset: 4
; Occupancy: 8
; WaveLimiterHint : 0
; COMPUTE_PGM_RSRC2:SCRATCH_EN: 0
; COMPUTE_PGM_RSRC2:USER_SGPR: 6
; COMPUTE_PGM_RSRC2:TRAP_HANDLER: 0
; COMPUTE_PGM_RSRC2:TGID_X_EN: 1
; COMPUTE_PGM_RSRC2:TGID_Y_EN: 0
; COMPUTE_PGM_RSRC2:TGID_Z_EN: 0
; COMPUTE_PGM_RSRC2:TIDIG_COMP_CNT: 0
; COMPUTE_PGM_RSRC3_GFX90A:ACCUM_OFFSET: 0
; COMPUTE_PGM_RSRC3_GFX90A:TG_SPLIT: 0
	.section	.text._ZN7rocprim17ROCPRIM_400000_NS6detail17trampoline_kernelINS0_14default_configENS1_27lower_bound_config_selectorIfiEEZNS1_14transform_implILb0ES3_S5_N6thrust23THRUST_200600_302600_NS6detail15normal_iteratorINS8_10device_ptrIfEEEENSA_INSB_IiEEEEZNS1_13binary_searchIS3_S5_SD_SD_SF_NS1_21lower_bound_search_opENS9_16wrapped_functionINS0_4lessIvEEbEEEE10hipError_tPvRmT1_T2_T3_mmT4_T5_P12ihipStream_tbEUlRKfE_EESM_SQ_SR_mSS_SV_bEUlT_E_NS1_11comp_targetILNS1_3genE8ELNS1_11target_archE1030ELNS1_3gpuE2ELNS1_3repE0EEENS1_30default_config_static_selectorELNS0_4arch9wavefront6targetE1EEEvSP_,"axG",@progbits,_ZN7rocprim17ROCPRIM_400000_NS6detail17trampoline_kernelINS0_14default_configENS1_27lower_bound_config_selectorIfiEEZNS1_14transform_implILb0ES3_S5_N6thrust23THRUST_200600_302600_NS6detail15normal_iteratorINS8_10device_ptrIfEEEENSA_INSB_IiEEEEZNS1_13binary_searchIS3_S5_SD_SD_SF_NS1_21lower_bound_search_opENS9_16wrapped_functionINS0_4lessIvEEbEEEE10hipError_tPvRmT1_T2_T3_mmT4_T5_P12ihipStream_tbEUlRKfE_EESM_SQ_SR_mSS_SV_bEUlT_E_NS1_11comp_targetILNS1_3genE8ELNS1_11target_archE1030ELNS1_3gpuE2ELNS1_3repE0EEENS1_30default_config_static_selectorELNS0_4arch9wavefront6targetE1EEEvSP_,comdat
	.protected	_ZN7rocprim17ROCPRIM_400000_NS6detail17trampoline_kernelINS0_14default_configENS1_27lower_bound_config_selectorIfiEEZNS1_14transform_implILb0ES3_S5_N6thrust23THRUST_200600_302600_NS6detail15normal_iteratorINS8_10device_ptrIfEEEENSA_INSB_IiEEEEZNS1_13binary_searchIS3_S5_SD_SD_SF_NS1_21lower_bound_search_opENS9_16wrapped_functionINS0_4lessIvEEbEEEE10hipError_tPvRmT1_T2_T3_mmT4_T5_P12ihipStream_tbEUlRKfE_EESM_SQ_SR_mSS_SV_bEUlT_E_NS1_11comp_targetILNS1_3genE8ELNS1_11target_archE1030ELNS1_3gpuE2ELNS1_3repE0EEENS1_30default_config_static_selectorELNS0_4arch9wavefront6targetE1EEEvSP_ ; -- Begin function _ZN7rocprim17ROCPRIM_400000_NS6detail17trampoline_kernelINS0_14default_configENS1_27lower_bound_config_selectorIfiEEZNS1_14transform_implILb0ES3_S5_N6thrust23THRUST_200600_302600_NS6detail15normal_iteratorINS8_10device_ptrIfEEEENSA_INSB_IiEEEEZNS1_13binary_searchIS3_S5_SD_SD_SF_NS1_21lower_bound_search_opENS9_16wrapped_functionINS0_4lessIvEEbEEEE10hipError_tPvRmT1_T2_T3_mmT4_T5_P12ihipStream_tbEUlRKfE_EESM_SQ_SR_mSS_SV_bEUlT_E_NS1_11comp_targetILNS1_3genE8ELNS1_11target_archE1030ELNS1_3gpuE2ELNS1_3repE0EEENS1_30default_config_static_selectorELNS0_4arch9wavefront6targetE1EEEvSP_
	.globl	_ZN7rocprim17ROCPRIM_400000_NS6detail17trampoline_kernelINS0_14default_configENS1_27lower_bound_config_selectorIfiEEZNS1_14transform_implILb0ES3_S5_N6thrust23THRUST_200600_302600_NS6detail15normal_iteratorINS8_10device_ptrIfEEEENSA_INSB_IiEEEEZNS1_13binary_searchIS3_S5_SD_SD_SF_NS1_21lower_bound_search_opENS9_16wrapped_functionINS0_4lessIvEEbEEEE10hipError_tPvRmT1_T2_T3_mmT4_T5_P12ihipStream_tbEUlRKfE_EESM_SQ_SR_mSS_SV_bEUlT_E_NS1_11comp_targetILNS1_3genE8ELNS1_11target_archE1030ELNS1_3gpuE2ELNS1_3repE0EEENS1_30default_config_static_selectorELNS0_4arch9wavefront6targetE1EEEvSP_
	.p2align	8
	.type	_ZN7rocprim17ROCPRIM_400000_NS6detail17trampoline_kernelINS0_14default_configENS1_27lower_bound_config_selectorIfiEEZNS1_14transform_implILb0ES3_S5_N6thrust23THRUST_200600_302600_NS6detail15normal_iteratorINS8_10device_ptrIfEEEENSA_INSB_IiEEEEZNS1_13binary_searchIS3_S5_SD_SD_SF_NS1_21lower_bound_search_opENS9_16wrapped_functionINS0_4lessIvEEbEEEE10hipError_tPvRmT1_T2_T3_mmT4_T5_P12ihipStream_tbEUlRKfE_EESM_SQ_SR_mSS_SV_bEUlT_E_NS1_11comp_targetILNS1_3genE8ELNS1_11target_archE1030ELNS1_3gpuE2ELNS1_3repE0EEENS1_30default_config_static_selectorELNS0_4arch9wavefront6targetE1EEEvSP_,@function
_ZN7rocprim17ROCPRIM_400000_NS6detail17trampoline_kernelINS0_14default_configENS1_27lower_bound_config_selectorIfiEEZNS1_14transform_implILb0ES3_S5_N6thrust23THRUST_200600_302600_NS6detail15normal_iteratorINS8_10device_ptrIfEEEENSA_INSB_IiEEEEZNS1_13binary_searchIS3_S5_SD_SD_SF_NS1_21lower_bound_search_opENS9_16wrapped_functionINS0_4lessIvEEbEEEE10hipError_tPvRmT1_T2_T3_mmT4_T5_P12ihipStream_tbEUlRKfE_EESM_SQ_SR_mSS_SV_bEUlT_E_NS1_11comp_targetILNS1_3genE8ELNS1_11target_archE1030ELNS1_3gpuE2ELNS1_3repE0EEENS1_30default_config_static_selectorELNS0_4arch9wavefront6targetE1EEEvSP_: ; @_ZN7rocprim17ROCPRIM_400000_NS6detail17trampoline_kernelINS0_14default_configENS1_27lower_bound_config_selectorIfiEEZNS1_14transform_implILb0ES3_S5_N6thrust23THRUST_200600_302600_NS6detail15normal_iteratorINS8_10device_ptrIfEEEENSA_INSB_IiEEEEZNS1_13binary_searchIS3_S5_SD_SD_SF_NS1_21lower_bound_search_opENS9_16wrapped_functionINS0_4lessIvEEbEEEE10hipError_tPvRmT1_T2_T3_mmT4_T5_P12ihipStream_tbEUlRKfE_EESM_SQ_SR_mSS_SV_bEUlT_E_NS1_11comp_targetILNS1_3genE8ELNS1_11target_archE1030ELNS1_3gpuE2ELNS1_3repE0EEENS1_30default_config_static_selectorELNS0_4arch9wavefront6targetE1EEEvSP_
; %bb.0:
	.section	.rodata,"a",@progbits
	.p2align	6, 0x0
	.amdhsa_kernel _ZN7rocprim17ROCPRIM_400000_NS6detail17trampoline_kernelINS0_14default_configENS1_27lower_bound_config_selectorIfiEEZNS1_14transform_implILb0ES3_S5_N6thrust23THRUST_200600_302600_NS6detail15normal_iteratorINS8_10device_ptrIfEEEENSA_INSB_IiEEEEZNS1_13binary_searchIS3_S5_SD_SD_SF_NS1_21lower_bound_search_opENS9_16wrapped_functionINS0_4lessIvEEbEEEE10hipError_tPvRmT1_T2_T3_mmT4_T5_P12ihipStream_tbEUlRKfE_EESM_SQ_SR_mSS_SV_bEUlT_E_NS1_11comp_targetILNS1_3genE8ELNS1_11target_archE1030ELNS1_3gpuE2ELNS1_3repE0EEENS1_30default_config_static_selectorELNS0_4arch9wavefront6targetE1EEEvSP_
		.amdhsa_group_segment_fixed_size 0
		.amdhsa_private_segment_fixed_size 0
		.amdhsa_kernarg_size 56
		.amdhsa_user_sgpr_count 6
		.amdhsa_user_sgpr_private_segment_buffer 1
		.amdhsa_user_sgpr_dispatch_ptr 0
		.amdhsa_user_sgpr_queue_ptr 0
		.amdhsa_user_sgpr_kernarg_segment_ptr 1
		.amdhsa_user_sgpr_dispatch_id 0
		.amdhsa_user_sgpr_flat_scratch_init 0
		.amdhsa_user_sgpr_kernarg_preload_length 0
		.amdhsa_user_sgpr_kernarg_preload_offset 0
		.amdhsa_user_sgpr_private_segment_size 0
		.amdhsa_uses_dynamic_stack 0
		.amdhsa_system_sgpr_private_segment_wavefront_offset 0
		.amdhsa_system_sgpr_workgroup_id_x 1
		.amdhsa_system_sgpr_workgroup_id_y 0
		.amdhsa_system_sgpr_workgroup_id_z 0
		.amdhsa_system_sgpr_workgroup_info 0
		.amdhsa_system_vgpr_workitem_id 0
		.amdhsa_next_free_vgpr 1
		.amdhsa_next_free_sgpr 0
		.amdhsa_accum_offset 4
		.amdhsa_reserve_vcc 0
		.amdhsa_reserve_flat_scratch 0
		.amdhsa_float_round_mode_32 0
		.amdhsa_float_round_mode_16_64 0
		.amdhsa_float_denorm_mode_32 3
		.amdhsa_float_denorm_mode_16_64 3
		.amdhsa_dx10_clamp 1
		.amdhsa_ieee_mode 1
		.amdhsa_fp16_overflow 0
		.amdhsa_tg_split 0
		.amdhsa_exception_fp_ieee_invalid_op 0
		.amdhsa_exception_fp_denorm_src 0
		.amdhsa_exception_fp_ieee_div_zero 0
		.amdhsa_exception_fp_ieee_overflow 0
		.amdhsa_exception_fp_ieee_underflow 0
		.amdhsa_exception_fp_ieee_inexact 0
		.amdhsa_exception_int_div_zero 0
	.end_amdhsa_kernel
	.section	.text._ZN7rocprim17ROCPRIM_400000_NS6detail17trampoline_kernelINS0_14default_configENS1_27lower_bound_config_selectorIfiEEZNS1_14transform_implILb0ES3_S5_N6thrust23THRUST_200600_302600_NS6detail15normal_iteratorINS8_10device_ptrIfEEEENSA_INSB_IiEEEEZNS1_13binary_searchIS3_S5_SD_SD_SF_NS1_21lower_bound_search_opENS9_16wrapped_functionINS0_4lessIvEEbEEEE10hipError_tPvRmT1_T2_T3_mmT4_T5_P12ihipStream_tbEUlRKfE_EESM_SQ_SR_mSS_SV_bEUlT_E_NS1_11comp_targetILNS1_3genE8ELNS1_11target_archE1030ELNS1_3gpuE2ELNS1_3repE0EEENS1_30default_config_static_selectorELNS0_4arch9wavefront6targetE1EEEvSP_,"axG",@progbits,_ZN7rocprim17ROCPRIM_400000_NS6detail17trampoline_kernelINS0_14default_configENS1_27lower_bound_config_selectorIfiEEZNS1_14transform_implILb0ES3_S5_N6thrust23THRUST_200600_302600_NS6detail15normal_iteratorINS8_10device_ptrIfEEEENSA_INSB_IiEEEEZNS1_13binary_searchIS3_S5_SD_SD_SF_NS1_21lower_bound_search_opENS9_16wrapped_functionINS0_4lessIvEEbEEEE10hipError_tPvRmT1_T2_T3_mmT4_T5_P12ihipStream_tbEUlRKfE_EESM_SQ_SR_mSS_SV_bEUlT_E_NS1_11comp_targetILNS1_3genE8ELNS1_11target_archE1030ELNS1_3gpuE2ELNS1_3repE0EEENS1_30default_config_static_selectorELNS0_4arch9wavefront6targetE1EEEvSP_,comdat
.Lfunc_end269:
	.size	_ZN7rocprim17ROCPRIM_400000_NS6detail17trampoline_kernelINS0_14default_configENS1_27lower_bound_config_selectorIfiEEZNS1_14transform_implILb0ES3_S5_N6thrust23THRUST_200600_302600_NS6detail15normal_iteratorINS8_10device_ptrIfEEEENSA_INSB_IiEEEEZNS1_13binary_searchIS3_S5_SD_SD_SF_NS1_21lower_bound_search_opENS9_16wrapped_functionINS0_4lessIvEEbEEEE10hipError_tPvRmT1_T2_T3_mmT4_T5_P12ihipStream_tbEUlRKfE_EESM_SQ_SR_mSS_SV_bEUlT_E_NS1_11comp_targetILNS1_3genE8ELNS1_11target_archE1030ELNS1_3gpuE2ELNS1_3repE0EEENS1_30default_config_static_selectorELNS0_4arch9wavefront6targetE1EEEvSP_, .Lfunc_end269-_ZN7rocprim17ROCPRIM_400000_NS6detail17trampoline_kernelINS0_14default_configENS1_27lower_bound_config_selectorIfiEEZNS1_14transform_implILb0ES3_S5_N6thrust23THRUST_200600_302600_NS6detail15normal_iteratorINS8_10device_ptrIfEEEENSA_INSB_IiEEEEZNS1_13binary_searchIS3_S5_SD_SD_SF_NS1_21lower_bound_search_opENS9_16wrapped_functionINS0_4lessIvEEbEEEE10hipError_tPvRmT1_T2_T3_mmT4_T5_P12ihipStream_tbEUlRKfE_EESM_SQ_SR_mSS_SV_bEUlT_E_NS1_11comp_targetILNS1_3genE8ELNS1_11target_archE1030ELNS1_3gpuE2ELNS1_3repE0EEENS1_30default_config_static_selectorELNS0_4arch9wavefront6targetE1EEEvSP_
                                        ; -- End function
	.section	.AMDGPU.csdata,"",@progbits
; Kernel info:
; codeLenInByte = 0
; NumSgprs: 4
; NumVgprs: 0
; NumAgprs: 0
; TotalNumVgprs: 0
; ScratchSize: 0
; MemoryBound: 0
; FloatMode: 240
; IeeeMode: 1
; LDSByteSize: 0 bytes/workgroup (compile time only)
; SGPRBlocks: 0
; VGPRBlocks: 0
; NumSGPRsForWavesPerEU: 4
; NumVGPRsForWavesPerEU: 1
; AccumOffset: 4
; Occupancy: 8
; WaveLimiterHint : 0
; COMPUTE_PGM_RSRC2:SCRATCH_EN: 0
; COMPUTE_PGM_RSRC2:USER_SGPR: 6
; COMPUTE_PGM_RSRC2:TRAP_HANDLER: 0
; COMPUTE_PGM_RSRC2:TGID_X_EN: 1
; COMPUTE_PGM_RSRC2:TGID_Y_EN: 0
; COMPUTE_PGM_RSRC2:TGID_Z_EN: 0
; COMPUTE_PGM_RSRC2:TIDIG_COMP_CNT: 0
; COMPUTE_PGM_RSRC3_GFX90A:ACCUM_OFFSET: 0
; COMPUTE_PGM_RSRC3_GFX90A:TG_SPLIT: 0
	.section	.text._ZN6thrust23THRUST_200600_302600_NS11hip_rocprim14__parallel_for6kernelILj256ENS1_10__tabulate7functorINS0_6detail15normal_iteratorINS0_10device_ptrIyEEEENS0_6system6detail7generic6detail22compute_sequence_valueIyvEElEElLj1EEEvT0_T1_SJ_,"axG",@progbits,_ZN6thrust23THRUST_200600_302600_NS11hip_rocprim14__parallel_for6kernelILj256ENS1_10__tabulate7functorINS0_6detail15normal_iteratorINS0_10device_ptrIyEEEENS0_6system6detail7generic6detail22compute_sequence_valueIyvEElEElLj1EEEvT0_T1_SJ_,comdat
	.protected	_ZN6thrust23THRUST_200600_302600_NS11hip_rocprim14__parallel_for6kernelILj256ENS1_10__tabulate7functorINS0_6detail15normal_iteratorINS0_10device_ptrIyEEEENS0_6system6detail7generic6detail22compute_sequence_valueIyvEElEElLj1EEEvT0_T1_SJ_ ; -- Begin function _ZN6thrust23THRUST_200600_302600_NS11hip_rocprim14__parallel_for6kernelILj256ENS1_10__tabulate7functorINS0_6detail15normal_iteratorINS0_10device_ptrIyEEEENS0_6system6detail7generic6detail22compute_sequence_valueIyvEElEElLj1EEEvT0_T1_SJ_
	.globl	_ZN6thrust23THRUST_200600_302600_NS11hip_rocprim14__parallel_for6kernelILj256ENS1_10__tabulate7functorINS0_6detail15normal_iteratorINS0_10device_ptrIyEEEENS0_6system6detail7generic6detail22compute_sequence_valueIyvEElEElLj1EEEvT0_T1_SJ_
	.p2align	8
	.type	_ZN6thrust23THRUST_200600_302600_NS11hip_rocprim14__parallel_for6kernelILj256ENS1_10__tabulate7functorINS0_6detail15normal_iteratorINS0_10device_ptrIyEEEENS0_6system6detail7generic6detail22compute_sequence_valueIyvEElEElLj1EEEvT0_T1_SJ_,@function
_ZN6thrust23THRUST_200600_302600_NS11hip_rocprim14__parallel_for6kernelILj256ENS1_10__tabulate7functorINS0_6detail15normal_iteratorINS0_10device_ptrIyEEEENS0_6system6detail7generic6detail22compute_sequence_valueIyvEElEElLj1EEEvT0_T1_SJ_: ; @_ZN6thrust23THRUST_200600_302600_NS11hip_rocprim14__parallel_for6kernelILj256ENS1_10__tabulate7functorINS0_6detail15normal_iteratorINS0_10device_ptrIyEEEENS0_6system6detail7generic6detail22compute_sequence_valueIyvEElEElLj1EEEvT0_T1_SJ_
; %bb.0:
	s_load_dwordx4 s[8:11], s[4:5], 0x18
	s_lshl_b32 s0, s6, 8
	v_mov_b32_e32 v2, 0x100
	v_mov_b32_e32 v3, 0
	s_waitcnt lgkmcnt(0)
	s_add_u32 s0, s0, s10
	s_addc_u32 s1, 0, s11
	s_sub_u32 s2, s8, s0
	s_subb_u32 s3, s9, s1
	v_cmp_lt_i64_e32 vcc, s[2:3], v[2:3]
	s_and_b64 s[6:7], vcc, exec
	s_cselect_b32 s6, s2, 0x100
	s_cmpk_eq_i32 s6, 0x100
	s_cselect_b64 s[2:3], -1, 0
	v_cmp_gt_u32_e32 vcc, s6, v0
	s_or_b64 s[2:3], s[2:3], vcc
	s_and_saveexec_b64 s[6:7], s[2:3]
	s_cbranch_execz .LBB270_2
; %bb.1:
	s_load_dwordx4 s[8:11], s[4:5], 0x0
	s_load_dwordx2 s[2:3], s[4:5], 0x10
	v_mov_b32_e32 v1, s1
	v_add_co_u32_e32 v0, vcc, s0, v0
	s_waitcnt lgkmcnt(0)
	v_mov_b32_e32 v2, s10
	v_mov_b32_e32 v3, s11
	v_addc_co_u32_e32 v1, vcc, 0, v1, vcc
	v_mad_u64_u32 v[2:3], s[0:1], s2, v0, v[2:3]
	v_mul_lo_u32 v4, s2, v1
	v_mul_lo_u32 v5, s3, v0
	v_lshlrev_b64 v[0:1], 3, v[0:1]
	v_add3_u32 v3, v5, v3, v4
	v_mov_b32_e32 v4, s9
	v_add_co_u32_e32 v0, vcc, s8, v0
	v_addc_co_u32_e32 v1, vcc, v4, v1, vcc
	flat_store_dwordx2 v[0:1], v[2:3]
.LBB270_2:
	s_endpgm
	.section	.rodata,"a",@progbits
	.p2align	6, 0x0
	.amdhsa_kernel _ZN6thrust23THRUST_200600_302600_NS11hip_rocprim14__parallel_for6kernelILj256ENS1_10__tabulate7functorINS0_6detail15normal_iteratorINS0_10device_ptrIyEEEENS0_6system6detail7generic6detail22compute_sequence_valueIyvEElEElLj1EEEvT0_T1_SJ_
		.amdhsa_group_segment_fixed_size 0
		.amdhsa_private_segment_fixed_size 0
		.amdhsa_kernarg_size 40
		.amdhsa_user_sgpr_count 6
		.amdhsa_user_sgpr_private_segment_buffer 1
		.amdhsa_user_sgpr_dispatch_ptr 0
		.amdhsa_user_sgpr_queue_ptr 0
		.amdhsa_user_sgpr_kernarg_segment_ptr 1
		.amdhsa_user_sgpr_dispatch_id 0
		.amdhsa_user_sgpr_flat_scratch_init 0
		.amdhsa_user_sgpr_kernarg_preload_length 0
		.amdhsa_user_sgpr_kernarg_preload_offset 0
		.amdhsa_user_sgpr_private_segment_size 0
		.amdhsa_uses_dynamic_stack 0
		.amdhsa_system_sgpr_private_segment_wavefront_offset 0
		.amdhsa_system_sgpr_workgroup_id_x 1
		.amdhsa_system_sgpr_workgroup_id_y 0
		.amdhsa_system_sgpr_workgroup_id_z 0
		.amdhsa_system_sgpr_workgroup_info 0
		.amdhsa_system_vgpr_workitem_id 0
		.amdhsa_next_free_vgpr 6
		.amdhsa_next_free_sgpr 12
		.amdhsa_accum_offset 8
		.amdhsa_reserve_vcc 1
		.amdhsa_reserve_flat_scratch 0
		.amdhsa_float_round_mode_32 0
		.amdhsa_float_round_mode_16_64 0
		.amdhsa_float_denorm_mode_32 3
		.amdhsa_float_denorm_mode_16_64 3
		.amdhsa_dx10_clamp 1
		.amdhsa_ieee_mode 1
		.amdhsa_fp16_overflow 0
		.amdhsa_tg_split 0
		.amdhsa_exception_fp_ieee_invalid_op 0
		.amdhsa_exception_fp_denorm_src 0
		.amdhsa_exception_fp_ieee_div_zero 0
		.amdhsa_exception_fp_ieee_overflow 0
		.amdhsa_exception_fp_ieee_underflow 0
		.amdhsa_exception_fp_ieee_inexact 0
		.amdhsa_exception_int_div_zero 0
	.end_amdhsa_kernel
	.section	.text._ZN6thrust23THRUST_200600_302600_NS11hip_rocprim14__parallel_for6kernelILj256ENS1_10__tabulate7functorINS0_6detail15normal_iteratorINS0_10device_ptrIyEEEENS0_6system6detail7generic6detail22compute_sequence_valueIyvEElEElLj1EEEvT0_T1_SJ_,"axG",@progbits,_ZN6thrust23THRUST_200600_302600_NS11hip_rocprim14__parallel_for6kernelILj256ENS1_10__tabulate7functorINS0_6detail15normal_iteratorINS0_10device_ptrIyEEEENS0_6system6detail7generic6detail22compute_sequence_valueIyvEElEElLj1EEEvT0_T1_SJ_,comdat
.Lfunc_end270:
	.size	_ZN6thrust23THRUST_200600_302600_NS11hip_rocprim14__parallel_for6kernelILj256ENS1_10__tabulate7functorINS0_6detail15normal_iteratorINS0_10device_ptrIyEEEENS0_6system6detail7generic6detail22compute_sequence_valueIyvEElEElLj1EEEvT0_T1_SJ_, .Lfunc_end270-_ZN6thrust23THRUST_200600_302600_NS11hip_rocprim14__parallel_for6kernelILj256ENS1_10__tabulate7functorINS0_6detail15normal_iteratorINS0_10device_ptrIyEEEENS0_6system6detail7generic6detail22compute_sequence_valueIyvEElEElLj1EEEvT0_T1_SJ_
                                        ; -- End function
	.section	.AMDGPU.csdata,"",@progbits
; Kernel info:
; codeLenInByte = 188
; NumSgprs: 16
; NumVgprs: 6
; NumAgprs: 0
; TotalNumVgprs: 6
; ScratchSize: 0
; MemoryBound: 0
; FloatMode: 240
; IeeeMode: 1
; LDSByteSize: 0 bytes/workgroup (compile time only)
; SGPRBlocks: 1
; VGPRBlocks: 0
; NumSGPRsForWavesPerEU: 16
; NumVGPRsForWavesPerEU: 6
; AccumOffset: 8
; Occupancy: 8
; WaveLimiterHint : 0
; COMPUTE_PGM_RSRC2:SCRATCH_EN: 0
; COMPUTE_PGM_RSRC2:USER_SGPR: 6
; COMPUTE_PGM_RSRC2:TRAP_HANDLER: 0
; COMPUTE_PGM_RSRC2:TGID_X_EN: 1
; COMPUTE_PGM_RSRC2:TGID_Y_EN: 0
; COMPUTE_PGM_RSRC2:TGID_Z_EN: 0
; COMPUTE_PGM_RSRC2:TIDIG_COMP_CNT: 0
; COMPUTE_PGM_RSRC3_GFX90A:ACCUM_OFFSET: 1
; COMPUTE_PGM_RSRC3_GFX90A:TG_SPLIT: 0
	.section	.text._ZN7rocprim17ROCPRIM_400000_NS6detail17trampoline_kernelINS0_14default_configENS1_27lower_bound_config_selectorIyiEEZNS1_14transform_implILb0ES3_S5_N6thrust23THRUST_200600_302600_NS6detail15normal_iteratorINS8_10device_ptrIyEEEENSA_INSB_IiEEEEZNS1_13binary_searchIS3_S5_SD_SD_SF_NS1_21lower_bound_search_opENS9_16wrapped_functionINS0_4lessIvEEbEEEE10hipError_tPvRmT1_T2_T3_mmT4_T5_P12ihipStream_tbEUlRKyE_EESM_SQ_SR_mSS_SV_bEUlT_E_NS1_11comp_targetILNS1_3genE0ELNS1_11target_archE4294967295ELNS1_3gpuE0ELNS1_3repE0EEENS1_30default_config_static_selectorELNS0_4arch9wavefront6targetE1EEEvSP_,"axG",@progbits,_ZN7rocprim17ROCPRIM_400000_NS6detail17trampoline_kernelINS0_14default_configENS1_27lower_bound_config_selectorIyiEEZNS1_14transform_implILb0ES3_S5_N6thrust23THRUST_200600_302600_NS6detail15normal_iteratorINS8_10device_ptrIyEEEENSA_INSB_IiEEEEZNS1_13binary_searchIS3_S5_SD_SD_SF_NS1_21lower_bound_search_opENS9_16wrapped_functionINS0_4lessIvEEbEEEE10hipError_tPvRmT1_T2_T3_mmT4_T5_P12ihipStream_tbEUlRKyE_EESM_SQ_SR_mSS_SV_bEUlT_E_NS1_11comp_targetILNS1_3genE0ELNS1_11target_archE4294967295ELNS1_3gpuE0ELNS1_3repE0EEENS1_30default_config_static_selectorELNS0_4arch9wavefront6targetE1EEEvSP_,comdat
	.protected	_ZN7rocprim17ROCPRIM_400000_NS6detail17trampoline_kernelINS0_14default_configENS1_27lower_bound_config_selectorIyiEEZNS1_14transform_implILb0ES3_S5_N6thrust23THRUST_200600_302600_NS6detail15normal_iteratorINS8_10device_ptrIyEEEENSA_INSB_IiEEEEZNS1_13binary_searchIS3_S5_SD_SD_SF_NS1_21lower_bound_search_opENS9_16wrapped_functionINS0_4lessIvEEbEEEE10hipError_tPvRmT1_T2_T3_mmT4_T5_P12ihipStream_tbEUlRKyE_EESM_SQ_SR_mSS_SV_bEUlT_E_NS1_11comp_targetILNS1_3genE0ELNS1_11target_archE4294967295ELNS1_3gpuE0ELNS1_3repE0EEENS1_30default_config_static_selectorELNS0_4arch9wavefront6targetE1EEEvSP_ ; -- Begin function _ZN7rocprim17ROCPRIM_400000_NS6detail17trampoline_kernelINS0_14default_configENS1_27lower_bound_config_selectorIyiEEZNS1_14transform_implILb0ES3_S5_N6thrust23THRUST_200600_302600_NS6detail15normal_iteratorINS8_10device_ptrIyEEEENSA_INSB_IiEEEEZNS1_13binary_searchIS3_S5_SD_SD_SF_NS1_21lower_bound_search_opENS9_16wrapped_functionINS0_4lessIvEEbEEEE10hipError_tPvRmT1_T2_T3_mmT4_T5_P12ihipStream_tbEUlRKyE_EESM_SQ_SR_mSS_SV_bEUlT_E_NS1_11comp_targetILNS1_3genE0ELNS1_11target_archE4294967295ELNS1_3gpuE0ELNS1_3repE0EEENS1_30default_config_static_selectorELNS0_4arch9wavefront6targetE1EEEvSP_
	.globl	_ZN7rocprim17ROCPRIM_400000_NS6detail17trampoline_kernelINS0_14default_configENS1_27lower_bound_config_selectorIyiEEZNS1_14transform_implILb0ES3_S5_N6thrust23THRUST_200600_302600_NS6detail15normal_iteratorINS8_10device_ptrIyEEEENSA_INSB_IiEEEEZNS1_13binary_searchIS3_S5_SD_SD_SF_NS1_21lower_bound_search_opENS9_16wrapped_functionINS0_4lessIvEEbEEEE10hipError_tPvRmT1_T2_T3_mmT4_T5_P12ihipStream_tbEUlRKyE_EESM_SQ_SR_mSS_SV_bEUlT_E_NS1_11comp_targetILNS1_3genE0ELNS1_11target_archE4294967295ELNS1_3gpuE0ELNS1_3repE0EEENS1_30default_config_static_selectorELNS0_4arch9wavefront6targetE1EEEvSP_
	.p2align	8
	.type	_ZN7rocprim17ROCPRIM_400000_NS6detail17trampoline_kernelINS0_14default_configENS1_27lower_bound_config_selectorIyiEEZNS1_14transform_implILb0ES3_S5_N6thrust23THRUST_200600_302600_NS6detail15normal_iteratorINS8_10device_ptrIyEEEENSA_INSB_IiEEEEZNS1_13binary_searchIS3_S5_SD_SD_SF_NS1_21lower_bound_search_opENS9_16wrapped_functionINS0_4lessIvEEbEEEE10hipError_tPvRmT1_T2_T3_mmT4_T5_P12ihipStream_tbEUlRKyE_EESM_SQ_SR_mSS_SV_bEUlT_E_NS1_11comp_targetILNS1_3genE0ELNS1_11target_archE4294967295ELNS1_3gpuE0ELNS1_3repE0EEENS1_30default_config_static_selectorELNS0_4arch9wavefront6targetE1EEEvSP_,@function
_ZN7rocprim17ROCPRIM_400000_NS6detail17trampoline_kernelINS0_14default_configENS1_27lower_bound_config_selectorIyiEEZNS1_14transform_implILb0ES3_S5_N6thrust23THRUST_200600_302600_NS6detail15normal_iteratorINS8_10device_ptrIyEEEENSA_INSB_IiEEEEZNS1_13binary_searchIS3_S5_SD_SD_SF_NS1_21lower_bound_search_opENS9_16wrapped_functionINS0_4lessIvEEbEEEE10hipError_tPvRmT1_T2_T3_mmT4_T5_P12ihipStream_tbEUlRKyE_EESM_SQ_SR_mSS_SV_bEUlT_E_NS1_11comp_targetILNS1_3genE0ELNS1_11target_archE4294967295ELNS1_3gpuE0ELNS1_3repE0EEENS1_30default_config_static_selectorELNS0_4arch9wavefront6targetE1EEEvSP_: ; @_ZN7rocprim17ROCPRIM_400000_NS6detail17trampoline_kernelINS0_14default_configENS1_27lower_bound_config_selectorIyiEEZNS1_14transform_implILb0ES3_S5_N6thrust23THRUST_200600_302600_NS6detail15normal_iteratorINS8_10device_ptrIyEEEENSA_INSB_IiEEEEZNS1_13binary_searchIS3_S5_SD_SD_SF_NS1_21lower_bound_search_opENS9_16wrapped_functionINS0_4lessIvEEbEEEE10hipError_tPvRmT1_T2_T3_mmT4_T5_P12ihipStream_tbEUlRKyE_EESM_SQ_SR_mSS_SV_bEUlT_E_NS1_11comp_targetILNS1_3genE0ELNS1_11target_archE4294967295ELNS1_3gpuE0ELNS1_3repE0EEENS1_30default_config_static_selectorELNS0_4arch9wavefront6targetE1EEEvSP_
; %bb.0:
	.section	.rodata,"a",@progbits
	.p2align	6, 0x0
	.amdhsa_kernel _ZN7rocprim17ROCPRIM_400000_NS6detail17trampoline_kernelINS0_14default_configENS1_27lower_bound_config_selectorIyiEEZNS1_14transform_implILb0ES3_S5_N6thrust23THRUST_200600_302600_NS6detail15normal_iteratorINS8_10device_ptrIyEEEENSA_INSB_IiEEEEZNS1_13binary_searchIS3_S5_SD_SD_SF_NS1_21lower_bound_search_opENS9_16wrapped_functionINS0_4lessIvEEbEEEE10hipError_tPvRmT1_T2_T3_mmT4_T5_P12ihipStream_tbEUlRKyE_EESM_SQ_SR_mSS_SV_bEUlT_E_NS1_11comp_targetILNS1_3genE0ELNS1_11target_archE4294967295ELNS1_3gpuE0ELNS1_3repE0EEENS1_30default_config_static_selectorELNS0_4arch9wavefront6targetE1EEEvSP_
		.amdhsa_group_segment_fixed_size 0
		.amdhsa_private_segment_fixed_size 0
		.amdhsa_kernarg_size 56
		.amdhsa_user_sgpr_count 6
		.amdhsa_user_sgpr_private_segment_buffer 1
		.amdhsa_user_sgpr_dispatch_ptr 0
		.amdhsa_user_sgpr_queue_ptr 0
		.amdhsa_user_sgpr_kernarg_segment_ptr 1
		.amdhsa_user_sgpr_dispatch_id 0
		.amdhsa_user_sgpr_flat_scratch_init 0
		.amdhsa_user_sgpr_kernarg_preload_length 0
		.amdhsa_user_sgpr_kernarg_preload_offset 0
		.amdhsa_user_sgpr_private_segment_size 0
		.amdhsa_uses_dynamic_stack 0
		.amdhsa_system_sgpr_private_segment_wavefront_offset 0
		.amdhsa_system_sgpr_workgroup_id_x 1
		.amdhsa_system_sgpr_workgroup_id_y 0
		.amdhsa_system_sgpr_workgroup_id_z 0
		.amdhsa_system_sgpr_workgroup_info 0
		.amdhsa_system_vgpr_workitem_id 0
		.amdhsa_next_free_vgpr 1
		.amdhsa_next_free_sgpr 0
		.amdhsa_accum_offset 4
		.amdhsa_reserve_vcc 0
		.amdhsa_reserve_flat_scratch 0
		.amdhsa_float_round_mode_32 0
		.amdhsa_float_round_mode_16_64 0
		.amdhsa_float_denorm_mode_32 3
		.amdhsa_float_denorm_mode_16_64 3
		.amdhsa_dx10_clamp 1
		.amdhsa_ieee_mode 1
		.amdhsa_fp16_overflow 0
		.amdhsa_tg_split 0
		.amdhsa_exception_fp_ieee_invalid_op 0
		.amdhsa_exception_fp_denorm_src 0
		.amdhsa_exception_fp_ieee_div_zero 0
		.amdhsa_exception_fp_ieee_overflow 0
		.amdhsa_exception_fp_ieee_underflow 0
		.amdhsa_exception_fp_ieee_inexact 0
		.amdhsa_exception_int_div_zero 0
	.end_amdhsa_kernel
	.section	.text._ZN7rocprim17ROCPRIM_400000_NS6detail17trampoline_kernelINS0_14default_configENS1_27lower_bound_config_selectorIyiEEZNS1_14transform_implILb0ES3_S5_N6thrust23THRUST_200600_302600_NS6detail15normal_iteratorINS8_10device_ptrIyEEEENSA_INSB_IiEEEEZNS1_13binary_searchIS3_S5_SD_SD_SF_NS1_21lower_bound_search_opENS9_16wrapped_functionINS0_4lessIvEEbEEEE10hipError_tPvRmT1_T2_T3_mmT4_T5_P12ihipStream_tbEUlRKyE_EESM_SQ_SR_mSS_SV_bEUlT_E_NS1_11comp_targetILNS1_3genE0ELNS1_11target_archE4294967295ELNS1_3gpuE0ELNS1_3repE0EEENS1_30default_config_static_selectorELNS0_4arch9wavefront6targetE1EEEvSP_,"axG",@progbits,_ZN7rocprim17ROCPRIM_400000_NS6detail17trampoline_kernelINS0_14default_configENS1_27lower_bound_config_selectorIyiEEZNS1_14transform_implILb0ES3_S5_N6thrust23THRUST_200600_302600_NS6detail15normal_iteratorINS8_10device_ptrIyEEEENSA_INSB_IiEEEEZNS1_13binary_searchIS3_S5_SD_SD_SF_NS1_21lower_bound_search_opENS9_16wrapped_functionINS0_4lessIvEEbEEEE10hipError_tPvRmT1_T2_T3_mmT4_T5_P12ihipStream_tbEUlRKyE_EESM_SQ_SR_mSS_SV_bEUlT_E_NS1_11comp_targetILNS1_3genE0ELNS1_11target_archE4294967295ELNS1_3gpuE0ELNS1_3repE0EEENS1_30default_config_static_selectorELNS0_4arch9wavefront6targetE1EEEvSP_,comdat
.Lfunc_end271:
	.size	_ZN7rocprim17ROCPRIM_400000_NS6detail17trampoline_kernelINS0_14default_configENS1_27lower_bound_config_selectorIyiEEZNS1_14transform_implILb0ES3_S5_N6thrust23THRUST_200600_302600_NS6detail15normal_iteratorINS8_10device_ptrIyEEEENSA_INSB_IiEEEEZNS1_13binary_searchIS3_S5_SD_SD_SF_NS1_21lower_bound_search_opENS9_16wrapped_functionINS0_4lessIvEEbEEEE10hipError_tPvRmT1_T2_T3_mmT4_T5_P12ihipStream_tbEUlRKyE_EESM_SQ_SR_mSS_SV_bEUlT_E_NS1_11comp_targetILNS1_3genE0ELNS1_11target_archE4294967295ELNS1_3gpuE0ELNS1_3repE0EEENS1_30default_config_static_selectorELNS0_4arch9wavefront6targetE1EEEvSP_, .Lfunc_end271-_ZN7rocprim17ROCPRIM_400000_NS6detail17trampoline_kernelINS0_14default_configENS1_27lower_bound_config_selectorIyiEEZNS1_14transform_implILb0ES3_S5_N6thrust23THRUST_200600_302600_NS6detail15normal_iteratorINS8_10device_ptrIyEEEENSA_INSB_IiEEEEZNS1_13binary_searchIS3_S5_SD_SD_SF_NS1_21lower_bound_search_opENS9_16wrapped_functionINS0_4lessIvEEbEEEE10hipError_tPvRmT1_T2_T3_mmT4_T5_P12ihipStream_tbEUlRKyE_EESM_SQ_SR_mSS_SV_bEUlT_E_NS1_11comp_targetILNS1_3genE0ELNS1_11target_archE4294967295ELNS1_3gpuE0ELNS1_3repE0EEENS1_30default_config_static_selectorELNS0_4arch9wavefront6targetE1EEEvSP_
                                        ; -- End function
	.section	.AMDGPU.csdata,"",@progbits
; Kernel info:
; codeLenInByte = 0
; NumSgprs: 4
; NumVgprs: 0
; NumAgprs: 0
; TotalNumVgprs: 0
; ScratchSize: 0
; MemoryBound: 0
; FloatMode: 240
; IeeeMode: 1
; LDSByteSize: 0 bytes/workgroup (compile time only)
; SGPRBlocks: 0
; VGPRBlocks: 0
; NumSGPRsForWavesPerEU: 4
; NumVGPRsForWavesPerEU: 1
; AccumOffset: 4
; Occupancy: 8
; WaveLimiterHint : 0
; COMPUTE_PGM_RSRC2:SCRATCH_EN: 0
; COMPUTE_PGM_RSRC2:USER_SGPR: 6
; COMPUTE_PGM_RSRC2:TRAP_HANDLER: 0
; COMPUTE_PGM_RSRC2:TGID_X_EN: 1
; COMPUTE_PGM_RSRC2:TGID_Y_EN: 0
; COMPUTE_PGM_RSRC2:TGID_Z_EN: 0
; COMPUTE_PGM_RSRC2:TIDIG_COMP_CNT: 0
; COMPUTE_PGM_RSRC3_GFX90A:ACCUM_OFFSET: 0
; COMPUTE_PGM_RSRC3_GFX90A:TG_SPLIT: 0
	.section	.text._ZN7rocprim17ROCPRIM_400000_NS6detail17trampoline_kernelINS0_14default_configENS1_27lower_bound_config_selectorIyiEEZNS1_14transform_implILb0ES3_S5_N6thrust23THRUST_200600_302600_NS6detail15normal_iteratorINS8_10device_ptrIyEEEENSA_INSB_IiEEEEZNS1_13binary_searchIS3_S5_SD_SD_SF_NS1_21lower_bound_search_opENS9_16wrapped_functionINS0_4lessIvEEbEEEE10hipError_tPvRmT1_T2_T3_mmT4_T5_P12ihipStream_tbEUlRKyE_EESM_SQ_SR_mSS_SV_bEUlT_E_NS1_11comp_targetILNS1_3genE5ELNS1_11target_archE942ELNS1_3gpuE9ELNS1_3repE0EEENS1_30default_config_static_selectorELNS0_4arch9wavefront6targetE1EEEvSP_,"axG",@progbits,_ZN7rocprim17ROCPRIM_400000_NS6detail17trampoline_kernelINS0_14default_configENS1_27lower_bound_config_selectorIyiEEZNS1_14transform_implILb0ES3_S5_N6thrust23THRUST_200600_302600_NS6detail15normal_iteratorINS8_10device_ptrIyEEEENSA_INSB_IiEEEEZNS1_13binary_searchIS3_S5_SD_SD_SF_NS1_21lower_bound_search_opENS9_16wrapped_functionINS0_4lessIvEEbEEEE10hipError_tPvRmT1_T2_T3_mmT4_T5_P12ihipStream_tbEUlRKyE_EESM_SQ_SR_mSS_SV_bEUlT_E_NS1_11comp_targetILNS1_3genE5ELNS1_11target_archE942ELNS1_3gpuE9ELNS1_3repE0EEENS1_30default_config_static_selectorELNS0_4arch9wavefront6targetE1EEEvSP_,comdat
	.protected	_ZN7rocprim17ROCPRIM_400000_NS6detail17trampoline_kernelINS0_14default_configENS1_27lower_bound_config_selectorIyiEEZNS1_14transform_implILb0ES3_S5_N6thrust23THRUST_200600_302600_NS6detail15normal_iteratorINS8_10device_ptrIyEEEENSA_INSB_IiEEEEZNS1_13binary_searchIS3_S5_SD_SD_SF_NS1_21lower_bound_search_opENS9_16wrapped_functionINS0_4lessIvEEbEEEE10hipError_tPvRmT1_T2_T3_mmT4_T5_P12ihipStream_tbEUlRKyE_EESM_SQ_SR_mSS_SV_bEUlT_E_NS1_11comp_targetILNS1_3genE5ELNS1_11target_archE942ELNS1_3gpuE9ELNS1_3repE0EEENS1_30default_config_static_selectorELNS0_4arch9wavefront6targetE1EEEvSP_ ; -- Begin function _ZN7rocprim17ROCPRIM_400000_NS6detail17trampoline_kernelINS0_14default_configENS1_27lower_bound_config_selectorIyiEEZNS1_14transform_implILb0ES3_S5_N6thrust23THRUST_200600_302600_NS6detail15normal_iteratorINS8_10device_ptrIyEEEENSA_INSB_IiEEEEZNS1_13binary_searchIS3_S5_SD_SD_SF_NS1_21lower_bound_search_opENS9_16wrapped_functionINS0_4lessIvEEbEEEE10hipError_tPvRmT1_T2_T3_mmT4_T5_P12ihipStream_tbEUlRKyE_EESM_SQ_SR_mSS_SV_bEUlT_E_NS1_11comp_targetILNS1_3genE5ELNS1_11target_archE942ELNS1_3gpuE9ELNS1_3repE0EEENS1_30default_config_static_selectorELNS0_4arch9wavefront6targetE1EEEvSP_
	.globl	_ZN7rocprim17ROCPRIM_400000_NS6detail17trampoline_kernelINS0_14default_configENS1_27lower_bound_config_selectorIyiEEZNS1_14transform_implILb0ES3_S5_N6thrust23THRUST_200600_302600_NS6detail15normal_iteratorINS8_10device_ptrIyEEEENSA_INSB_IiEEEEZNS1_13binary_searchIS3_S5_SD_SD_SF_NS1_21lower_bound_search_opENS9_16wrapped_functionINS0_4lessIvEEbEEEE10hipError_tPvRmT1_T2_T3_mmT4_T5_P12ihipStream_tbEUlRKyE_EESM_SQ_SR_mSS_SV_bEUlT_E_NS1_11comp_targetILNS1_3genE5ELNS1_11target_archE942ELNS1_3gpuE9ELNS1_3repE0EEENS1_30default_config_static_selectorELNS0_4arch9wavefront6targetE1EEEvSP_
	.p2align	8
	.type	_ZN7rocprim17ROCPRIM_400000_NS6detail17trampoline_kernelINS0_14default_configENS1_27lower_bound_config_selectorIyiEEZNS1_14transform_implILb0ES3_S5_N6thrust23THRUST_200600_302600_NS6detail15normal_iteratorINS8_10device_ptrIyEEEENSA_INSB_IiEEEEZNS1_13binary_searchIS3_S5_SD_SD_SF_NS1_21lower_bound_search_opENS9_16wrapped_functionINS0_4lessIvEEbEEEE10hipError_tPvRmT1_T2_T3_mmT4_T5_P12ihipStream_tbEUlRKyE_EESM_SQ_SR_mSS_SV_bEUlT_E_NS1_11comp_targetILNS1_3genE5ELNS1_11target_archE942ELNS1_3gpuE9ELNS1_3repE0EEENS1_30default_config_static_selectorELNS0_4arch9wavefront6targetE1EEEvSP_,@function
_ZN7rocprim17ROCPRIM_400000_NS6detail17trampoline_kernelINS0_14default_configENS1_27lower_bound_config_selectorIyiEEZNS1_14transform_implILb0ES3_S5_N6thrust23THRUST_200600_302600_NS6detail15normal_iteratorINS8_10device_ptrIyEEEENSA_INSB_IiEEEEZNS1_13binary_searchIS3_S5_SD_SD_SF_NS1_21lower_bound_search_opENS9_16wrapped_functionINS0_4lessIvEEbEEEE10hipError_tPvRmT1_T2_T3_mmT4_T5_P12ihipStream_tbEUlRKyE_EESM_SQ_SR_mSS_SV_bEUlT_E_NS1_11comp_targetILNS1_3genE5ELNS1_11target_archE942ELNS1_3gpuE9ELNS1_3repE0EEENS1_30default_config_static_selectorELNS0_4arch9wavefront6targetE1EEEvSP_: ; @_ZN7rocprim17ROCPRIM_400000_NS6detail17trampoline_kernelINS0_14default_configENS1_27lower_bound_config_selectorIyiEEZNS1_14transform_implILb0ES3_S5_N6thrust23THRUST_200600_302600_NS6detail15normal_iteratorINS8_10device_ptrIyEEEENSA_INSB_IiEEEEZNS1_13binary_searchIS3_S5_SD_SD_SF_NS1_21lower_bound_search_opENS9_16wrapped_functionINS0_4lessIvEEbEEEE10hipError_tPvRmT1_T2_T3_mmT4_T5_P12ihipStream_tbEUlRKyE_EESM_SQ_SR_mSS_SV_bEUlT_E_NS1_11comp_targetILNS1_3genE5ELNS1_11target_archE942ELNS1_3gpuE9ELNS1_3repE0EEENS1_30default_config_static_selectorELNS0_4arch9wavefront6targetE1EEEvSP_
; %bb.0:
	.section	.rodata,"a",@progbits
	.p2align	6, 0x0
	.amdhsa_kernel _ZN7rocprim17ROCPRIM_400000_NS6detail17trampoline_kernelINS0_14default_configENS1_27lower_bound_config_selectorIyiEEZNS1_14transform_implILb0ES3_S5_N6thrust23THRUST_200600_302600_NS6detail15normal_iteratorINS8_10device_ptrIyEEEENSA_INSB_IiEEEEZNS1_13binary_searchIS3_S5_SD_SD_SF_NS1_21lower_bound_search_opENS9_16wrapped_functionINS0_4lessIvEEbEEEE10hipError_tPvRmT1_T2_T3_mmT4_T5_P12ihipStream_tbEUlRKyE_EESM_SQ_SR_mSS_SV_bEUlT_E_NS1_11comp_targetILNS1_3genE5ELNS1_11target_archE942ELNS1_3gpuE9ELNS1_3repE0EEENS1_30default_config_static_selectorELNS0_4arch9wavefront6targetE1EEEvSP_
		.amdhsa_group_segment_fixed_size 0
		.amdhsa_private_segment_fixed_size 0
		.amdhsa_kernarg_size 56
		.amdhsa_user_sgpr_count 6
		.amdhsa_user_sgpr_private_segment_buffer 1
		.amdhsa_user_sgpr_dispatch_ptr 0
		.amdhsa_user_sgpr_queue_ptr 0
		.amdhsa_user_sgpr_kernarg_segment_ptr 1
		.amdhsa_user_sgpr_dispatch_id 0
		.amdhsa_user_sgpr_flat_scratch_init 0
		.amdhsa_user_sgpr_kernarg_preload_length 0
		.amdhsa_user_sgpr_kernarg_preload_offset 0
		.amdhsa_user_sgpr_private_segment_size 0
		.amdhsa_uses_dynamic_stack 0
		.amdhsa_system_sgpr_private_segment_wavefront_offset 0
		.amdhsa_system_sgpr_workgroup_id_x 1
		.amdhsa_system_sgpr_workgroup_id_y 0
		.amdhsa_system_sgpr_workgroup_id_z 0
		.amdhsa_system_sgpr_workgroup_info 0
		.amdhsa_system_vgpr_workitem_id 0
		.amdhsa_next_free_vgpr 1
		.amdhsa_next_free_sgpr 0
		.amdhsa_accum_offset 4
		.amdhsa_reserve_vcc 0
		.amdhsa_reserve_flat_scratch 0
		.amdhsa_float_round_mode_32 0
		.amdhsa_float_round_mode_16_64 0
		.amdhsa_float_denorm_mode_32 3
		.amdhsa_float_denorm_mode_16_64 3
		.amdhsa_dx10_clamp 1
		.amdhsa_ieee_mode 1
		.amdhsa_fp16_overflow 0
		.amdhsa_tg_split 0
		.amdhsa_exception_fp_ieee_invalid_op 0
		.amdhsa_exception_fp_denorm_src 0
		.amdhsa_exception_fp_ieee_div_zero 0
		.amdhsa_exception_fp_ieee_overflow 0
		.amdhsa_exception_fp_ieee_underflow 0
		.amdhsa_exception_fp_ieee_inexact 0
		.amdhsa_exception_int_div_zero 0
	.end_amdhsa_kernel
	.section	.text._ZN7rocprim17ROCPRIM_400000_NS6detail17trampoline_kernelINS0_14default_configENS1_27lower_bound_config_selectorIyiEEZNS1_14transform_implILb0ES3_S5_N6thrust23THRUST_200600_302600_NS6detail15normal_iteratorINS8_10device_ptrIyEEEENSA_INSB_IiEEEEZNS1_13binary_searchIS3_S5_SD_SD_SF_NS1_21lower_bound_search_opENS9_16wrapped_functionINS0_4lessIvEEbEEEE10hipError_tPvRmT1_T2_T3_mmT4_T5_P12ihipStream_tbEUlRKyE_EESM_SQ_SR_mSS_SV_bEUlT_E_NS1_11comp_targetILNS1_3genE5ELNS1_11target_archE942ELNS1_3gpuE9ELNS1_3repE0EEENS1_30default_config_static_selectorELNS0_4arch9wavefront6targetE1EEEvSP_,"axG",@progbits,_ZN7rocprim17ROCPRIM_400000_NS6detail17trampoline_kernelINS0_14default_configENS1_27lower_bound_config_selectorIyiEEZNS1_14transform_implILb0ES3_S5_N6thrust23THRUST_200600_302600_NS6detail15normal_iteratorINS8_10device_ptrIyEEEENSA_INSB_IiEEEEZNS1_13binary_searchIS3_S5_SD_SD_SF_NS1_21lower_bound_search_opENS9_16wrapped_functionINS0_4lessIvEEbEEEE10hipError_tPvRmT1_T2_T3_mmT4_T5_P12ihipStream_tbEUlRKyE_EESM_SQ_SR_mSS_SV_bEUlT_E_NS1_11comp_targetILNS1_3genE5ELNS1_11target_archE942ELNS1_3gpuE9ELNS1_3repE0EEENS1_30default_config_static_selectorELNS0_4arch9wavefront6targetE1EEEvSP_,comdat
.Lfunc_end272:
	.size	_ZN7rocprim17ROCPRIM_400000_NS6detail17trampoline_kernelINS0_14default_configENS1_27lower_bound_config_selectorIyiEEZNS1_14transform_implILb0ES3_S5_N6thrust23THRUST_200600_302600_NS6detail15normal_iteratorINS8_10device_ptrIyEEEENSA_INSB_IiEEEEZNS1_13binary_searchIS3_S5_SD_SD_SF_NS1_21lower_bound_search_opENS9_16wrapped_functionINS0_4lessIvEEbEEEE10hipError_tPvRmT1_T2_T3_mmT4_T5_P12ihipStream_tbEUlRKyE_EESM_SQ_SR_mSS_SV_bEUlT_E_NS1_11comp_targetILNS1_3genE5ELNS1_11target_archE942ELNS1_3gpuE9ELNS1_3repE0EEENS1_30default_config_static_selectorELNS0_4arch9wavefront6targetE1EEEvSP_, .Lfunc_end272-_ZN7rocprim17ROCPRIM_400000_NS6detail17trampoline_kernelINS0_14default_configENS1_27lower_bound_config_selectorIyiEEZNS1_14transform_implILb0ES3_S5_N6thrust23THRUST_200600_302600_NS6detail15normal_iteratorINS8_10device_ptrIyEEEENSA_INSB_IiEEEEZNS1_13binary_searchIS3_S5_SD_SD_SF_NS1_21lower_bound_search_opENS9_16wrapped_functionINS0_4lessIvEEbEEEE10hipError_tPvRmT1_T2_T3_mmT4_T5_P12ihipStream_tbEUlRKyE_EESM_SQ_SR_mSS_SV_bEUlT_E_NS1_11comp_targetILNS1_3genE5ELNS1_11target_archE942ELNS1_3gpuE9ELNS1_3repE0EEENS1_30default_config_static_selectorELNS0_4arch9wavefront6targetE1EEEvSP_
                                        ; -- End function
	.section	.AMDGPU.csdata,"",@progbits
; Kernel info:
; codeLenInByte = 0
; NumSgprs: 4
; NumVgprs: 0
; NumAgprs: 0
; TotalNumVgprs: 0
; ScratchSize: 0
; MemoryBound: 0
; FloatMode: 240
; IeeeMode: 1
; LDSByteSize: 0 bytes/workgroup (compile time only)
; SGPRBlocks: 0
; VGPRBlocks: 0
; NumSGPRsForWavesPerEU: 4
; NumVGPRsForWavesPerEU: 1
; AccumOffset: 4
; Occupancy: 8
; WaveLimiterHint : 0
; COMPUTE_PGM_RSRC2:SCRATCH_EN: 0
; COMPUTE_PGM_RSRC2:USER_SGPR: 6
; COMPUTE_PGM_RSRC2:TRAP_HANDLER: 0
; COMPUTE_PGM_RSRC2:TGID_X_EN: 1
; COMPUTE_PGM_RSRC2:TGID_Y_EN: 0
; COMPUTE_PGM_RSRC2:TGID_Z_EN: 0
; COMPUTE_PGM_RSRC2:TIDIG_COMP_CNT: 0
; COMPUTE_PGM_RSRC3_GFX90A:ACCUM_OFFSET: 0
; COMPUTE_PGM_RSRC3_GFX90A:TG_SPLIT: 0
	.section	.text._ZN7rocprim17ROCPRIM_400000_NS6detail17trampoline_kernelINS0_14default_configENS1_27lower_bound_config_selectorIyiEEZNS1_14transform_implILb0ES3_S5_N6thrust23THRUST_200600_302600_NS6detail15normal_iteratorINS8_10device_ptrIyEEEENSA_INSB_IiEEEEZNS1_13binary_searchIS3_S5_SD_SD_SF_NS1_21lower_bound_search_opENS9_16wrapped_functionINS0_4lessIvEEbEEEE10hipError_tPvRmT1_T2_T3_mmT4_T5_P12ihipStream_tbEUlRKyE_EESM_SQ_SR_mSS_SV_bEUlT_E_NS1_11comp_targetILNS1_3genE4ELNS1_11target_archE910ELNS1_3gpuE8ELNS1_3repE0EEENS1_30default_config_static_selectorELNS0_4arch9wavefront6targetE1EEEvSP_,"axG",@progbits,_ZN7rocprim17ROCPRIM_400000_NS6detail17trampoline_kernelINS0_14default_configENS1_27lower_bound_config_selectorIyiEEZNS1_14transform_implILb0ES3_S5_N6thrust23THRUST_200600_302600_NS6detail15normal_iteratorINS8_10device_ptrIyEEEENSA_INSB_IiEEEEZNS1_13binary_searchIS3_S5_SD_SD_SF_NS1_21lower_bound_search_opENS9_16wrapped_functionINS0_4lessIvEEbEEEE10hipError_tPvRmT1_T2_T3_mmT4_T5_P12ihipStream_tbEUlRKyE_EESM_SQ_SR_mSS_SV_bEUlT_E_NS1_11comp_targetILNS1_3genE4ELNS1_11target_archE910ELNS1_3gpuE8ELNS1_3repE0EEENS1_30default_config_static_selectorELNS0_4arch9wavefront6targetE1EEEvSP_,comdat
	.protected	_ZN7rocprim17ROCPRIM_400000_NS6detail17trampoline_kernelINS0_14default_configENS1_27lower_bound_config_selectorIyiEEZNS1_14transform_implILb0ES3_S5_N6thrust23THRUST_200600_302600_NS6detail15normal_iteratorINS8_10device_ptrIyEEEENSA_INSB_IiEEEEZNS1_13binary_searchIS3_S5_SD_SD_SF_NS1_21lower_bound_search_opENS9_16wrapped_functionINS0_4lessIvEEbEEEE10hipError_tPvRmT1_T2_T3_mmT4_T5_P12ihipStream_tbEUlRKyE_EESM_SQ_SR_mSS_SV_bEUlT_E_NS1_11comp_targetILNS1_3genE4ELNS1_11target_archE910ELNS1_3gpuE8ELNS1_3repE0EEENS1_30default_config_static_selectorELNS0_4arch9wavefront6targetE1EEEvSP_ ; -- Begin function _ZN7rocprim17ROCPRIM_400000_NS6detail17trampoline_kernelINS0_14default_configENS1_27lower_bound_config_selectorIyiEEZNS1_14transform_implILb0ES3_S5_N6thrust23THRUST_200600_302600_NS6detail15normal_iteratorINS8_10device_ptrIyEEEENSA_INSB_IiEEEEZNS1_13binary_searchIS3_S5_SD_SD_SF_NS1_21lower_bound_search_opENS9_16wrapped_functionINS0_4lessIvEEbEEEE10hipError_tPvRmT1_T2_T3_mmT4_T5_P12ihipStream_tbEUlRKyE_EESM_SQ_SR_mSS_SV_bEUlT_E_NS1_11comp_targetILNS1_3genE4ELNS1_11target_archE910ELNS1_3gpuE8ELNS1_3repE0EEENS1_30default_config_static_selectorELNS0_4arch9wavefront6targetE1EEEvSP_
	.globl	_ZN7rocprim17ROCPRIM_400000_NS6detail17trampoline_kernelINS0_14default_configENS1_27lower_bound_config_selectorIyiEEZNS1_14transform_implILb0ES3_S5_N6thrust23THRUST_200600_302600_NS6detail15normal_iteratorINS8_10device_ptrIyEEEENSA_INSB_IiEEEEZNS1_13binary_searchIS3_S5_SD_SD_SF_NS1_21lower_bound_search_opENS9_16wrapped_functionINS0_4lessIvEEbEEEE10hipError_tPvRmT1_T2_T3_mmT4_T5_P12ihipStream_tbEUlRKyE_EESM_SQ_SR_mSS_SV_bEUlT_E_NS1_11comp_targetILNS1_3genE4ELNS1_11target_archE910ELNS1_3gpuE8ELNS1_3repE0EEENS1_30default_config_static_selectorELNS0_4arch9wavefront6targetE1EEEvSP_
	.p2align	8
	.type	_ZN7rocprim17ROCPRIM_400000_NS6detail17trampoline_kernelINS0_14default_configENS1_27lower_bound_config_selectorIyiEEZNS1_14transform_implILb0ES3_S5_N6thrust23THRUST_200600_302600_NS6detail15normal_iteratorINS8_10device_ptrIyEEEENSA_INSB_IiEEEEZNS1_13binary_searchIS3_S5_SD_SD_SF_NS1_21lower_bound_search_opENS9_16wrapped_functionINS0_4lessIvEEbEEEE10hipError_tPvRmT1_T2_T3_mmT4_T5_P12ihipStream_tbEUlRKyE_EESM_SQ_SR_mSS_SV_bEUlT_E_NS1_11comp_targetILNS1_3genE4ELNS1_11target_archE910ELNS1_3gpuE8ELNS1_3repE0EEENS1_30default_config_static_selectorELNS0_4arch9wavefront6targetE1EEEvSP_,@function
_ZN7rocprim17ROCPRIM_400000_NS6detail17trampoline_kernelINS0_14default_configENS1_27lower_bound_config_selectorIyiEEZNS1_14transform_implILb0ES3_S5_N6thrust23THRUST_200600_302600_NS6detail15normal_iteratorINS8_10device_ptrIyEEEENSA_INSB_IiEEEEZNS1_13binary_searchIS3_S5_SD_SD_SF_NS1_21lower_bound_search_opENS9_16wrapped_functionINS0_4lessIvEEbEEEE10hipError_tPvRmT1_T2_T3_mmT4_T5_P12ihipStream_tbEUlRKyE_EESM_SQ_SR_mSS_SV_bEUlT_E_NS1_11comp_targetILNS1_3genE4ELNS1_11target_archE910ELNS1_3gpuE8ELNS1_3repE0EEENS1_30default_config_static_selectorELNS0_4arch9wavefront6targetE1EEEvSP_: ; @_ZN7rocprim17ROCPRIM_400000_NS6detail17trampoline_kernelINS0_14default_configENS1_27lower_bound_config_selectorIyiEEZNS1_14transform_implILb0ES3_S5_N6thrust23THRUST_200600_302600_NS6detail15normal_iteratorINS8_10device_ptrIyEEEENSA_INSB_IiEEEEZNS1_13binary_searchIS3_S5_SD_SD_SF_NS1_21lower_bound_search_opENS9_16wrapped_functionINS0_4lessIvEEbEEEE10hipError_tPvRmT1_T2_T3_mmT4_T5_P12ihipStream_tbEUlRKyE_EESM_SQ_SR_mSS_SV_bEUlT_E_NS1_11comp_targetILNS1_3genE4ELNS1_11target_archE910ELNS1_3gpuE8ELNS1_3repE0EEENS1_30default_config_static_selectorELNS0_4arch9wavefront6targetE1EEEvSP_
; %bb.0:
	s_load_dwordx4 s[16:19], s[4:5], 0x0
	s_load_dwordx4 s[0:3], s[4:5], 0x18
	s_load_dwordx2 s[10:11], s[4:5], 0x28
	s_load_dword s15, s[4:5], 0x38
	s_waitcnt lgkmcnt(0)
	s_lshl_b64 s[8:9], s[18:19], 3
	s_add_u32 s7, s16, s8
	s_addc_u32 s14, s17, s9
	s_lshl_b64 s[8:9], s[18:19], 2
	s_add_u32 s12, s0, s8
	s_addc_u32 s13, s1, s9
	s_lshl_b32 s8, s6, 6
	s_add_i32 s15, s15, -1
	s_mov_b32 s9, 0
	s_cmp_lg_u32 s6, s15
	s_mov_b64 s[0:1], -1
	s_cbranch_scc0 .LBB273_6
; %bb.1:
	v_mov_b32_e32 v2, 0
	s_cmp_eq_u64 s[10:11], 0
	s_mov_b64 s[0:1], 0
	s_cbranch_scc1 .LBB273_5
; %bb.2:
	s_lshl_b64 s[16:17], s[8:9], 3
	s_add_u32 s6, s7, s16
	s_addc_u32 s15, s14, s17
	v_lshlrev_b32_e32 v1, 3, v0
	v_mov_b32_e32 v3, s15
	v_add_co_u32_e32 v2, vcc, s6, v1
	v_addc_co_u32_e32 v3, vcc, 0, v3, vcc
	flat_load_dwordx2 v[4:5], v[2:3]
	v_pk_mov_b32 v[2:3], 0, 0
	v_pk_mov_b32 v[6:7], s[10:11], s[10:11] op_sel:[0,1]
	v_mov_b32_e32 v1, s3
.LBB273_3:                              ; =>This Inner Loop Header: Depth=1
	v_sub_co_u32_e32 v8, vcc, v6, v2
	v_subb_co_u32_e32 v9, vcc, v7, v3, vcc
	v_lshrrev_b64 v[10:11], 1, v[8:9]
	v_add_co_u32_e32 v10, vcc, v10, v2
	v_lshrrev_b64 v[8:9], 6, v[8:9]
	v_addc_co_u32_e32 v11, vcc, v11, v3, vcc
	v_add_co_u32_e32 v8, vcc, v10, v8
	v_addc_co_u32_e32 v9, vcc, v11, v9, vcc
	v_lshlrev_b64 v[10:11], 3, v[8:9]
	v_add_co_u32_e32 v10, vcc, s2, v10
	v_addc_co_u32_e32 v11, vcc, v1, v11, vcc
	global_load_dwordx2 v[10:11], v[10:11], off
	v_add_co_u32_e32 v12, vcc, 1, v8
	v_addc_co_u32_e32 v13, vcc, 0, v9, vcc
	s_waitcnt vmcnt(0) lgkmcnt(0)
	v_cmp_lt_u64_e32 vcc, v[10:11], v[4:5]
	v_cndmask_b32_e32 v7, v9, v7, vcc
	v_cndmask_b32_e32 v6, v8, v6, vcc
	v_cndmask_b32_e32 v3, v3, v13, vcc
	v_cndmask_b32_e32 v2, v2, v12, vcc
	v_cmp_ge_u64_e32 vcc, v[2:3], v[6:7]
	s_or_b64 s[0:1], vcc, s[0:1]
	s_andn2_b64 exec, exec, s[0:1]
	s_cbranch_execnz .LBB273_3
; %bb.4:
	s_or_b64 exec, exec, s[0:1]
.LBB273_5:
	s_lshl_b64 s[0:1], s[8:9], 2
	s_add_u32 s0, s12, s0
	s_addc_u32 s1, s13, s1
	v_lshlrev_b32_e32 v1, 2, v0
	v_mov_b32_e32 v3, s1
	v_add_co_u32_e32 v4, vcc, s0, v1
	v_addc_co_u32_e32 v5, vcc, 0, v3, vcc
	s_mov_b64 s[0:1], 0
	flat_store_dword v[4:5], v2
.LBB273_6:
	s_and_b64 vcc, exec, s[0:1]
	s_cbranch_vccz .LBB273_11
; %bb.7:
	s_load_dword s0, s[4:5], 0x10
                                        ; implicit-def: $vgpr4_vgpr5
	s_waitcnt lgkmcnt(0)
	s_sub_i32 s0, s0, s8
	v_cmp_gt_u32_e32 vcc, s0, v0
	s_and_saveexec_b64 s[4:5], vcc
	s_cbranch_execnz .LBB273_12
; %bb.8:
	s_or_b64 exec, exec, s[4:5]
                                        ; implicit-def: $vgpr2
	s_and_saveexec_b64 s[4:5], vcc
	s_cbranch_execnz .LBB273_13
.LBB273_9:
	s_or_b64 exec, exec, s[4:5]
	s_and_saveexec_b64 s[0:1], vcc
	s_cbranch_execz .LBB273_11
.LBB273_10:
	s_lshl_b64 s[0:1], s[8:9], 2
	s_add_u32 s0, s12, s0
	s_addc_u32 s1, s13, s1
	v_lshlrev_b32_e32 v0, 2, v0
	v_mov_b32_e32 v1, s1
	v_add_co_u32_e32 v0, vcc, s0, v0
	v_addc_co_u32_e32 v1, vcc, 0, v1, vcc
	flat_store_dword v[0:1], v2
.LBB273_11:
	s_endpgm
.LBB273_12:
	s_lshl_b64 s[0:1], s[8:9], 3
	s_add_u32 s0, s7, s0
	s_addc_u32 s1, s14, s1
	v_lshlrev_b32_e32 v1, 3, v0
	v_mov_b32_e32 v3, s1
	v_add_co_u32_e64 v2, s[0:1], s0, v1
	v_addc_co_u32_e64 v3, s[0:1], 0, v3, s[0:1]
	flat_load_dwordx2 v[4:5], v[2:3]
	s_or_b64 exec, exec, s[4:5]
                                        ; implicit-def: $vgpr2
	s_and_saveexec_b64 s[4:5], vcc
	s_cbranch_execz .LBB273_9
.LBB273_13:
	s_cmp_eq_u64 s[10:11], 0
	s_mov_b64 s[6:7], 0
	s_cbranch_scc1 .LBB273_17
; %bb.14:
	v_pk_mov_b32 v[2:3], 0, 0
	v_pk_mov_b32 v[6:7], s[10:11], s[10:11] op_sel:[0,1]
	v_mov_b32_e32 v1, s3
.LBB273_15:                             ; =>This Inner Loop Header: Depth=1
	v_sub_co_u32_e64 v8, s[0:1], v6, v2
	v_subb_co_u32_e64 v9, s[0:1], v7, v3, s[0:1]
	v_lshrrev_b64 v[10:11], 1, v[8:9]
	v_add_co_u32_e64 v10, s[0:1], v10, v2
	v_lshrrev_b64 v[8:9], 6, v[8:9]
	v_addc_co_u32_e64 v11, s[0:1], v11, v3, s[0:1]
	v_add_co_u32_e64 v8, s[0:1], v10, v8
	v_addc_co_u32_e64 v9, s[0:1], v11, v9, s[0:1]
	v_lshlrev_b64 v[10:11], 3, v[8:9]
	v_add_co_u32_e64 v10, s[0:1], s2, v10
	v_addc_co_u32_e64 v11, s[0:1], v1, v11, s[0:1]
	global_load_dwordx2 v[10:11], v[10:11], off
	v_add_co_u32_e64 v12, s[0:1], 1, v8
	v_addc_co_u32_e64 v13, s[0:1], 0, v9, s[0:1]
	s_waitcnt vmcnt(0) lgkmcnt(0)
	v_cmp_lt_u64_e64 s[0:1], v[10:11], v[4:5]
	v_cndmask_b32_e64 v7, v9, v7, s[0:1]
	v_cndmask_b32_e64 v6, v8, v6, s[0:1]
	;; [unrolled: 1-line block ×4, first 2 shown]
	v_cmp_ge_u64_e64 s[0:1], v[2:3], v[6:7]
	s_or_b64 s[6:7], s[0:1], s[6:7]
	s_andn2_b64 exec, exec, s[6:7]
	s_cbranch_execnz .LBB273_15
; %bb.16:
	s_or_b64 exec, exec, s[6:7]
	s_or_b64 exec, exec, s[4:5]
	s_and_saveexec_b64 s[0:1], vcc
	s_cbranch_execnz .LBB273_10
	s_branch .LBB273_11
.LBB273_17:
	v_mov_b32_e32 v2, 0
	s_or_b64 exec, exec, s[4:5]
	s_and_saveexec_b64 s[0:1], vcc
	s_cbranch_execnz .LBB273_10
	s_branch .LBB273_11
	.section	.rodata,"a",@progbits
	.p2align	6, 0x0
	.amdhsa_kernel _ZN7rocprim17ROCPRIM_400000_NS6detail17trampoline_kernelINS0_14default_configENS1_27lower_bound_config_selectorIyiEEZNS1_14transform_implILb0ES3_S5_N6thrust23THRUST_200600_302600_NS6detail15normal_iteratorINS8_10device_ptrIyEEEENSA_INSB_IiEEEEZNS1_13binary_searchIS3_S5_SD_SD_SF_NS1_21lower_bound_search_opENS9_16wrapped_functionINS0_4lessIvEEbEEEE10hipError_tPvRmT1_T2_T3_mmT4_T5_P12ihipStream_tbEUlRKyE_EESM_SQ_SR_mSS_SV_bEUlT_E_NS1_11comp_targetILNS1_3genE4ELNS1_11target_archE910ELNS1_3gpuE8ELNS1_3repE0EEENS1_30default_config_static_selectorELNS0_4arch9wavefront6targetE1EEEvSP_
		.amdhsa_group_segment_fixed_size 0
		.amdhsa_private_segment_fixed_size 0
		.amdhsa_kernarg_size 312
		.amdhsa_user_sgpr_count 6
		.amdhsa_user_sgpr_private_segment_buffer 1
		.amdhsa_user_sgpr_dispatch_ptr 0
		.amdhsa_user_sgpr_queue_ptr 0
		.amdhsa_user_sgpr_kernarg_segment_ptr 1
		.amdhsa_user_sgpr_dispatch_id 0
		.amdhsa_user_sgpr_flat_scratch_init 0
		.amdhsa_user_sgpr_kernarg_preload_length 0
		.amdhsa_user_sgpr_kernarg_preload_offset 0
		.amdhsa_user_sgpr_private_segment_size 0
		.amdhsa_uses_dynamic_stack 0
		.amdhsa_system_sgpr_private_segment_wavefront_offset 0
		.amdhsa_system_sgpr_workgroup_id_x 1
		.amdhsa_system_sgpr_workgroup_id_y 0
		.amdhsa_system_sgpr_workgroup_id_z 0
		.amdhsa_system_sgpr_workgroup_info 0
		.amdhsa_system_vgpr_workitem_id 0
		.amdhsa_next_free_vgpr 14
		.amdhsa_next_free_sgpr 20
		.amdhsa_accum_offset 16
		.amdhsa_reserve_vcc 1
		.amdhsa_reserve_flat_scratch 0
		.amdhsa_float_round_mode_32 0
		.amdhsa_float_round_mode_16_64 0
		.amdhsa_float_denorm_mode_32 3
		.amdhsa_float_denorm_mode_16_64 3
		.amdhsa_dx10_clamp 1
		.amdhsa_ieee_mode 1
		.amdhsa_fp16_overflow 0
		.amdhsa_tg_split 0
		.amdhsa_exception_fp_ieee_invalid_op 0
		.amdhsa_exception_fp_denorm_src 0
		.amdhsa_exception_fp_ieee_div_zero 0
		.amdhsa_exception_fp_ieee_overflow 0
		.amdhsa_exception_fp_ieee_underflow 0
		.amdhsa_exception_fp_ieee_inexact 0
		.amdhsa_exception_int_div_zero 0
	.end_amdhsa_kernel
	.section	.text._ZN7rocprim17ROCPRIM_400000_NS6detail17trampoline_kernelINS0_14default_configENS1_27lower_bound_config_selectorIyiEEZNS1_14transform_implILb0ES3_S5_N6thrust23THRUST_200600_302600_NS6detail15normal_iteratorINS8_10device_ptrIyEEEENSA_INSB_IiEEEEZNS1_13binary_searchIS3_S5_SD_SD_SF_NS1_21lower_bound_search_opENS9_16wrapped_functionINS0_4lessIvEEbEEEE10hipError_tPvRmT1_T2_T3_mmT4_T5_P12ihipStream_tbEUlRKyE_EESM_SQ_SR_mSS_SV_bEUlT_E_NS1_11comp_targetILNS1_3genE4ELNS1_11target_archE910ELNS1_3gpuE8ELNS1_3repE0EEENS1_30default_config_static_selectorELNS0_4arch9wavefront6targetE1EEEvSP_,"axG",@progbits,_ZN7rocprim17ROCPRIM_400000_NS6detail17trampoline_kernelINS0_14default_configENS1_27lower_bound_config_selectorIyiEEZNS1_14transform_implILb0ES3_S5_N6thrust23THRUST_200600_302600_NS6detail15normal_iteratorINS8_10device_ptrIyEEEENSA_INSB_IiEEEEZNS1_13binary_searchIS3_S5_SD_SD_SF_NS1_21lower_bound_search_opENS9_16wrapped_functionINS0_4lessIvEEbEEEE10hipError_tPvRmT1_T2_T3_mmT4_T5_P12ihipStream_tbEUlRKyE_EESM_SQ_SR_mSS_SV_bEUlT_E_NS1_11comp_targetILNS1_3genE4ELNS1_11target_archE910ELNS1_3gpuE8ELNS1_3repE0EEENS1_30default_config_static_selectorELNS0_4arch9wavefront6targetE1EEEvSP_,comdat
.Lfunc_end273:
	.size	_ZN7rocprim17ROCPRIM_400000_NS6detail17trampoline_kernelINS0_14default_configENS1_27lower_bound_config_selectorIyiEEZNS1_14transform_implILb0ES3_S5_N6thrust23THRUST_200600_302600_NS6detail15normal_iteratorINS8_10device_ptrIyEEEENSA_INSB_IiEEEEZNS1_13binary_searchIS3_S5_SD_SD_SF_NS1_21lower_bound_search_opENS9_16wrapped_functionINS0_4lessIvEEbEEEE10hipError_tPvRmT1_T2_T3_mmT4_T5_P12ihipStream_tbEUlRKyE_EESM_SQ_SR_mSS_SV_bEUlT_E_NS1_11comp_targetILNS1_3genE4ELNS1_11target_archE910ELNS1_3gpuE8ELNS1_3repE0EEENS1_30default_config_static_selectorELNS0_4arch9wavefront6targetE1EEEvSP_, .Lfunc_end273-_ZN7rocprim17ROCPRIM_400000_NS6detail17trampoline_kernelINS0_14default_configENS1_27lower_bound_config_selectorIyiEEZNS1_14transform_implILb0ES3_S5_N6thrust23THRUST_200600_302600_NS6detail15normal_iteratorINS8_10device_ptrIyEEEENSA_INSB_IiEEEEZNS1_13binary_searchIS3_S5_SD_SD_SF_NS1_21lower_bound_search_opENS9_16wrapped_functionINS0_4lessIvEEbEEEE10hipError_tPvRmT1_T2_T3_mmT4_T5_P12ihipStream_tbEUlRKyE_EESM_SQ_SR_mSS_SV_bEUlT_E_NS1_11comp_targetILNS1_3genE4ELNS1_11target_archE910ELNS1_3gpuE8ELNS1_3repE0EEENS1_30default_config_static_selectorELNS0_4arch9wavefront6targetE1EEEvSP_
                                        ; -- End function
	.section	.AMDGPU.csdata,"",@progbits
; Kernel info:
; codeLenInByte = 716
; NumSgprs: 24
; NumVgprs: 14
; NumAgprs: 0
; TotalNumVgprs: 14
; ScratchSize: 0
; MemoryBound: 0
; FloatMode: 240
; IeeeMode: 1
; LDSByteSize: 0 bytes/workgroup (compile time only)
; SGPRBlocks: 2
; VGPRBlocks: 1
; NumSGPRsForWavesPerEU: 24
; NumVGPRsForWavesPerEU: 14
; AccumOffset: 16
; Occupancy: 8
; WaveLimiterHint : 0
; COMPUTE_PGM_RSRC2:SCRATCH_EN: 0
; COMPUTE_PGM_RSRC2:USER_SGPR: 6
; COMPUTE_PGM_RSRC2:TRAP_HANDLER: 0
; COMPUTE_PGM_RSRC2:TGID_X_EN: 1
; COMPUTE_PGM_RSRC2:TGID_Y_EN: 0
; COMPUTE_PGM_RSRC2:TGID_Z_EN: 0
; COMPUTE_PGM_RSRC2:TIDIG_COMP_CNT: 0
; COMPUTE_PGM_RSRC3_GFX90A:ACCUM_OFFSET: 3
; COMPUTE_PGM_RSRC3_GFX90A:TG_SPLIT: 0
	.section	.text._ZN7rocprim17ROCPRIM_400000_NS6detail17trampoline_kernelINS0_14default_configENS1_27lower_bound_config_selectorIyiEEZNS1_14transform_implILb0ES3_S5_N6thrust23THRUST_200600_302600_NS6detail15normal_iteratorINS8_10device_ptrIyEEEENSA_INSB_IiEEEEZNS1_13binary_searchIS3_S5_SD_SD_SF_NS1_21lower_bound_search_opENS9_16wrapped_functionINS0_4lessIvEEbEEEE10hipError_tPvRmT1_T2_T3_mmT4_T5_P12ihipStream_tbEUlRKyE_EESM_SQ_SR_mSS_SV_bEUlT_E_NS1_11comp_targetILNS1_3genE3ELNS1_11target_archE908ELNS1_3gpuE7ELNS1_3repE0EEENS1_30default_config_static_selectorELNS0_4arch9wavefront6targetE1EEEvSP_,"axG",@progbits,_ZN7rocprim17ROCPRIM_400000_NS6detail17trampoline_kernelINS0_14default_configENS1_27lower_bound_config_selectorIyiEEZNS1_14transform_implILb0ES3_S5_N6thrust23THRUST_200600_302600_NS6detail15normal_iteratorINS8_10device_ptrIyEEEENSA_INSB_IiEEEEZNS1_13binary_searchIS3_S5_SD_SD_SF_NS1_21lower_bound_search_opENS9_16wrapped_functionINS0_4lessIvEEbEEEE10hipError_tPvRmT1_T2_T3_mmT4_T5_P12ihipStream_tbEUlRKyE_EESM_SQ_SR_mSS_SV_bEUlT_E_NS1_11comp_targetILNS1_3genE3ELNS1_11target_archE908ELNS1_3gpuE7ELNS1_3repE0EEENS1_30default_config_static_selectorELNS0_4arch9wavefront6targetE1EEEvSP_,comdat
	.protected	_ZN7rocprim17ROCPRIM_400000_NS6detail17trampoline_kernelINS0_14default_configENS1_27lower_bound_config_selectorIyiEEZNS1_14transform_implILb0ES3_S5_N6thrust23THRUST_200600_302600_NS6detail15normal_iteratorINS8_10device_ptrIyEEEENSA_INSB_IiEEEEZNS1_13binary_searchIS3_S5_SD_SD_SF_NS1_21lower_bound_search_opENS9_16wrapped_functionINS0_4lessIvEEbEEEE10hipError_tPvRmT1_T2_T3_mmT4_T5_P12ihipStream_tbEUlRKyE_EESM_SQ_SR_mSS_SV_bEUlT_E_NS1_11comp_targetILNS1_3genE3ELNS1_11target_archE908ELNS1_3gpuE7ELNS1_3repE0EEENS1_30default_config_static_selectorELNS0_4arch9wavefront6targetE1EEEvSP_ ; -- Begin function _ZN7rocprim17ROCPRIM_400000_NS6detail17trampoline_kernelINS0_14default_configENS1_27lower_bound_config_selectorIyiEEZNS1_14transform_implILb0ES3_S5_N6thrust23THRUST_200600_302600_NS6detail15normal_iteratorINS8_10device_ptrIyEEEENSA_INSB_IiEEEEZNS1_13binary_searchIS3_S5_SD_SD_SF_NS1_21lower_bound_search_opENS9_16wrapped_functionINS0_4lessIvEEbEEEE10hipError_tPvRmT1_T2_T3_mmT4_T5_P12ihipStream_tbEUlRKyE_EESM_SQ_SR_mSS_SV_bEUlT_E_NS1_11comp_targetILNS1_3genE3ELNS1_11target_archE908ELNS1_3gpuE7ELNS1_3repE0EEENS1_30default_config_static_selectorELNS0_4arch9wavefront6targetE1EEEvSP_
	.globl	_ZN7rocprim17ROCPRIM_400000_NS6detail17trampoline_kernelINS0_14default_configENS1_27lower_bound_config_selectorIyiEEZNS1_14transform_implILb0ES3_S5_N6thrust23THRUST_200600_302600_NS6detail15normal_iteratorINS8_10device_ptrIyEEEENSA_INSB_IiEEEEZNS1_13binary_searchIS3_S5_SD_SD_SF_NS1_21lower_bound_search_opENS9_16wrapped_functionINS0_4lessIvEEbEEEE10hipError_tPvRmT1_T2_T3_mmT4_T5_P12ihipStream_tbEUlRKyE_EESM_SQ_SR_mSS_SV_bEUlT_E_NS1_11comp_targetILNS1_3genE3ELNS1_11target_archE908ELNS1_3gpuE7ELNS1_3repE0EEENS1_30default_config_static_selectorELNS0_4arch9wavefront6targetE1EEEvSP_
	.p2align	8
	.type	_ZN7rocprim17ROCPRIM_400000_NS6detail17trampoline_kernelINS0_14default_configENS1_27lower_bound_config_selectorIyiEEZNS1_14transform_implILb0ES3_S5_N6thrust23THRUST_200600_302600_NS6detail15normal_iteratorINS8_10device_ptrIyEEEENSA_INSB_IiEEEEZNS1_13binary_searchIS3_S5_SD_SD_SF_NS1_21lower_bound_search_opENS9_16wrapped_functionINS0_4lessIvEEbEEEE10hipError_tPvRmT1_T2_T3_mmT4_T5_P12ihipStream_tbEUlRKyE_EESM_SQ_SR_mSS_SV_bEUlT_E_NS1_11comp_targetILNS1_3genE3ELNS1_11target_archE908ELNS1_3gpuE7ELNS1_3repE0EEENS1_30default_config_static_selectorELNS0_4arch9wavefront6targetE1EEEvSP_,@function
_ZN7rocprim17ROCPRIM_400000_NS6detail17trampoline_kernelINS0_14default_configENS1_27lower_bound_config_selectorIyiEEZNS1_14transform_implILb0ES3_S5_N6thrust23THRUST_200600_302600_NS6detail15normal_iteratorINS8_10device_ptrIyEEEENSA_INSB_IiEEEEZNS1_13binary_searchIS3_S5_SD_SD_SF_NS1_21lower_bound_search_opENS9_16wrapped_functionINS0_4lessIvEEbEEEE10hipError_tPvRmT1_T2_T3_mmT4_T5_P12ihipStream_tbEUlRKyE_EESM_SQ_SR_mSS_SV_bEUlT_E_NS1_11comp_targetILNS1_3genE3ELNS1_11target_archE908ELNS1_3gpuE7ELNS1_3repE0EEENS1_30default_config_static_selectorELNS0_4arch9wavefront6targetE1EEEvSP_: ; @_ZN7rocprim17ROCPRIM_400000_NS6detail17trampoline_kernelINS0_14default_configENS1_27lower_bound_config_selectorIyiEEZNS1_14transform_implILb0ES3_S5_N6thrust23THRUST_200600_302600_NS6detail15normal_iteratorINS8_10device_ptrIyEEEENSA_INSB_IiEEEEZNS1_13binary_searchIS3_S5_SD_SD_SF_NS1_21lower_bound_search_opENS9_16wrapped_functionINS0_4lessIvEEbEEEE10hipError_tPvRmT1_T2_T3_mmT4_T5_P12ihipStream_tbEUlRKyE_EESM_SQ_SR_mSS_SV_bEUlT_E_NS1_11comp_targetILNS1_3genE3ELNS1_11target_archE908ELNS1_3gpuE7ELNS1_3repE0EEENS1_30default_config_static_selectorELNS0_4arch9wavefront6targetE1EEEvSP_
; %bb.0:
	.section	.rodata,"a",@progbits
	.p2align	6, 0x0
	.amdhsa_kernel _ZN7rocprim17ROCPRIM_400000_NS6detail17trampoline_kernelINS0_14default_configENS1_27lower_bound_config_selectorIyiEEZNS1_14transform_implILb0ES3_S5_N6thrust23THRUST_200600_302600_NS6detail15normal_iteratorINS8_10device_ptrIyEEEENSA_INSB_IiEEEEZNS1_13binary_searchIS3_S5_SD_SD_SF_NS1_21lower_bound_search_opENS9_16wrapped_functionINS0_4lessIvEEbEEEE10hipError_tPvRmT1_T2_T3_mmT4_T5_P12ihipStream_tbEUlRKyE_EESM_SQ_SR_mSS_SV_bEUlT_E_NS1_11comp_targetILNS1_3genE3ELNS1_11target_archE908ELNS1_3gpuE7ELNS1_3repE0EEENS1_30default_config_static_selectorELNS0_4arch9wavefront6targetE1EEEvSP_
		.amdhsa_group_segment_fixed_size 0
		.amdhsa_private_segment_fixed_size 0
		.amdhsa_kernarg_size 56
		.amdhsa_user_sgpr_count 6
		.amdhsa_user_sgpr_private_segment_buffer 1
		.amdhsa_user_sgpr_dispatch_ptr 0
		.amdhsa_user_sgpr_queue_ptr 0
		.amdhsa_user_sgpr_kernarg_segment_ptr 1
		.amdhsa_user_sgpr_dispatch_id 0
		.amdhsa_user_sgpr_flat_scratch_init 0
		.amdhsa_user_sgpr_kernarg_preload_length 0
		.amdhsa_user_sgpr_kernarg_preload_offset 0
		.amdhsa_user_sgpr_private_segment_size 0
		.amdhsa_uses_dynamic_stack 0
		.amdhsa_system_sgpr_private_segment_wavefront_offset 0
		.amdhsa_system_sgpr_workgroup_id_x 1
		.amdhsa_system_sgpr_workgroup_id_y 0
		.amdhsa_system_sgpr_workgroup_id_z 0
		.amdhsa_system_sgpr_workgroup_info 0
		.amdhsa_system_vgpr_workitem_id 0
		.amdhsa_next_free_vgpr 1
		.amdhsa_next_free_sgpr 0
		.amdhsa_accum_offset 4
		.amdhsa_reserve_vcc 0
		.amdhsa_reserve_flat_scratch 0
		.amdhsa_float_round_mode_32 0
		.amdhsa_float_round_mode_16_64 0
		.amdhsa_float_denorm_mode_32 3
		.amdhsa_float_denorm_mode_16_64 3
		.amdhsa_dx10_clamp 1
		.amdhsa_ieee_mode 1
		.amdhsa_fp16_overflow 0
		.amdhsa_tg_split 0
		.amdhsa_exception_fp_ieee_invalid_op 0
		.amdhsa_exception_fp_denorm_src 0
		.amdhsa_exception_fp_ieee_div_zero 0
		.amdhsa_exception_fp_ieee_overflow 0
		.amdhsa_exception_fp_ieee_underflow 0
		.amdhsa_exception_fp_ieee_inexact 0
		.amdhsa_exception_int_div_zero 0
	.end_amdhsa_kernel
	.section	.text._ZN7rocprim17ROCPRIM_400000_NS6detail17trampoline_kernelINS0_14default_configENS1_27lower_bound_config_selectorIyiEEZNS1_14transform_implILb0ES3_S5_N6thrust23THRUST_200600_302600_NS6detail15normal_iteratorINS8_10device_ptrIyEEEENSA_INSB_IiEEEEZNS1_13binary_searchIS3_S5_SD_SD_SF_NS1_21lower_bound_search_opENS9_16wrapped_functionINS0_4lessIvEEbEEEE10hipError_tPvRmT1_T2_T3_mmT4_T5_P12ihipStream_tbEUlRKyE_EESM_SQ_SR_mSS_SV_bEUlT_E_NS1_11comp_targetILNS1_3genE3ELNS1_11target_archE908ELNS1_3gpuE7ELNS1_3repE0EEENS1_30default_config_static_selectorELNS0_4arch9wavefront6targetE1EEEvSP_,"axG",@progbits,_ZN7rocprim17ROCPRIM_400000_NS6detail17trampoline_kernelINS0_14default_configENS1_27lower_bound_config_selectorIyiEEZNS1_14transform_implILb0ES3_S5_N6thrust23THRUST_200600_302600_NS6detail15normal_iteratorINS8_10device_ptrIyEEEENSA_INSB_IiEEEEZNS1_13binary_searchIS3_S5_SD_SD_SF_NS1_21lower_bound_search_opENS9_16wrapped_functionINS0_4lessIvEEbEEEE10hipError_tPvRmT1_T2_T3_mmT4_T5_P12ihipStream_tbEUlRKyE_EESM_SQ_SR_mSS_SV_bEUlT_E_NS1_11comp_targetILNS1_3genE3ELNS1_11target_archE908ELNS1_3gpuE7ELNS1_3repE0EEENS1_30default_config_static_selectorELNS0_4arch9wavefront6targetE1EEEvSP_,comdat
.Lfunc_end274:
	.size	_ZN7rocprim17ROCPRIM_400000_NS6detail17trampoline_kernelINS0_14default_configENS1_27lower_bound_config_selectorIyiEEZNS1_14transform_implILb0ES3_S5_N6thrust23THRUST_200600_302600_NS6detail15normal_iteratorINS8_10device_ptrIyEEEENSA_INSB_IiEEEEZNS1_13binary_searchIS3_S5_SD_SD_SF_NS1_21lower_bound_search_opENS9_16wrapped_functionINS0_4lessIvEEbEEEE10hipError_tPvRmT1_T2_T3_mmT4_T5_P12ihipStream_tbEUlRKyE_EESM_SQ_SR_mSS_SV_bEUlT_E_NS1_11comp_targetILNS1_3genE3ELNS1_11target_archE908ELNS1_3gpuE7ELNS1_3repE0EEENS1_30default_config_static_selectorELNS0_4arch9wavefront6targetE1EEEvSP_, .Lfunc_end274-_ZN7rocprim17ROCPRIM_400000_NS6detail17trampoline_kernelINS0_14default_configENS1_27lower_bound_config_selectorIyiEEZNS1_14transform_implILb0ES3_S5_N6thrust23THRUST_200600_302600_NS6detail15normal_iteratorINS8_10device_ptrIyEEEENSA_INSB_IiEEEEZNS1_13binary_searchIS3_S5_SD_SD_SF_NS1_21lower_bound_search_opENS9_16wrapped_functionINS0_4lessIvEEbEEEE10hipError_tPvRmT1_T2_T3_mmT4_T5_P12ihipStream_tbEUlRKyE_EESM_SQ_SR_mSS_SV_bEUlT_E_NS1_11comp_targetILNS1_3genE3ELNS1_11target_archE908ELNS1_3gpuE7ELNS1_3repE0EEENS1_30default_config_static_selectorELNS0_4arch9wavefront6targetE1EEEvSP_
                                        ; -- End function
	.section	.AMDGPU.csdata,"",@progbits
; Kernel info:
; codeLenInByte = 0
; NumSgprs: 4
; NumVgprs: 0
; NumAgprs: 0
; TotalNumVgprs: 0
; ScratchSize: 0
; MemoryBound: 0
; FloatMode: 240
; IeeeMode: 1
; LDSByteSize: 0 bytes/workgroup (compile time only)
; SGPRBlocks: 0
; VGPRBlocks: 0
; NumSGPRsForWavesPerEU: 4
; NumVGPRsForWavesPerEU: 1
; AccumOffset: 4
; Occupancy: 8
; WaveLimiterHint : 0
; COMPUTE_PGM_RSRC2:SCRATCH_EN: 0
; COMPUTE_PGM_RSRC2:USER_SGPR: 6
; COMPUTE_PGM_RSRC2:TRAP_HANDLER: 0
; COMPUTE_PGM_RSRC2:TGID_X_EN: 1
; COMPUTE_PGM_RSRC2:TGID_Y_EN: 0
; COMPUTE_PGM_RSRC2:TGID_Z_EN: 0
; COMPUTE_PGM_RSRC2:TIDIG_COMP_CNT: 0
; COMPUTE_PGM_RSRC3_GFX90A:ACCUM_OFFSET: 0
; COMPUTE_PGM_RSRC3_GFX90A:TG_SPLIT: 0
	.section	.text._ZN7rocprim17ROCPRIM_400000_NS6detail17trampoline_kernelINS0_14default_configENS1_27lower_bound_config_selectorIyiEEZNS1_14transform_implILb0ES3_S5_N6thrust23THRUST_200600_302600_NS6detail15normal_iteratorINS8_10device_ptrIyEEEENSA_INSB_IiEEEEZNS1_13binary_searchIS3_S5_SD_SD_SF_NS1_21lower_bound_search_opENS9_16wrapped_functionINS0_4lessIvEEbEEEE10hipError_tPvRmT1_T2_T3_mmT4_T5_P12ihipStream_tbEUlRKyE_EESM_SQ_SR_mSS_SV_bEUlT_E_NS1_11comp_targetILNS1_3genE2ELNS1_11target_archE906ELNS1_3gpuE6ELNS1_3repE0EEENS1_30default_config_static_selectorELNS0_4arch9wavefront6targetE1EEEvSP_,"axG",@progbits,_ZN7rocprim17ROCPRIM_400000_NS6detail17trampoline_kernelINS0_14default_configENS1_27lower_bound_config_selectorIyiEEZNS1_14transform_implILb0ES3_S5_N6thrust23THRUST_200600_302600_NS6detail15normal_iteratorINS8_10device_ptrIyEEEENSA_INSB_IiEEEEZNS1_13binary_searchIS3_S5_SD_SD_SF_NS1_21lower_bound_search_opENS9_16wrapped_functionINS0_4lessIvEEbEEEE10hipError_tPvRmT1_T2_T3_mmT4_T5_P12ihipStream_tbEUlRKyE_EESM_SQ_SR_mSS_SV_bEUlT_E_NS1_11comp_targetILNS1_3genE2ELNS1_11target_archE906ELNS1_3gpuE6ELNS1_3repE0EEENS1_30default_config_static_selectorELNS0_4arch9wavefront6targetE1EEEvSP_,comdat
	.protected	_ZN7rocprim17ROCPRIM_400000_NS6detail17trampoline_kernelINS0_14default_configENS1_27lower_bound_config_selectorIyiEEZNS1_14transform_implILb0ES3_S5_N6thrust23THRUST_200600_302600_NS6detail15normal_iteratorINS8_10device_ptrIyEEEENSA_INSB_IiEEEEZNS1_13binary_searchIS3_S5_SD_SD_SF_NS1_21lower_bound_search_opENS9_16wrapped_functionINS0_4lessIvEEbEEEE10hipError_tPvRmT1_T2_T3_mmT4_T5_P12ihipStream_tbEUlRKyE_EESM_SQ_SR_mSS_SV_bEUlT_E_NS1_11comp_targetILNS1_3genE2ELNS1_11target_archE906ELNS1_3gpuE6ELNS1_3repE0EEENS1_30default_config_static_selectorELNS0_4arch9wavefront6targetE1EEEvSP_ ; -- Begin function _ZN7rocprim17ROCPRIM_400000_NS6detail17trampoline_kernelINS0_14default_configENS1_27lower_bound_config_selectorIyiEEZNS1_14transform_implILb0ES3_S5_N6thrust23THRUST_200600_302600_NS6detail15normal_iteratorINS8_10device_ptrIyEEEENSA_INSB_IiEEEEZNS1_13binary_searchIS3_S5_SD_SD_SF_NS1_21lower_bound_search_opENS9_16wrapped_functionINS0_4lessIvEEbEEEE10hipError_tPvRmT1_T2_T3_mmT4_T5_P12ihipStream_tbEUlRKyE_EESM_SQ_SR_mSS_SV_bEUlT_E_NS1_11comp_targetILNS1_3genE2ELNS1_11target_archE906ELNS1_3gpuE6ELNS1_3repE0EEENS1_30default_config_static_selectorELNS0_4arch9wavefront6targetE1EEEvSP_
	.globl	_ZN7rocprim17ROCPRIM_400000_NS6detail17trampoline_kernelINS0_14default_configENS1_27lower_bound_config_selectorIyiEEZNS1_14transform_implILb0ES3_S5_N6thrust23THRUST_200600_302600_NS6detail15normal_iteratorINS8_10device_ptrIyEEEENSA_INSB_IiEEEEZNS1_13binary_searchIS3_S5_SD_SD_SF_NS1_21lower_bound_search_opENS9_16wrapped_functionINS0_4lessIvEEbEEEE10hipError_tPvRmT1_T2_T3_mmT4_T5_P12ihipStream_tbEUlRKyE_EESM_SQ_SR_mSS_SV_bEUlT_E_NS1_11comp_targetILNS1_3genE2ELNS1_11target_archE906ELNS1_3gpuE6ELNS1_3repE0EEENS1_30default_config_static_selectorELNS0_4arch9wavefront6targetE1EEEvSP_
	.p2align	8
	.type	_ZN7rocprim17ROCPRIM_400000_NS6detail17trampoline_kernelINS0_14default_configENS1_27lower_bound_config_selectorIyiEEZNS1_14transform_implILb0ES3_S5_N6thrust23THRUST_200600_302600_NS6detail15normal_iteratorINS8_10device_ptrIyEEEENSA_INSB_IiEEEEZNS1_13binary_searchIS3_S5_SD_SD_SF_NS1_21lower_bound_search_opENS9_16wrapped_functionINS0_4lessIvEEbEEEE10hipError_tPvRmT1_T2_T3_mmT4_T5_P12ihipStream_tbEUlRKyE_EESM_SQ_SR_mSS_SV_bEUlT_E_NS1_11comp_targetILNS1_3genE2ELNS1_11target_archE906ELNS1_3gpuE6ELNS1_3repE0EEENS1_30default_config_static_selectorELNS0_4arch9wavefront6targetE1EEEvSP_,@function
_ZN7rocprim17ROCPRIM_400000_NS6detail17trampoline_kernelINS0_14default_configENS1_27lower_bound_config_selectorIyiEEZNS1_14transform_implILb0ES3_S5_N6thrust23THRUST_200600_302600_NS6detail15normal_iteratorINS8_10device_ptrIyEEEENSA_INSB_IiEEEEZNS1_13binary_searchIS3_S5_SD_SD_SF_NS1_21lower_bound_search_opENS9_16wrapped_functionINS0_4lessIvEEbEEEE10hipError_tPvRmT1_T2_T3_mmT4_T5_P12ihipStream_tbEUlRKyE_EESM_SQ_SR_mSS_SV_bEUlT_E_NS1_11comp_targetILNS1_3genE2ELNS1_11target_archE906ELNS1_3gpuE6ELNS1_3repE0EEENS1_30default_config_static_selectorELNS0_4arch9wavefront6targetE1EEEvSP_: ; @_ZN7rocprim17ROCPRIM_400000_NS6detail17trampoline_kernelINS0_14default_configENS1_27lower_bound_config_selectorIyiEEZNS1_14transform_implILb0ES3_S5_N6thrust23THRUST_200600_302600_NS6detail15normal_iteratorINS8_10device_ptrIyEEEENSA_INSB_IiEEEEZNS1_13binary_searchIS3_S5_SD_SD_SF_NS1_21lower_bound_search_opENS9_16wrapped_functionINS0_4lessIvEEbEEEE10hipError_tPvRmT1_T2_T3_mmT4_T5_P12ihipStream_tbEUlRKyE_EESM_SQ_SR_mSS_SV_bEUlT_E_NS1_11comp_targetILNS1_3genE2ELNS1_11target_archE906ELNS1_3gpuE6ELNS1_3repE0EEENS1_30default_config_static_selectorELNS0_4arch9wavefront6targetE1EEEvSP_
; %bb.0:
	.section	.rodata,"a",@progbits
	.p2align	6, 0x0
	.amdhsa_kernel _ZN7rocprim17ROCPRIM_400000_NS6detail17trampoline_kernelINS0_14default_configENS1_27lower_bound_config_selectorIyiEEZNS1_14transform_implILb0ES3_S5_N6thrust23THRUST_200600_302600_NS6detail15normal_iteratorINS8_10device_ptrIyEEEENSA_INSB_IiEEEEZNS1_13binary_searchIS3_S5_SD_SD_SF_NS1_21lower_bound_search_opENS9_16wrapped_functionINS0_4lessIvEEbEEEE10hipError_tPvRmT1_T2_T3_mmT4_T5_P12ihipStream_tbEUlRKyE_EESM_SQ_SR_mSS_SV_bEUlT_E_NS1_11comp_targetILNS1_3genE2ELNS1_11target_archE906ELNS1_3gpuE6ELNS1_3repE0EEENS1_30default_config_static_selectorELNS0_4arch9wavefront6targetE1EEEvSP_
		.amdhsa_group_segment_fixed_size 0
		.amdhsa_private_segment_fixed_size 0
		.amdhsa_kernarg_size 56
		.amdhsa_user_sgpr_count 6
		.amdhsa_user_sgpr_private_segment_buffer 1
		.amdhsa_user_sgpr_dispatch_ptr 0
		.amdhsa_user_sgpr_queue_ptr 0
		.amdhsa_user_sgpr_kernarg_segment_ptr 1
		.amdhsa_user_sgpr_dispatch_id 0
		.amdhsa_user_sgpr_flat_scratch_init 0
		.amdhsa_user_sgpr_kernarg_preload_length 0
		.amdhsa_user_sgpr_kernarg_preload_offset 0
		.amdhsa_user_sgpr_private_segment_size 0
		.amdhsa_uses_dynamic_stack 0
		.amdhsa_system_sgpr_private_segment_wavefront_offset 0
		.amdhsa_system_sgpr_workgroup_id_x 1
		.amdhsa_system_sgpr_workgroup_id_y 0
		.amdhsa_system_sgpr_workgroup_id_z 0
		.amdhsa_system_sgpr_workgroup_info 0
		.amdhsa_system_vgpr_workitem_id 0
		.amdhsa_next_free_vgpr 1
		.amdhsa_next_free_sgpr 0
		.amdhsa_accum_offset 4
		.amdhsa_reserve_vcc 0
		.amdhsa_reserve_flat_scratch 0
		.amdhsa_float_round_mode_32 0
		.amdhsa_float_round_mode_16_64 0
		.amdhsa_float_denorm_mode_32 3
		.amdhsa_float_denorm_mode_16_64 3
		.amdhsa_dx10_clamp 1
		.amdhsa_ieee_mode 1
		.amdhsa_fp16_overflow 0
		.amdhsa_tg_split 0
		.amdhsa_exception_fp_ieee_invalid_op 0
		.amdhsa_exception_fp_denorm_src 0
		.amdhsa_exception_fp_ieee_div_zero 0
		.amdhsa_exception_fp_ieee_overflow 0
		.amdhsa_exception_fp_ieee_underflow 0
		.amdhsa_exception_fp_ieee_inexact 0
		.amdhsa_exception_int_div_zero 0
	.end_amdhsa_kernel
	.section	.text._ZN7rocprim17ROCPRIM_400000_NS6detail17trampoline_kernelINS0_14default_configENS1_27lower_bound_config_selectorIyiEEZNS1_14transform_implILb0ES3_S5_N6thrust23THRUST_200600_302600_NS6detail15normal_iteratorINS8_10device_ptrIyEEEENSA_INSB_IiEEEEZNS1_13binary_searchIS3_S5_SD_SD_SF_NS1_21lower_bound_search_opENS9_16wrapped_functionINS0_4lessIvEEbEEEE10hipError_tPvRmT1_T2_T3_mmT4_T5_P12ihipStream_tbEUlRKyE_EESM_SQ_SR_mSS_SV_bEUlT_E_NS1_11comp_targetILNS1_3genE2ELNS1_11target_archE906ELNS1_3gpuE6ELNS1_3repE0EEENS1_30default_config_static_selectorELNS0_4arch9wavefront6targetE1EEEvSP_,"axG",@progbits,_ZN7rocprim17ROCPRIM_400000_NS6detail17trampoline_kernelINS0_14default_configENS1_27lower_bound_config_selectorIyiEEZNS1_14transform_implILb0ES3_S5_N6thrust23THRUST_200600_302600_NS6detail15normal_iteratorINS8_10device_ptrIyEEEENSA_INSB_IiEEEEZNS1_13binary_searchIS3_S5_SD_SD_SF_NS1_21lower_bound_search_opENS9_16wrapped_functionINS0_4lessIvEEbEEEE10hipError_tPvRmT1_T2_T3_mmT4_T5_P12ihipStream_tbEUlRKyE_EESM_SQ_SR_mSS_SV_bEUlT_E_NS1_11comp_targetILNS1_3genE2ELNS1_11target_archE906ELNS1_3gpuE6ELNS1_3repE0EEENS1_30default_config_static_selectorELNS0_4arch9wavefront6targetE1EEEvSP_,comdat
.Lfunc_end275:
	.size	_ZN7rocprim17ROCPRIM_400000_NS6detail17trampoline_kernelINS0_14default_configENS1_27lower_bound_config_selectorIyiEEZNS1_14transform_implILb0ES3_S5_N6thrust23THRUST_200600_302600_NS6detail15normal_iteratorINS8_10device_ptrIyEEEENSA_INSB_IiEEEEZNS1_13binary_searchIS3_S5_SD_SD_SF_NS1_21lower_bound_search_opENS9_16wrapped_functionINS0_4lessIvEEbEEEE10hipError_tPvRmT1_T2_T3_mmT4_T5_P12ihipStream_tbEUlRKyE_EESM_SQ_SR_mSS_SV_bEUlT_E_NS1_11comp_targetILNS1_3genE2ELNS1_11target_archE906ELNS1_3gpuE6ELNS1_3repE0EEENS1_30default_config_static_selectorELNS0_4arch9wavefront6targetE1EEEvSP_, .Lfunc_end275-_ZN7rocprim17ROCPRIM_400000_NS6detail17trampoline_kernelINS0_14default_configENS1_27lower_bound_config_selectorIyiEEZNS1_14transform_implILb0ES3_S5_N6thrust23THRUST_200600_302600_NS6detail15normal_iteratorINS8_10device_ptrIyEEEENSA_INSB_IiEEEEZNS1_13binary_searchIS3_S5_SD_SD_SF_NS1_21lower_bound_search_opENS9_16wrapped_functionINS0_4lessIvEEbEEEE10hipError_tPvRmT1_T2_T3_mmT4_T5_P12ihipStream_tbEUlRKyE_EESM_SQ_SR_mSS_SV_bEUlT_E_NS1_11comp_targetILNS1_3genE2ELNS1_11target_archE906ELNS1_3gpuE6ELNS1_3repE0EEENS1_30default_config_static_selectorELNS0_4arch9wavefront6targetE1EEEvSP_
                                        ; -- End function
	.section	.AMDGPU.csdata,"",@progbits
; Kernel info:
; codeLenInByte = 0
; NumSgprs: 4
; NumVgprs: 0
; NumAgprs: 0
; TotalNumVgprs: 0
; ScratchSize: 0
; MemoryBound: 0
; FloatMode: 240
; IeeeMode: 1
; LDSByteSize: 0 bytes/workgroup (compile time only)
; SGPRBlocks: 0
; VGPRBlocks: 0
; NumSGPRsForWavesPerEU: 4
; NumVGPRsForWavesPerEU: 1
; AccumOffset: 4
; Occupancy: 8
; WaveLimiterHint : 0
; COMPUTE_PGM_RSRC2:SCRATCH_EN: 0
; COMPUTE_PGM_RSRC2:USER_SGPR: 6
; COMPUTE_PGM_RSRC2:TRAP_HANDLER: 0
; COMPUTE_PGM_RSRC2:TGID_X_EN: 1
; COMPUTE_PGM_RSRC2:TGID_Y_EN: 0
; COMPUTE_PGM_RSRC2:TGID_Z_EN: 0
; COMPUTE_PGM_RSRC2:TIDIG_COMP_CNT: 0
; COMPUTE_PGM_RSRC3_GFX90A:ACCUM_OFFSET: 0
; COMPUTE_PGM_RSRC3_GFX90A:TG_SPLIT: 0
	.section	.text._ZN7rocprim17ROCPRIM_400000_NS6detail17trampoline_kernelINS0_14default_configENS1_27lower_bound_config_selectorIyiEEZNS1_14transform_implILb0ES3_S5_N6thrust23THRUST_200600_302600_NS6detail15normal_iteratorINS8_10device_ptrIyEEEENSA_INSB_IiEEEEZNS1_13binary_searchIS3_S5_SD_SD_SF_NS1_21lower_bound_search_opENS9_16wrapped_functionINS0_4lessIvEEbEEEE10hipError_tPvRmT1_T2_T3_mmT4_T5_P12ihipStream_tbEUlRKyE_EESM_SQ_SR_mSS_SV_bEUlT_E_NS1_11comp_targetILNS1_3genE10ELNS1_11target_archE1201ELNS1_3gpuE5ELNS1_3repE0EEENS1_30default_config_static_selectorELNS0_4arch9wavefront6targetE1EEEvSP_,"axG",@progbits,_ZN7rocprim17ROCPRIM_400000_NS6detail17trampoline_kernelINS0_14default_configENS1_27lower_bound_config_selectorIyiEEZNS1_14transform_implILb0ES3_S5_N6thrust23THRUST_200600_302600_NS6detail15normal_iteratorINS8_10device_ptrIyEEEENSA_INSB_IiEEEEZNS1_13binary_searchIS3_S5_SD_SD_SF_NS1_21lower_bound_search_opENS9_16wrapped_functionINS0_4lessIvEEbEEEE10hipError_tPvRmT1_T2_T3_mmT4_T5_P12ihipStream_tbEUlRKyE_EESM_SQ_SR_mSS_SV_bEUlT_E_NS1_11comp_targetILNS1_3genE10ELNS1_11target_archE1201ELNS1_3gpuE5ELNS1_3repE0EEENS1_30default_config_static_selectorELNS0_4arch9wavefront6targetE1EEEvSP_,comdat
	.protected	_ZN7rocprim17ROCPRIM_400000_NS6detail17trampoline_kernelINS0_14default_configENS1_27lower_bound_config_selectorIyiEEZNS1_14transform_implILb0ES3_S5_N6thrust23THRUST_200600_302600_NS6detail15normal_iteratorINS8_10device_ptrIyEEEENSA_INSB_IiEEEEZNS1_13binary_searchIS3_S5_SD_SD_SF_NS1_21lower_bound_search_opENS9_16wrapped_functionINS0_4lessIvEEbEEEE10hipError_tPvRmT1_T2_T3_mmT4_T5_P12ihipStream_tbEUlRKyE_EESM_SQ_SR_mSS_SV_bEUlT_E_NS1_11comp_targetILNS1_3genE10ELNS1_11target_archE1201ELNS1_3gpuE5ELNS1_3repE0EEENS1_30default_config_static_selectorELNS0_4arch9wavefront6targetE1EEEvSP_ ; -- Begin function _ZN7rocprim17ROCPRIM_400000_NS6detail17trampoline_kernelINS0_14default_configENS1_27lower_bound_config_selectorIyiEEZNS1_14transform_implILb0ES3_S5_N6thrust23THRUST_200600_302600_NS6detail15normal_iteratorINS8_10device_ptrIyEEEENSA_INSB_IiEEEEZNS1_13binary_searchIS3_S5_SD_SD_SF_NS1_21lower_bound_search_opENS9_16wrapped_functionINS0_4lessIvEEbEEEE10hipError_tPvRmT1_T2_T3_mmT4_T5_P12ihipStream_tbEUlRKyE_EESM_SQ_SR_mSS_SV_bEUlT_E_NS1_11comp_targetILNS1_3genE10ELNS1_11target_archE1201ELNS1_3gpuE5ELNS1_3repE0EEENS1_30default_config_static_selectorELNS0_4arch9wavefront6targetE1EEEvSP_
	.globl	_ZN7rocprim17ROCPRIM_400000_NS6detail17trampoline_kernelINS0_14default_configENS1_27lower_bound_config_selectorIyiEEZNS1_14transform_implILb0ES3_S5_N6thrust23THRUST_200600_302600_NS6detail15normal_iteratorINS8_10device_ptrIyEEEENSA_INSB_IiEEEEZNS1_13binary_searchIS3_S5_SD_SD_SF_NS1_21lower_bound_search_opENS9_16wrapped_functionINS0_4lessIvEEbEEEE10hipError_tPvRmT1_T2_T3_mmT4_T5_P12ihipStream_tbEUlRKyE_EESM_SQ_SR_mSS_SV_bEUlT_E_NS1_11comp_targetILNS1_3genE10ELNS1_11target_archE1201ELNS1_3gpuE5ELNS1_3repE0EEENS1_30default_config_static_selectorELNS0_4arch9wavefront6targetE1EEEvSP_
	.p2align	8
	.type	_ZN7rocprim17ROCPRIM_400000_NS6detail17trampoline_kernelINS0_14default_configENS1_27lower_bound_config_selectorIyiEEZNS1_14transform_implILb0ES3_S5_N6thrust23THRUST_200600_302600_NS6detail15normal_iteratorINS8_10device_ptrIyEEEENSA_INSB_IiEEEEZNS1_13binary_searchIS3_S5_SD_SD_SF_NS1_21lower_bound_search_opENS9_16wrapped_functionINS0_4lessIvEEbEEEE10hipError_tPvRmT1_T2_T3_mmT4_T5_P12ihipStream_tbEUlRKyE_EESM_SQ_SR_mSS_SV_bEUlT_E_NS1_11comp_targetILNS1_3genE10ELNS1_11target_archE1201ELNS1_3gpuE5ELNS1_3repE0EEENS1_30default_config_static_selectorELNS0_4arch9wavefront6targetE1EEEvSP_,@function
_ZN7rocprim17ROCPRIM_400000_NS6detail17trampoline_kernelINS0_14default_configENS1_27lower_bound_config_selectorIyiEEZNS1_14transform_implILb0ES3_S5_N6thrust23THRUST_200600_302600_NS6detail15normal_iteratorINS8_10device_ptrIyEEEENSA_INSB_IiEEEEZNS1_13binary_searchIS3_S5_SD_SD_SF_NS1_21lower_bound_search_opENS9_16wrapped_functionINS0_4lessIvEEbEEEE10hipError_tPvRmT1_T2_T3_mmT4_T5_P12ihipStream_tbEUlRKyE_EESM_SQ_SR_mSS_SV_bEUlT_E_NS1_11comp_targetILNS1_3genE10ELNS1_11target_archE1201ELNS1_3gpuE5ELNS1_3repE0EEENS1_30default_config_static_selectorELNS0_4arch9wavefront6targetE1EEEvSP_: ; @_ZN7rocprim17ROCPRIM_400000_NS6detail17trampoline_kernelINS0_14default_configENS1_27lower_bound_config_selectorIyiEEZNS1_14transform_implILb0ES3_S5_N6thrust23THRUST_200600_302600_NS6detail15normal_iteratorINS8_10device_ptrIyEEEENSA_INSB_IiEEEEZNS1_13binary_searchIS3_S5_SD_SD_SF_NS1_21lower_bound_search_opENS9_16wrapped_functionINS0_4lessIvEEbEEEE10hipError_tPvRmT1_T2_T3_mmT4_T5_P12ihipStream_tbEUlRKyE_EESM_SQ_SR_mSS_SV_bEUlT_E_NS1_11comp_targetILNS1_3genE10ELNS1_11target_archE1201ELNS1_3gpuE5ELNS1_3repE0EEENS1_30default_config_static_selectorELNS0_4arch9wavefront6targetE1EEEvSP_
; %bb.0:
	.section	.rodata,"a",@progbits
	.p2align	6, 0x0
	.amdhsa_kernel _ZN7rocprim17ROCPRIM_400000_NS6detail17trampoline_kernelINS0_14default_configENS1_27lower_bound_config_selectorIyiEEZNS1_14transform_implILb0ES3_S5_N6thrust23THRUST_200600_302600_NS6detail15normal_iteratorINS8_10device_ptrIyEEEENSA_INSB_IiEEEEZNS1_13binary_searchIS3_S5_SD_SD_SF_NS1_21lower_bound_search_opENS9_16wrapped_functionINS0_4lessIvEEbEEEE10hipError_tPvRmT1_T2_T3_mmT4_T5_P12ihipStream_tbEUlRKyE_EESM_SQ_SR_mSS_SV_bEUlT_E_NS1_11comp_targetILNS1_3genE10ELNS1_11target_archE1201ELNS1_3gpuE5ELNS1_3repE0EEENS1_30default_config_static_selectorELNS0_4arch9wavefront6targetE1EEEvSP_
		.amdhsa_group_segment_fixed_size 0
		.amdhsa_private_segment_fixed_size 0
		.amdhsa_kernarg_size 56
		.amdhsa_user_sgpr_count 6
		.amdhsa_user_sgpr_private_segment_buffer 1
		.amdhsa_user_sgpr_dispatch_ptr 0
		.amdhsa_user_sgpr_queue_ptr 0
		.amdhsa_user_sgpr_kernarg_segment_ptr 1
		.amdhsa_user_sgpr_dispatch_id 0
		.amdhsa_user_sgpr_flat_scratch_init 0
		.amdhsa_user_sgpr_kernarg_preload_length 0
		.amdhsa_user_sgpr_kernarg_preload_offset 0
		.amdhsa_user_sgpr_private_segment_size 0
		.amdhsa_uses_dynamic_stack 0
		.amdhsa_system_sgpr_private_segment_wavefront_offset 0
		.amdhsa_system_sgpr_workgroup_id_x 1
		.amdhsa_system_sgpr_workgroup_id_y 0
		.amdhsa_system_sgpr_workgroup_id_z 0
		.amdhsa_system_sgpr_workgroup_info 0
		.amdhsa_system_vgpr_workitem_id 0
		.amdhsa_next_free_vgpr 1
		.amdhsa_next_free_sgpr 0
		.amdhsa_accum_offset 4
		.amdhsa_reserve_vcc 0
		.amdhsa_reserve_flat_scratch 0
		.amdhsa_float_round_mode_32 0
		.amdhsa_float_round_mode_16_64 0
		.amdhsa_float_denorm_mode_32 3
		.amdhsa_float_denorm_mode_16_64 3
		.amdhsa_dx10_clamp 1
		.amdhsa_ieee_mode 1
		.amdhsa_fp16_overflow 0
		.amdhsa_tg_split 0
		.amdhsa_exception_fp_ieee_invalid_op 0
		.amdhsa_exception_fp_denorm_src 0
		.amdhsa_exception_fp_ieee_div_zero 0
		.amdhsa_exception_fp_ieee_overflow 0
		.amdhsa_exception_fp_ieee_underflow 0
		.amdhsa_exception_fp_ieee_inexact 0
		.amdhsa_exception_int_div_zero 0
	.end_amdhsa_kernel
	.section	.text._ZN7rocprim17ROCPRIM_400000_NS6detail17trampoline_kernelINS0_14default_configENS1_27lower_bound_config_selectorIyiEEZNS1_14transform_implILb0ES3_S5_N6thrust23THRUST_200600_302600_NS6detail15normal_iteratorINS8_10device_ptrIyEEEENSA_INSB_IiEEEEZNS1_13binary_searchIS3_S5_SD_SD_SF_NS1_21lower_bound_search_opENS9_16wrapped_functionINS0_4lessIvEEbEEEE10hipError_tPvRmT1_T2_T3_mmT4_T5_P12ihipStream_tbEUlRKyE_EESM_SQ_SR_mSS_SV_bEUlT_E_NS1_11comp_targetILNS1_3genE10ELNS1_11target_archE1201ELNS1_3gpuE5ELNS1_3repE0EEENS1_30default_config_static_selectorELNS0_4arch9wavefront6targetE1EEEvSP_,"axG",@progbits,_ZN7rocprim17ROCPRIM_400000_NS6detail17trampoline_kernelINS0_14default_configENS1_27lower_bound_config_selectorIyiEEZNS1_14transform_implILb0ES3_S5_N6thrust23THRUST_200600_302600_NS6detail15normal_iteratorINS8_10device_ptrIyEEEENSA_INSB_IiEEEEZNS1_13binary_searchIS3_S5_SD_SD_SF_NS1_21lower_bound_search_opENS9_16wrapped_functionINS0_4lessIvEEbEEEE10hipError_tPvRmT1_T2_T3_mmT4_T5_P12ihipStream_tbEUlRKyE_EESM_SQ_SR_mSS_SV_bEUlT_E_NS1_11comp_targetILNS1_3genE10ELNS1_11target_archE1201ELNS1_3gpuE5ELNS1_3repE0EEENS1_30default_config_static_selectorELNS0_4arch9wavefront6targetE1EEEvSP_,comdat
.Lfunc_end276:
	.size	_ZN7rocprim17ROCPRIM_400000_NS6detail17trampoline_kernelINS0_14default_configENS1_27lower_bound_config_selectorIyiEEZNS1_14transform_implILb0ES3_S5_N6thrust23THRUST_200600_302600_NS6detail15normal_iteratorINS8_10device_ptrIyEEEENSA_INSB_IiEEEEZNS1_13binary_searchIS3_S5_SD_SD_SF_NS1_21lower_bound_search_opENS9_16wrapped_functionINS0_4lessIvEEbEEEE10hipError_tPvRmT1_T2_T3_mmT4_T5_P12ihipStream_tbEUlRKyE_EESM_SQ_SR_mSS_SV_bEUlT_E_NS1_11comp_targetILNS1_3genE10ELNS1_11target_archE1201ELNS1_3gpuE5ELNS1_3repE0EEENS1_30default_config_static_selectorELNS0_4arch9wavefront6targetE1EEEvSP_, .Lfunc_end276-_ZN7rocprim17ROCPRIM_400000_NS6detail17trampoline_kernelINS0_14default_configENS1_27lower_bound_config_selectorIyiEEZNS1_14transform_implILb0ES3_S5_N6thrust23THRUST_200600_302600_NS6detail15normal_iteratorINS8_10device_ptrIyEEEENSA_INSB_IiEEEEZNS1_13binary_searchIS3_S5_SD_SD_SF_NS1_21lower_bound_search_opENS9_16wrapped_functionINS0_4lessIvEEbEEEE10hipError_tPvRmT1_T2_T3_mmT4_T5_P12ihipStream_tbEUlRKyE_EESM_SQ_SR_mSS_SV_bEUlT_E_NS1_11comp_targetILNS1_3genE10ELNS1_11target_archE1201ELNS1_3gpuE5ELNS1_3repE0EEENS1_30default_config_static_selectorELNS0_4arch9wavefront6targetE1EEEvSP_
                                        ; -- End function
	.section	.AMDGPU.csdata,"",@progbits
; Kernel info:
; codeLenInByte = 0
; NumSgprs: 4
; NumVgprs: 0
; NumAgprs: 0
; TotalNumVgprs: 0
; ScratchSize: 0
; MemoryBound: 0
; FloatMode: 240
; IeeeMode: 1
; LDSByteSize: 0 bytes/workgroup (compile time only)
; SGPRBlocks: 0
; VGPRBlocks: 0
; NumSGPRsForWavesPerEU: 4
; NumVGPRsForWavesPerEU: 1
; AccumOffset: 4
; Occupancy: 8
; WaveLimiterHint : 0
; COMPUTE_PGM_RSRC2:SCRATCH_EN: 0
; COMPUTE_PGM_RSRC2:USER_SGPR: 6
; COMPUTE_PGM_RSRC2:TRAP_HANDLER: 0
; COMPUTE_PGM_RSRC2:TGID_X_EN: 1
; COMPUTE_PGM_RSRC2:TGID_Y_EN: 0
; COMPUTE_PGM_RSRC2:TGID_Z_EN: 0
; COMPUTE_PGM_RSRC2:TIDIG_COMP_CNT: 0
; COMPUTE_PGM_RSRC3_GFX90A:ACCUM_OFFSET: 0
; COMPUTE_PGM_RSRC3_GFX90A:TG_SPLIT: 0
	.section	.text._ZN7rocprim17ROCPRIM_400000_NS6detail17trampoline_kernelINS0_14default_configENS1_27lower_bound_config_selectorIyiEEZNS1_14transform_implILb0ES3_S5_N6thrust23THRUST_200600_302600_NS6detail15normal_iteratorINS8_10device_ptrIyEEEENSA_INSB_IiEEEEZNS1_13binary_searchIS3_S5_SD_SD_SF_NS1_21lower_bound_search_opENS9_16wrapped_functionINS0_4lessIvEEbEEEE10hipError_tPvRmT1_T2_T3_mmT4_T5_P12ihipStream_tbEUlRKyE_EESM_SQ_SR_mSS_SV_bEUlT_E_NS1_11comp_targetILNS1_3genE10ELNS1_11target_archE1200ELNS1_3gpuE4ELNS1_3repE0EEENS1_30default_config_static_selectorELNS0_4arch9wavefront6targetE1EEEvSP_,"axG",@progbits,_ZN7rocprim17ROCPRIM_400000_NS6detail17trampoline_kernelINS0_14default_configENS1_27lower_bound_config_selectorIyiEEZNS1_14transform_implILb0ES3_S5_N6thrust23THRUST_200600_302600_NS6detail15normal_iteratorINS8_10device_ptrIyEEEENSA_INSB_IiEEEEZNS1_13binary_searchIS3_S5_SD_SD_SF_NS1_21lower_bound_search_opENS9_16wrapped_functionINS0_4lessIvEEbEEEE10hipError_tPvRmT1_T2_T3_mmT4_T5_P12ihipStream_tbEUlRKyE_EESM_SQ_SR_mSS_SV_bEUlT_E_NS1_11comp_targetILNS1_3genE10ELNS1_11target_archE1200ELNS1_3gpuE4ELNS1_3repE0EEENS1_30default_config_static_selectorELNS0_4arch9wavefront6targetE1EEEvSP_,comdat
	.protected	_ZN7rocprim17ROCPRIM_400000_NS6detail17trampoline_kernelINS0_14default_configENS1_27lower_bound_config_selectorIyiEEZNS1_14transform_implILb0ES3_S5_N6thrust23THRUST_200600_302600_NS6detail15normal_iteratorINS8_10device_ptrIyEEEENSA_INSB_IiEEEEZNS1_13binary_searchIS3_S5_SD_SD_SF_NS1_21lower_bound_search_opENS9_16wrapped_functionINS0_4lessIvEEbEEEE10hipError_tPvRmT1_T2_T3_mmT4_T5_P12ihipStream_tbEUlRKyE_EESM_SQ_SR_mSS_SV_bEUlT_E_NS1_11comp_targetILNS1_3genE10ELNS1_11target_archE1200ELNS1_3gpuE4ELNS1_3repE0EEENS1_30default_config_static_selectorELNS0_4arch9wavefront6targetE1EEEvSP_ ; -- Begin function _ZN7rocprim17ROCPRIM_400000_NS6detail17trampoline_kernelINS0_14default_configENS1_27lower_bound_config_selectorIyiEEZNS1_14transform_implILb0ES3_S5_N6thrust23THRUST_200600_302600_NS6detail15normal_iteratorINS8_10device_ptrIyEEEENSA_INSB_IiEEEEZNS1_13binary_searchIS3_S5_SD_SD_SF_NS1_21lower_bound_search_opENS9_16wrapped_functionINS0_4lessIvEEbEEEE10hipError_tPvRmT1_T2_T3_mmT4_T5_P12ihipStream_tbEUlRKyE_EESM_SQ_SR_mSS_SV_bEUlT_E_NS1_11comp_targetILNS1_3genE10ELNS1_11target_archE1200ELNS1_3gpuE4ELNS1_3repE0EEENS1_30default_config_static_selectorELNS0_4arch9wavefront6targetE1EEEvSP_
	.globl	_ZN7rocprim17ROCPRIM_400000_NS6detail17trampoline_kernelINS0_14default_configENS1_27lower_bound_config_selectorIyiEEZNS1_14transform_implILb0ES3_S5_N6thrust23THRUST_200600_302600_NS6detail15normal_iteratorINS8_10device_ptrIyEEEENSA_INSB_IiEEEEZNS1_13binary_searchIS3_S5_SD_SD_SF_NS1_21lower_bound_search_opENS9_16wrapped_functionINS0_4lessIvEEbEEEE10hipError_tPvRmT1_T2_T3_mmT4_T5_P12ihipStream_tbEUlRKyE_EESM_SQ_SR_mSS_SV_bEUlT_E_NS1_11comp_targetILNS1_3genE10ELNS1_11target_archE1200ELNS1_3gpuE4ELNS1_3repE0EEENS1_30default_config_static_selectorELNS0_4arch9wavefront6targetE1EEEvSP_
	.p2align	8
	.type	_ZN7rocprim17ROCPRIM_400000_NS6detail17trampoline_kernelINS0_14default_configENS1_27lower_bound_config_selectorIyiEEZNS1_14transform_implILb0ES3_S5_N6thrust23THRUST_200600_302600_NS6detail15normal_iteratorINS8_10device_ptrIyEEEENSA_INSB_IiEEEEZNS1_13binary_searchIS3_S5_SD_SD_SF_NS1_21lower_bound_search_opENS9_16wrapped_functionINS0_4lessIvEEbEEEE10hipError_tPvRmT1_T2_T3_mmT4_T5_P12ihipStream_tbEUlRKyE_EESM_SQ_SR_mSS_SV_bEUlT_E_NS1_11comp_targetILNS1_3genE10ELNS1_11target_archE1200ELNS1_3gpuE4ELNS1_3repE0EEENS1_30default_config_static_selectorELNS0_4arch9wavefront6targetE1EEEvSP_,@function
_ZN7rocprim17ROCPRIM_400000_NS6detail17trampoline_kernelINS0_14default_configENS1_27lower_bound_config_selectorIyiEEZNS1_14transform_implILb0ES3_S5_N6thrust23THRUST_200600_302600_NS6detail15normal_iteratorINS8_10device_ptrIyEEEENSA_INSB_IiEEEEZNS1_13binary_searchIS3_S5_SD_SD_SF_NS1_21lower_bound_search_opENS9_16wrapped_functionINS0_4lessIvEEbEEEE10hipError_tPvRmT1_T2_T3_mmT4_T5_P12ihipStream_tbEUlRKyE_EESM_SQ_SR_mSS_SV_bEUlT_E_NS1_11comp_targetILNS1_3genE10ELNS1_11target_archE1200ELNS1_3gpuE4ELNS1_3repE0EEENS1_30default_config_static_selectorELNS0_4arch9wavefront6targetE1EEEvSP_: ; @_ZN7rocprim17ROCPRIM_400000_NS6detail17trampoline_kernelINS0_14default_configENS1_27lower_bound_config_selectorIyiEEZNS1_14transform_implILb0ES3_S5_N6thrust23THRUST_200600_302600_NS6detail15normal_iteratorINS8_10device_ptrIyEEEENSA_INSB_IiEEEEZNS1_13binary_searchIS3_S5_SD_SD_SF_NS1_21lower_bound_search_opENS9_16wrapped_functionINS0_4lessIvEEbEEEE10hipError_tPvRmT1_T2_T3_mmT4_T5_P12ihipStream_tbEUlRKyE_EESM_SQ_SR_mSS_SV_bEUlT_E_NS1_11comp_targetILNS1_3genE10ELNS1_11target_archE1200ELNS1_3gpuE4ELNS1_3repE0EEENS1_30default_config_static_selectorELNS0_4arch9wavefront6targetE1EEEvSP_
; %bb.0:
	.section	.rodata,"a",@progbits
	.p2align	6, 0x0
	.amdhsa_kernel _ZN7rocprim17ROCPRIM_400000_NS6detail17trampoline_kernelINS0_14default_configENS1_27lower_bound_config_selectorIyiEEZNS1_14transform_implILb0ES3_S5_N6thrust23THRUST_200600_302600_NS6detail15normal_iteratorINS8_10device_ptrIyEEEENSA_INSB_IiEEEEZNS1_13binary_searchIS3_S5_SD_SD_SF_NS1_21lower_bound_search_opENS9_16wrapped_functionINS0_4lessIvEEbEEEE10hipError_tPvRmT1_T2_T3_mmT4_T5_P12ihipStream_tbEUlRKyE_EESM_SQ_SR_mSS_SV_bEUlT_E_NS1_11comp_targetILNS1_3genE10ELNS1_11target_archE1200ELNS1_3gpuE4ELNS1_3repE0EEENS1_30default_config_static_selectorELNS0_4arch9wavefront6targetE1EEEvSP_
		.amdhsa_group_segment_fixed_size 0
		.amdhsa_private_segment_fixed_size 0
		.amdhsa_kernarg_size 56
		.amdhsa_user_sgpr_count 6
		.amdhsa_user_sgpr_private_segment_buffer 1
		.amdhsa_user_sgpr_dispatch_ptr 0
		.amdhsa_user_sgpr_queue_ptr 0
		.amdhsa_user_sgpr_kernarg_segment_ptr 1
		.amdhsa_user_sgpr_dispatch_id 0
		.amdhsa_user_sgpr_flat_scratch_init 0
		.amdhsa_user_sgpr_kernarg_preload_length 0
		.amdhsa_user_sgpr_kernarg_preload_offset 0
		.amdhsa_user_sgpr_private_segment_size 0
		.amdhsa_uses_dynamic_stack 0
		.amdhsa_system_sgpr_private_segment_wavefront_offset 0
		.amdhsa_system_sgpr_workgroup_id_x 1
		.amdhsa_system_sgpr_workgroup_id_y 0
		.amdhsa_system_sgpr_workgroup_id_z 0
		.amdhsa_system_sgpr_workgroup_info 0
		.amdhsa_system_vgpr_workitem_id 0
		.amdhsa_next_free_vgpr 1
		.amdhsa_next_free_sgpr 0
		.amdhsa_accum_offset 4
		.amdhsa_reserve_vcc 0
		.amdhsa_reserve_flat_scratch 0
		.amdhsa_float_round_mode_32 0
		.amdhsa_float_round_mode_16_64 0
		.amdhsa_float_denorm_mode_32 3
		.amdhsa_float_denorm_mode_16_64 3
		.amdhsa_dx10_clamp 1
		.amdhsa_ieee_mode 1
		.amdhsa_fp16_overflow 0
		.amdhsa_tg_split 0
		.amdhsa_exception_fp_ieee_invalid_op 0
		.amdhsa_exception_fp_denorm_src 0
		.amdhsa_exception_fp_ieee_div_zero 0
		.amdhsa_exception_fp_ieee_overflow 0
		.amdhsa_exception_fp_ieee_underflow 0
		.amdhsa_exception_fp_ieee_inexact 0
		.amdhsa_exception_int_div_zero 0
	.end_amdhsa_kernel
	.section	.text._ZN7rocprim17ROCPRIM_400000_NS6detail17trampoline_kernelINS0_14default_configENS1_27lower_bound_config_selectorIyiEEZNS1_14transform_implILb0ES3_S5_N6thrust23THRUST_200600_302600_NS6detail15normal_iteratorINS8_10device_ptrIyEEEENSA_INSB_IiEEEEZNS1_13binary_searchIS3_S5_SD_SD_SF_NS1_21lower_bound_search_opENS9_16wrapped_functionINS0_4lessIvEEbEEEE10hipError_tPvRmT1_T2_T3_mmT4_T5_P12ihipStream_tbEUlRKyE_EESM_SQ_SR_mSS_SV_bEUlT_E_NS1_11comp_targetILNS1_3genE10ELNS1_11target_archE1200ELNS1_3gpuE4ELNS1_3repE0EEENS1_30default_config_static_selectorELNS0_4arch9wavefront6targetE1EEEvSP_,"axG",@progbits,_ZN7rocprim17ROCPRIM_400000_NS6detail17trampoline_kernelINS0_14default_configENS1_27lower_bound_config_selectorIyiEEZNS1_14transform_implILb0ES3_S5_N6thrust23THRUST_200600_302600_NS6detail15normal_iteratorINS8_10device_ptrIyEEEENSA_INSB_IiEEEEZNS1_13binary_searchIS3_S5_SD_SD_SF_NS1_21lower_bound_search_opENS9_16wrapped_functionINS0_4lessIvEEbEEEE10hipError_tPvRmT1_T2_T3_mmT4_T5_P12ihipStream_tbEUlRKyE_EESM_SQ_SR_mSS_SV_bEUlT_E_NS1_11comp_targetILNS1_3genE10ELNS1_11target_archE1200ELNS1_3gpuE4ELNS1_3repE0EEENS1_30default_config_static_selectorELNS0_4arch9wavefront6targetE1EEEvSP_,comdat
.Lfunc_end277:
	.size	_ZN7rocprim17ROCPRIM_400000_NS6detail17trampoline_kernelINS0_14default_configENS1_27lower_bound_config_selectorIyiEEZNS1_14transform_implILb0ES3_S5_N6thrust23THRUST_200600_302600_NS6detail15normal_iteratorINS8_10device_ptrIyEEEENSA_INSB_IiEEEEZNS1_13binary_searchIS3_S5_SD_SD_SF_NS1_21lower_bound_search_opENS9_16wrapped_functionINS0_4lessIvEEbEEEE10hipError_tPvRmT1_T2_T3_mmT4_T5_P12ihipStream_tbEUlRKyE_EESM_SQ_SR_mSS_SV_bEUlT_E_NS1_11comp_targetILNS1_3genE10ELNS1_11target_archE1200ELNS1_3gpuE4ELNS1_3repE0EEENS1_30default_config_static_selectorELNS0_4arch9wavefront6targetE1EEEvSP_, .Lfunc_end277-_ZN7rocprim17ROCPRIM_400000_NS6detail17trampoline_kernelINS0_14default_configENS1_27lower_bound_config_selectorIyiEEZNS1_14transform_implILb0ES3_S5_N6thrust23THRUST_200600_302600_NS6detail15normal_iteratorINS8_10device_ptrIyEEEENSA_INSB_IiEEEEZNS1_13binary_searchIS3_S5_SD_SD_SF_NS1_21lower_bound_search_opENS9_16wrapped_functionINS0_4lessIvEEbEEEE10hipError_tPvRmT1_T2_T3_mmT4_T5_P12ihipStream_tbEUlRKyE_EESM_SQ_SR_mSS_SV_bEUlT_E_NS1_11comp_targetILNS1_3genE10ELNS1_11target_archE1200ELNS1_3gpuE4ELNS1_3repE0EEENS1_30default_config_static_selectorELNS0_4arch9wavefront6targetE1EEEvSP_
                                        ; -- End function
	.section	.AMDGPU.csdata,"",@progbits
; Kernel info:
; codeLenInByte = 0
; NumSgprs: 4
; NumVgprs: 0
; NumAgprs: 0
; TotalNumVgprs: 0
; ScratchSize: 0
; MemoryBound: 0
; FloatMode: 240
; IeeeMode: 1
; LDSByteSize: 0 bytes/workgroup (compile time only)
; SGPRBlocks: 0
; VGPRBlocks: 0
; NumSGPRsForWavesPerEU: 4
; NumVGPRsForWavesPerEU: 1
; AccumOffset: 4
; Occupancy: 8
; WaveLimiterHint : 0
; COMPUTE_PGM_RSRC2:SCRATCH_EN: 0
; COMPUTE_PGM_RSRC2:USER_SGPR: 6
; COMPUTE_PGM_RSRC2:TRAP_HANDLER: 0
; COMPUTE_PGM_RSRC2:TGID_X_EN: 1
; COMPUTE_PGM_RSRC2:TGID_Y_EN: 0
; COMPUTE_PGM_RSRC2:TGID_Z_EN: 0
; COMPUTE_PGM_RSRC2:TIDIG_COMP_CNT: 0
; COMPUTE_PGM_RSRC3_GFX90A:ACCUM_OFFSET: 0
; COMPUTE_PGM_RSRC3_GFX90A:TG_SPLIT: 0
	.section	.text._ZN7rocprim17ROCPRIM_400000_NS6detail17trampoline_kernelINS0_14default_configENS1_27lower_bound_config_selectorIyiEEZNS1_14transform_implILb0ES3_S5_N6thrust23THRUST_200600_302600_NS6detail15normal_iteratorINS8_10device_ptrIyEEEENSA_INSB_IiEEEEZNS1_13binary_searchIS3_S5_SD_SD_SF_NS1_21lower_bound_search_opENS9_16wrapped_functionINS0_4lessIvEEbEEEE10hipError_tPvRmT1_T2_T3_mmT4_T5_P12ihipStream_tbEUlRKyE_EESM_SQ_SR_mSS_SV_bEUlT_E_NS1_11comp_targetILNS1_3genE9ELNS1_11target_archE1100ELNS1_3gpuE3ELNS1_3repE0EEENS1_30default_config_static_selectorELNS0_4arch9wavefront6targetE1EEEvSP_,"axG",@progbits,_ZN7rocprim17ROCPRIM_400000_NS6detail17trampoline_kernelINS0_14default_configENS1_27lower_bound_config_selectorIyiEEZNS1_14transform_implILb0ES3_S5_N6thrust23THRUST_200600_302600_NS6detail15normal_iteratorINS8_10device_ptrIyEEEENSA_INSB_IiEEEEZNS1_13binary_searchIS3_S5_SD_SD_SF_NS1_21lower_bound_search_opENS9_16wrapped_functionINS0_4lessIvEEbEEEE10hipError_tPvRmT1_T2_T3_mmT4_T5_P12ihipStream_tbEUlRKyE_EESM_SQ_SR_mSS_SV_bEUlT_E_NS1_11comp_targetILNS1_3genE9ELNS1_11target_archE1100ELNS1_3gpuE3ELNS1_3repE0EEENS1_30default_config_static_selectorELNS0_4arch9wavefront6targetE1EEEvSP_,comdat
	.protected	_ZN7rocprim17ROCPRIM_400000_NS6detail17trampoline_kernelINS0_14default_configENS1_27lower_bound_config_selectorIyiEEZNS1_14transform_implILb0ES3_S5_N6thrust23THRUST_200600_302600_NS6detail15normal_iteratorINS8_10device_ptrIyEEEENSA_INSB_IiEEEEZNS1_13binary_searchIS3_S5_SD_SD_SF_NS1_21lower_bound_search_opENS9_16wrapped_functionINS0_4lessIvEEbEEEE10hipError_tPvRmT1_T2_T3_mmT4_T5_P12ihipStream_tbEUlRKyE_EESM_SQ_SR_mSS_SV_bEUlT_E_NS1_11comp_targetILNS1_3genE9ELNS1_11target_archE1100ELNS1_3gpuE3ELNS1_3repE0EEENS1_30default_config_static_selectorELNS0_4arch9wavefront6targetE1EEEvSP_ ; -- Begin function _ZN7rocprim17ROCPRIM_400000_NS6detail17trampoline_kernelINS0_14default_configENS1_27lower_bound_config_selectorIyiEEZNS1_14transform_implILb0ES3_S5_N6thrust23THRUST_200600_302600_NS6detail15normal_iteratorINS8_10device_ptrIyEEEENSA_INSB_IiEEEEZNS1_13binary_searchIS3_S5_SD_SD_SF_NS1_21lower_bound_search_opENS9_16wrapped_functionINS0_4lessIvEEbEEEE10hipError_tPvRmT1_T2_T3_mmT4_T5_P12ihipStream_tbEUlRKyE_EESM_SQ_SR_mSS_SV_bEUlT_E_NS1_11comp_targetILNS1_3genE9ELNS1_11target_archE1100ELNS1_3gpuE3ELNS1_3repE0EEENS1_30default_config_static_selectorELNS0_4arch9wavefront6targetE1EEEvSP_
	.globl	_ZN7rocprim17ROCPRIM_400000_NS6detail17trampoline_kernelINS0_14default_configENS1_27lower_bound_config_selectorIyiEEZNS1_14transform_implILb0ES3_S5_N6thrust23THRUST_200600_302600_NS6detail15normal_iteratorINS8_10device_ptrIyEEEENSA_INSB_IiEEEEZNS1_13binary_searchIS3_S5_SD_SD_SF_NS1_21lower_bound_search_opENS9_16wrapped_functionINS0_4lessIvEEbEEEE10hipError_tPvRmT1_T2_T3_mmT4_T5_P12ihipStream_tbEUlRKyE_EESM_SQ_SR_mSS_SV_bEUlT_E_NS1_11comp_targetILNS1_3genE9ELNS1_11target_archE1100ELNS1_3gpuE3ELNS1_3repE0EEENS1_30default_config_static_selectorELNS0_4arch9wavefront6targetE1EEEvSP_
	.p2align	8
	.type	_ZN7rocprim17ROCPRIM_400000_NS6detail17trampoline_kernelINS0_14default_configENS1_27lower_bound_config_selectorIyiEEZNS1_14transform_implILb0ES3_S5_N6thrust23THRUST_200600_302600_NS6detail15normal_iteratorINS8_10device_ptrIyEEEENSA_INSB_IiEEEEZNS1_13binary_searchIS3_S5_SD_SD_SF_NS1_21lower_bound_search_opENS9_16wrapped_functionINS0_4lessIvEEbEEEE10hipError_tPvRmT1_T2_T3_mmT4_T5_P12ihipStream_tbEUlRKyE_EESM_SQ_SR_mSS_SV_bEUlT_E_NS1_11comp_targetILNS1_3genE9ELNS1_11target_archE1100ELNS1_3gpuE3ELNS1_3repE0EEENS1_30default_config_static_selectorELNS0_4arch9wavefront6targetE1EEEvSP_,@function
_ZN7rocprim17ROCPRIM_400000_NS6detail17trampoline_kernelINS0_14default_configENS1_27lower_bound_config_selectorIyiEEZNS1_14transform_implILb0ES3_S5_N6thrust23THRUST_200600_302600_NS6detail15normal_iteratorINS8_10device_ptrIyEEEENSA_INSB_IiEEEEZNS1_13binary_searchIS3_S5_SD_SD_SF_NS1_21lower_bound_search_opENS9_16wrapped_functionINS0_4lessIvEEbEEEE10hipError_tPvRmT1_T2_T3_mmT4_T5_P12ihipStream_tbEUlRKyE_EESM_SQ_SR_mSS_SV_bEUlT_E_NS1_11comp_targetILNS1_3genE9ELNS1_11target_archE1100ELNS1_3gpuE3ELNS1_3repE0EEENS1_30default_config_static_selectorELNS0_4arch9wavefront6targetE1EEEvSP_: ; @_ZN7rocprim17ROCPRIM_400000_NS6detail17trampoline_kernelINS0_14default_configENS1_27lower_bound_config_selectorIyiEEZNS1_14transform_implILb0ES3_S5_N6thrust23THRUST_200600_302600_NS6detail15normal_iteratorINS8_10device_ptrIyEEEENSA_INSB_IiEEEEZNS1_13binary_searchIS3_S5_SD_SD_SF_NS1_21lower_bound_search_opENS9_16wrapped_functionINS0_4lessIvEEbEEEE10hipError_tPvRmT1_T2_T3_mmT4_T5_P12ihipStream_tbEUlRKyE_EESM_SQ_SR_mSS_SV_bEUlT_E_NS1_11comp_targetILNS1_3genE9ELNS1_11target_archE1100ELNS1_3gpuE3ELNS1_3repE0EEENS1_30default_config_static_selectorELNS0_4arch9wavefront6targetE1EEEvSP_
; %bb.0:
	.section	.rodata,"a",@progbits
	.p2align	6, 0x0
	.amdhsa_kernel _ZN7rocprim17ROCPRIM_400000_NS6detail17trampoline_kernelINS0_14default_configENS1_27lower_bound_config_selectorIyiEEZNS1_14transform_implILb0ES3_S5_N6thrust23THRUST_200600_302600_NS6detail15normal_iteratorINS8_10device_ptrIyEEEENSA_INSB_IiEEEEZNS1_13binary_searchIS3_S5_SD_SD_SF_NS1_21lower_bound_search_opENS9_16wrapped_functionINS0_4lessIvEEbEEEE10hipError_tPvRmT1_T2_T3_mmT4_T5_P12ihipStream_tbEUlRKyE_EESM_SQ_SR_mSS_SV_bEUlT_E_NS1_11comp_targetILNS1_3genE9ELNS1_11target_archE1100ELNS1_3gpuE3ELNS1_3repE0EEENS1_30default_config_static_selectorELNS0_4arch9wavefront6targetE1EEEvSP_
		.amdhsa_group_segment_fixed_size 0
		.amdhsa_private_segment_fixed_size 0
		.amdhsa_kernarg_size 56
		.amdhsa_user_sgpr_count 6
		.amdhsa_user_sgpr_private_segment_buffer 1
		.amdhsa_user_sgpr_dispatch_ptr 0
		.amdhsa_user_sgpr_queue_ptr 0
		.amdhsa_user_sgpr_kernarg_segment_ptr 1
		.amdhsa_user_sgpr_dispatch_id 0
		.amdhsa_user_sgpr_flat_scratch_init 0
		.amdhsa_user_sgpr_kernarg_preload_length 0
		.amdhsa_user_sgpr_kernarg_preload_offset 0
		.amdhsa_user_sgpr_private_segment_size 0
		.amdhsa_uses_dynamic_stack 0
		.amdhsa_system_sgpr_private_segment_wavefront_offset 0
		.amdhsa_system_sgpr_workgroup_id_x 1
		.amdhsa_system_sgpr_workgroup_id_y 0
		.amdhsa_system_sgpr_workgroup_id_z 0
		.amdhsa_system_sgpr_workgroup_info 0
		.amdhsa_system_vgpr_workitem_id 0
		.amdhsa_next_free_vgpr 1
		.amdhsa_next_free_sgpr 0
		.amdhsa_accum_offset 4
		.amdhsa_reserve_vcc 0
		.amdhsa_reserve_flat_scratch 0
		.amdhsa_float_round_mode_32 0
		.amdhsa_float_round_mode_16_64 0
		.amdhsa_float_denorm_mode_32 3
		.amdhsa_float_denorm_mode_16_64 3
		.amdhsa_dx10_clamp 1
		.amdhsa_ieee_mode 1
		.amdhsa_fp16_overflow 0
		.amdhsa_tg_split 0
		.amdhsa_exception_fp_ieee_invalid_op 0
		.amdhsa_exception_fp_denorm_src 0
		.amdhsa_exception_fp_ieee_div_zero 0
		.amdhsa_exception_fp_ieee_overflow 0
		.amdhsa_exception_fp_ieee_underflow 0
		.amdhsa_exception_fp_ieee_inexact 0
		.amdhsa_exception_int_div_zero 0
	.end_amdhsa_kernel
	.section	.text._ZN7rocprim17ROCPRIM_400000_NS6detail17trampoline_kernelINS0_14default_configENS1_27lower_bound_config_selectorIyiEEZNS1_14transform_implILb0ES3_S5_N6thrust23THRUST_200600_302600_NS6detail15normal_iteratorINS8_10device_ptrIyEEEENSA_INSB_IiEEEEZNS1_13binary_searchIS3_S5_SD_SD_SF_NS1_21lower_bound_search_opENS9_16wrapped_functionINS0_4lessIvEEbEEEE10hipError_tPvRmT1_T2_T3_mmT4_T5_P12ihipStream_tbEUlRKyE_EESM_SQ_SR_mSS_SV_bEUlT_E_NS1_11comp_targetILNS1_3genE9ELNS1_11target_archE1100ELNS1_3gpuE3ELNS1_3repE0EEENS1_30default_config_static_selectorELNS0_4arch9wavefront6targetE1EEEvSP_,"axG",@progbits,_ZN7rocprim17ROCPRIM_400000_NS6detail17trampoline_kernelINS0_14default_configENS1_27lower_bound_config_selectorIyiEEZNS1_14transform_implILb0ES3_S5_N6thrust23THRUST_200600_302600_NS6detail15normal_iteratorINS8_10device_ptrIyEEEENSA_INSB_IiEEEEZNS1_13binary_searchIS3_S5_SD_SD_SF_NS1_21lower_bound_search_opENS9_16wrapped_functionINS0_4lessIvEEbEEEE10hipError_tPvRmT1_T2_T3_mmT4_T5_P12ihipStream_tbEUlRKyE_EESM_SQ_SR_mSS_SV_bEUlT_E_NS1_11comp_targetILNS1_3genE9ELNS1_11target_archE1100ELNS1_3gpuE3ELNS1_3repE0EEENS1_30default_config_static_selectorELNS0_4arch9wavefront6targetE1EEEvSP_,comdat
.Lfunc_end278:
	.size	_ZN7rocprim17ROCPRIM_400000_NS6detail17trampoline_kernelINS0_14default_configENS1_27lower_bound_config_selectorIyiEEZNS1_14transform_implILb0ES3_S5_N6thrust23THRUST_200600_302600_NS6detail15normal_iteratorINS8_10device_ptrIyEEEENSA_INSB_IiEEEEZNS1_13binary_searchIS3_S5_SD_SD_SF_NS1_21lower_bound_search_opENS9_16wrapped_functionINS0_4lessIvEEbEEEE10hipError_tPvRmT1_T2_T3_mmT4_T5_P12ihipStream_tbEUlRKyE_EESM_SQ_SR_mSS_SV_bEUlT_E_NS1_11comp_targetILNS1_3genE9ELNS1_11target_archE1100ELNS1_3gpuE3ELNS1_3repE0EEENS1_30default_config_static_selectorELNS0_4arch9wavefront6targetE1EEEvSP_, .Lfunc_end278-_ZN7rocprim17ROCPRIM_400000_NS6detail17trampoline_kernelINS0_14default_configENS1_27lower_bound_config_selectorIyiEEZNS1_14transform_implILb0ES3_S5_N6thrust23THRUST_200600_302600_NS6detail15normal_iteratorINS8_10device_ptrIyEEEENSA_INSB_IiEEEEZNS1_13binary_searchIS3_S5_SD_SD_SF_NS1_21lower_bound_search_opENS9_16wrapped_functionINS0_4lessIvEEbEEEE10hipError_tPvRmT1_T2_T3_mmT4_T5_P12ihipStream_tbEUlRKyE_EESM_SQ_SR_mSS_SV_bEUlT_E_NS1_11comp_targetILNS1_3genE9ELNS1_11target_archE1100ELNS1_3gpuE3ELNS1_3repE0EEENS1_30default_config_static_selectorELNS0_4arch9wavefront6targetE1EEEvSP_
                                        ; -- End function
	.section	.AMDGPU.csdata,"",@progbits
; Kernel info:
; codeLenInByte = 0
; NumSgprs: 4
; NumVgprs: 0
; NumAgprs: 0
; TotalNumVgprs: 0
; ScratchSize: 0
; MemoryBound: 0
; FloatMode: 240
; IeeeMode: 1
; LDSByteSize: 0 bytes/workgroup (compile time only)
; SGPRBlocks: 0
; VGPRBlocks: 0
; NumSGPRsForWavesPerEU: 4
; NumVGPRsForWavesPerEU: 1
; AccumOffset: 4
; Occupancy: 8
; WaveLimiterHint : 0
; COMPUTE_PGM_RSRC2:SCRATCH_EN: 0
; COMPUTE_PGM_RSRC2:USER_SGPR: 6
; COMPUTE_PGM_RSRC2:TRAP_HANDLER: 0
; COMPUTE_PGM_RSRC2:TGID_X_EN: 1
; COMPUTE_PGM_RSRC2:TGID_Y_EN: 0
; COMPUTE_PGM_RSRC2:TGID_Z_EN: 0
; COMPUTE_PGM_RSRC2:TIDIG_COMP_CNT: 0
; COMPUTE_PGM_RSRC3_GFX90A:ACCUM_OFFSET: 0
; COMPUTE_PGM_RSRC3_GFX90A:TG_SPLIT: 0
	.section	.text._ZN7rocprim17ROCPRIM_400000_NS6detail17trampoline_kernelINS0_14default_configENS1_27lower_bound_config_selectorIyiEEZNS1_14transform_implILb0ES3_S5_N6thrust23THRUST_200600_302600_NS6detail15normal_iteratorINS8_10device_ptrIyEEEENSA_INSB_IiEEEEZNS1_13binary_searchIS3_S5_SD_SD_SF_NS1_21lower_bound_search_opENS9_16wrapped_functionINS0_4lessIvEEbEEEE10hipError_tPvRmT1_T2_T3_mmT4_T5_P12ihipStream_tbEUlRKyE_EESM_SQ_SR_mSS_SV_bEUlT_E_NS1_11comp_targetILNS1_3genE8ELNS1_11target_archE1030ELNS1_3gpuE2ELNS1_3repE0EEENS1_30default_config_static_selectorELNS0_4arch9wavefront6targetE1EEEvSP_,"axG",@progbits,_ZN7rocprim17ROCPRIM_400000_NS6detail17trampoline_kernelINS0_14default_configENS1_27lower_bound_config_selectorIyiEEZNS1_14transform_implILb0ES3_S5_N6thrust23THRUST_200600_302600_NS6detail15normal_iteratorINS8_10device_ptrIyEEEENSA_INSB_IiEEEEZNS1_13binary_searchIS3_S5_SD_SD_SF_NS1_21lower_bound_search_opENS9_16wrapped_functionINS0_4lessIvEEbEEEE10hipError_tPvRmT1_T2_T3_mmT4_T5_P12ihipStream_tbEUlRKyE_EESM_SQ_SR_mSS_SV_bEUlT_E_NS1_11comp_targetILNS1_3genE8ELNS1_11target_archE1030ELNS1_3gpuE2ELNS1_3repE0EEENS1_30default_config_static_selectorELNS0_4arch9wavefront6targetE1EEEvSP_,comdat
	.protected	_ZN7rocprim17ROCPRIM_400000_NS6detail17trampoline_kernelINS0_14default_configENS1_27lower_bound_config_selectorIyiEEZNS1_14transform_implILb0ES3_S5_N6thrust23THRUST_200600_302600_NS6detail15normal_iteratorINS8_10device_ptrIyEEEENSA_INSB_IiEEEEZNS1_13binary_searchIS3_S5_SD_SD_SF_NS1_21lower_bound_search_opENS9_16wrapped_functionINS0_4lessIvEEbEEEE10hipError_tPvRmT1_T2_T3_mmT4_T5_P12ihipStream_tbEUlRKyE_EESM_SQ_SR_mSS_SV_bEUlT_E_NS1_11comp_targetILNS1_3genE8ELNS1_11target_archE1030ELNS1_3gpuE2ELNS1_3repE0EEENS1_30default_config_static_selectorELNS0_4arch9wavefront6targetE1EEEvSP_ ; -- Begin function _ZN7rocprim17ROCPRIM_400000_NS6detail17trampoline_kernelINS0_14default_configENS1_27lower_bound_config_selectorIyiEEZNS1_14transform_implILb0ES3_S5_N6thrust23THRUST_200600_302600_NS6detail15normal_iteratorINS8_10device_ptrIyEEEENSA_INSB_IiEEEEZNS1_13binary_searchIS3_S5_SD_SD_SF_NS1_21lower_bound_search_opENS9_16wrapped_functionINS0_4lessIvEEbEEEE10hipError_tPvRmT1_T2_T3_mmT4_T5_P12ihipStream_tbEUlRKyE_EESM_SQ_SR_mSS_SV_bEUlT_E_NS1_11comp_targetILNS1_3genE8ELNS1_11target_archE1030ELNS1_3gpuE2ELNS1_3repE0EEENS1_30default_config_static_selectorELNS0_4arch9wavefront6targetE1EEEvSP_
	.globl	_ZN7rocprim17ROCPRIM_400000_NS6detail17trampoline_kernelINS0_14default_configENS1_27lower_bound_config_selectorIyiEEZNS1_14transform_implILb0ES3_S5_N6thrust23THRUST_200600_302600_NS6detail15normal_iteratorINS8_10device_ptrIyEEEENSA_INSB_IiEEEEZNS1_13binary_searchIS3_S5_SD_SD_SF_NS1_21lower_bound_search_opENS9_16wrapped_functionINS0_4lessIvEEbEEEE10hipError_tPvRmT1_T2_T3_mmT4_T5_P12ihipStream_tbEUlRKyE_EESM_SQ_SR_mSS_SV_bEUlT_E_NS1_11comp_targetILNS1_3genE8ELNS1_11target_archE1030ELNS1_3gpuE2ELNS1_3repE0EEENS1_30default_config_static_selectorELNS0_4arch9wavefront6targetE1EEEvSP_
	.p2align	8
	.type	_ZN7rocprim17ROCPRIM_400000_NS6detail17trampoline_kernelINS0_14default_configENS1_27lower_bound_config_selectorIyiEEZNS1_14transform_implILb0ES3_S5_N6thrust23THRUST_200600_302600_NS6detail15normal_iteratorINS8_10device_ptrIyEEEENSA_INSB_IiEEEEZNS1_13binary_searchIS3_S5_SD_SD_SF_NS1_21lower_bound_search_opENS9_16wrapped_functionINS0_4lessIvEEbEEEE10hipError_tPvRmT1_T2_T3_mmT4_T5_P12ihipStream_tbEUlRKyE_EESM_SQ_SR_mSS_SV_bEUlT_E_NS1_11comp_targetILNS1_3genE8ELNS1_11target_archE1030ELNS1_3gpuE2ELNS1_3repE0EEENS1_30default_config_static_selectorELNS0_4arch9wavefront6targetE1EEEvSP_,@function
_ZN7rocprim17ROCPRIM_400000_NS6detail17trampoline_kernelINS0_14default_configENS1_27lower_bound_config_selectorIyiEEZNS1_14transform_implILb0ES3_S5_N6thrust23THRUST_200600_302600_NS6detail15normal_iteratorINS8_10device_ptrIyEEEENSA_INSB_IiEEEEZNS1_13binary_searchIS3_S5_SD_SD_SF_NS1_21lower_bound_search_opENS9_16wrapped_functionINS0_4lessIvEEbEEEE10hipError_tPvRmT1_T2_T3_mmT4_T5_P12ihipStream_tbEUlRKyE_EESM_SQ_SR_mSS_SV_bEUlT_E_NS1_11comp_targetILNS1_3genE8ELNS1_11target_archE1030ELNS1_3gpuE2ELNS1_3repE0EEENS1_30default_config_static_selectorELNS0_4arch9wavefront6targetE1EEEvSP_: ; @_ZN7rocprim17ROCPRIM_400000_NS6detail17trampoline_kernelINS0_14default_configENS1_27lower_bound_config_selectorIyiEEZNS1_14transform_implILb0ES3_S5_N6thrust23THRUST_200600_302600_NS6detail15normal_iteratorINS8_10device_ptrIyEEEENSA_INSB_IiEEEEZNS1_13binary_searchIS3_S5_SD_SD_SF_NS1_21lower_bound_search_opENS9_16wrapped_functionINS0_4lessIvEEbEEEE10hipError_tPvRmT1_T2_T3_mmT4_T5_P12ihipStream_tbEUlRKyE_EESM_SQ_SR_mSS_SV_bEUlT_E_NS1_11comp_targetILNS1_3genE8ELNS1_11target_archE1030ELNS1_3gpuE2ELNS1_3repE0EEENS1_30default_config_static_selectorELNS0_4arch9wavefront6targetE1EEEvSP_
; %bb.0:
	.section	.rodata,"a",@progbits
	.p2align	6, 0x0
	.amdhsa_kernel _ZN7rocprim17ROCPRIM_400000_NS6detail17trampoline_kernelINS0_14default_configENS1_27lower_bound_config_selectorIyiEEZNS1_14transform_implILb0ES3_S5_N6thrust23THRUST_200600_302600_NS6detail15normal_iteratorINS8_10device_ptrIyEEEENSA_INSB_IiEEEEZNS1_13binary_searchIS3_S5_SD_SD_SF_NS1_21lower_bound_search_opENS9_16wrapped_functionINS0_4lessIvEEbEEEE10hipError_tPvRmT1_T2_T3_mmT4_T5_P12ihipStream_tbEUlRKyE_EESM_SQ_SR_mSS_SV_bEUlT_E_NS1_11comp_targetILNS1_3genE8ELNS1_11target_archE1030ELNS1_3gpuE2ELNS1_3repE0EEENS1_30default_config_static_selectorELNS0_4arch9wavefront6targetE1EEEvSP_
		.amdhsa_group_segment_fixed_size 0
		.amdhsa_private_segment_fixed_size 0
		.amdhsa_kernarg_size 56
		.amdhsa_user_sgpr_count 6
		.amdhsa_user_sgpr_private_segment_buffer 1
		.amdhsa_user_sgpr_dispatch_ptr 0
		.amdhsa_user_sgpr_queue_ptr 0
		.amdhsa_user_sgpr_kernarg_segment_ptr 1
		.amdhsa_user_sgpr_dispatch_id 0
		.amdhsa_user_sgpr_flat_scratch_init 0
		.amdhsa_user_sgpr_kernarg_preload_length 0
		.amdhsa_user_sgpr_kernarg_preload_offset 0
		.amdhsa_user_sgpr_private_segment_size 0
		.amdhsa_uses_dynamic_stack 0
		.amdhsa_system_sgpr_private_segment_wavefront_offset 0
		.amdhsa_system_sgpr_workgroup_id_x 1
		.amdhsa_system_sgpr_workgroup_id_y 0
		.amdhsa_system_sgpr_workgroup_id_z 0
		.amdhsa_system_sgpr_workgroup_info 0
		.amdhsa_system_vgpr_workitem_id 0
		.amdhsa_next_free_vgpr 1
		.amdhsa_next_free_sgpr 0
		.amdhsa_accum_offset 4
		.amdhsa_reserve_vcc 0
		.amdhsa_reserve_flat_scratch 0
		.amdhsa_float_round_mode_32 0
		.amdhsa_float_round_mode_16_64 0
		.amdhsa_float_denorm_mode_32 3
		.amdhsa_float_denorm_mode_16_64 3
		.amdhsa_dx10_clamp 1
		.amdhsa_ieee_mode 1
		.amdhsa_fp16_overflow 0
		.amdhsa_tg_split 0
		.amdhsa_exception_fp_ieee_invalid_op 0
		.amdhsa_exception_fp_denorm_src 0
		.amdhsa_exception_fp_ieee_div_zero 0
		.amdhsa_exception_fp_ieee_overflow 0
		.amdhsa_exception_fp_ieee_underflow 0
		.amdhsa_exception_fp_ieee_inexact 0
		.amdhsa_exception_int_div_zero 0
	.end_amdhsa_kernel
	.section	.text._ZN7rocprim17ROCPRIM_400000_NS6detail17trampoline_kernelINS0_14default_configENS1_27lower_bound_config_selectorIyiEEZNS1_14transform_implILb0ES3_S5_N6thrust23THRUST_200600_302600_NS6detail15normal_iteratorINS8_10device_ptrIyEEEENSA_INSB_IiEEEEZNS1_13binary_searchIS3_S5_SD_SD_SF_NS1_21lower_bound_search_opENS9_16wrapped_functionINS0_4lessIvEEbEEEE10hipError_tPvRmT1_T2_T3_mmT4_T5_P12ihipStream_tbEUlRKyE_EESM_SQ_SR_mSS_SV_bEUlT_E_NS1_11comp_targetILNS1_3genE8ELNS1_11target_archE1030ELNS1_3gpuE2ELNS1_3repE0EEENS1_30default_config_static_selectorELNS0_4arch9wavefront6targetE1EEEvSP_,"axG",@progbits,_ZN7rocprim17ROCPRIM_400000_NS6detail17trampoline_kernelINS0_14default_configENS1_27lower_bound_config_selectorIyiEEZNS1_14transform_implILb0ES3_S5_N6thrust23THRUST_200600_302600_NS6detail15normal_iteratorINS8_10device_ptrIyEEEENSA_INSB_IiEEEEZNS1_13binary_searchIS3_S5_SD_SD_SF_NS1_21lower_bound_search_opENS9_16wrapped_functionINS0_4lessIvEEbEEEE10hipError_tPvRmT1_T2_T3_mmT4_T5_P12ihipStream_tbEUlRKyE_EESM_SQ_SR_mSS_SV_bEUlT_E_NS1_11comp_targetILNS1_3genE8ELNS1_11target_archE1030ELNS1_3gpuE2ELNS1_3repE0EEENS1_30default_config_static_selectorELNS0_4arch9wavefront6targetE1EEEvSP_,comdat
.Lfunc_end279:
	.size	_ZN7rocprim17ROCPRIM_400000_NS6detail17trampoline_kernelINS0_14default_configENS1_27lower_bound_config_selectorIyiEEZNS1_14transform_implILb0ES3_S5_N6thrust23THRUST_200600_302600_NS6detail15normal_iteratorINS8_10device_ptrIyEEEENSA_INSB_IiEEEEZNS1_13binary_searchIS3_S5_SD_SD_SF_NS1_21lower_bound_search_opENS9_16wrapped_functionINS0_4lessIvEEbEEEE10hipError_tPvRmT1_T2_T3_mmT4_T5_P12ihipStream_tbEUlRKyE_EESM_SQ_SR_mSS_SV_bEUlT_E_NS1_11comp_targetILNS1_3genE8ELNS1_11target_archE1030ELNS1_3gpuE2ELNS1_3repE0EEENS1_30default_config_static_selectorELNS0_4arch9wavefront6targetE1EEEvSP_, .Lfunc_end279-_ZN7rocprim17ROCPRIM_400000_NS6detail17trampoline_kernelINS0_14default_configENS1_27lower_bound_config_selectorIyiEEZNS1_14transform_implILb0ES3_S5_N6thrust23THRUST_200600_302600_NS6detail15normal_iteratorINS8_10device_ptrIyEEEENSA_INSB_IiEEEEZNS1_13binary_searchIS3_S5_SD_SD_SF_NS1_21lower_bound_search_opENS9_16wrapped_functionINS0_4lessIvEEbEEEE10hipError_tPvRmT1_T2_T3_mmT4_T5_P12ihipStream_tbEUlRKyE_EESM_SQ_SR_mSS_SV_bEUlT_E_NS1_11comp_targetILNS1_3genE8ELNS1_11target_archE1030ELNS1_3gpuE2ELNS1_3repE0EEENS1_30default_config_static_selectorELNS0_4arch9wavefront6targetE1EEEvSP_
                                        ; -- End function
	.section	.AMDGPU.csdata,"",@progbits
; Kernel info:
; codeLenInByte = 0
; NumSgprs: 4
; NumVgprs: 0
; NumAgprs: 0
; TotalNumVgprs: 0
; ScratchSize: 0
; MemoryBound: 0
; FloatMode: 240
; IeeeMode: 1
; LDSByteSize: 0 bytes/workgroup (compile time only)
; SGPRBlocks: 0
; VGPRBlocks: 0
; NumSGPRsForWavesPerEU: 4
; NumVGPRsForWavesPerEU: 1
; AccumOffset: 4
; Occupancy: 8
; WaveLimiterHint : 0
; COMPUTE_PGM_RSRC2:SCRATCH_EN: 0
; COMPUTE_PGM_RSRC2:USER_SGPR: 6
; COMPUTE_PGM_RSRC2:TRAP_HANDLER: 0
; COMPUTE_PGM_RSRC2:TGID_X_EN: 1
; COMPUTE_PGM_RSRC2:TGID_Y_EN: 0
; COMPUTE_PGM_RSRC2:TGID_Z_EN: 0
; COMPUTE_PGM_RSRC2:TIDIG_COMP_CNT: 0
; COMPUTE_PGM_RSRC3_GFX90A:ACCUM_OFFSET: 0
; COMPUTE_PGM_RSRC3_GFX90A:TG_SPLIT: 0
	.section	.text._ZN6thrust23THRUST_200600_302600_NS11hip_rocprim14__parallel_for6kernelILj256ENS1_10__tabulate7functorINS0_6detail15normal_iteratorINS0_10device_ptrIjEEEENS0_6system6detail7generic6detail22compute_sequence_valueIjvEElEElLj1EEEvT0_T1_SJ_,"axG",@progbits,_ZN6thrust23THRUST_200600_302600_NS11hip_rocprim14__parallel_for6kernelILj256ENS1_10__tabulate7functorINS0_6detail15normal_iteratorINS0_10device_ptrIjEEEENS0_6system6detail7generic6detail22compute_sequence_valueIjvEElEElLj1EEEvT0_T1_SJ_,comdat
	.protected	_ZN6thrust23THRUST_200600_302600_NS11hip_rocprim14__parallel_for6kernelILj256ENS1_10__tabulate7functorINS0_6detail15normal_iteratorINS0_10device_ptrIjEEEENS0_6system6detail7generic6detail22compute_sequence_valueIjvEElEElLj1EEEvT0_T1_SJ_ ; -- Begin function _ZN6thrust23THRUST_200600_302600_NS11hip_rocprim14__parallel_for6kernelILj256ENS1_10__tabulate7functorINS0_6detail15normal_iteratorINS0_10device_ptrIjEEEENS0_6system6detail7generic6detail22compute_sequence_valueIjvEElEElLj1EEEvT0_T1_SJ_
	.globl	_ZN6thrust23THRUST_200600_302600_NS11hip_rocprim14__parallel_for6kernelILj256ENS1_10__tabulate7functorINS0_6detail15normal_iteratorINS0_10device_ptrIjEEEENS0_6system6detail7generic6detail22compute_sequence_valueIjvEElEElLj1EEEvT0_T1_SJ_
	.p2align	8
	.type	_ZN6thrust23THRUST_200600_302600_NS11hip_rocprim14__parallel_for6kernelILj256ENS1_10__tabulate7functorINS0_6detail15normal_iteratorINS0_10device_ptrIjEEEENS0_6system6detail7generic6detail22compute_sequence_valueIjvEElEElLj1EEEvT0_T1_SJ_,@function
_ZN6thrust23THRUST_200600_302600_NS11hip_rocprim14__parallel_for6kernelILj256ENS1_10__tabulate7functorINS0_6detail15normal_iteratorINS0_10device_ptrIjEEEENS0_6system6detail7generic6detail22compute_sequence_valueIjvEElEElLj1EEEvT0_T1_SJ_: ; @_ZN6thrust23THRUST_200600_302600_NS11hip_rocprim14__parallel_for6kernelILj256ENS1_10__tabulate7functorINS0_6detail15normal_iteratorINS0_10device_ptrIjEEEENS0_6system6detail7generic6detail22compute_sequence_valueIjvEElEElLj1EEEvT0_T1_SJ_
; %bb.0:
	s_load_dwordx4 s[8:11], s[4:5], 0x10
	s_lshl_b32 s0, s6, 8
	v_mov_b32_e32 v2, 0x100
	v_mov_b32_e32 v3, 0
	s_waitcnt lgkmcnt(0)
	s_add_u32 s0, s0, s10
	s_addc_u32 s1, 0, s11
	s_sub_u32 s2, s8, s0
	s_subb_u32 s3, s9, s1
	v_cmp_lt_i64_e32 vcc, s[2:3], v[2:3]
	s_and_b64 s[6:7], vcc, exec
	s_cselect_b32 s6, s2, 0x100
	s_cmpk_eq_i32 s6, 0x100
	s_cselect_b64 s[2:3], -1, 0
	v_cmp_gt_u32_e32 vcc, s6, v0
	s_or_b64 s[2:3], s[2:3], vcc
	s_and_saveexec_b64 s[6:7], s[2:3]
	s_cbranch_execz .LBB280_2
; %bb.1:
	s_load_dwordx4 s[4:7], s[4:5], 0x0
	v_mov_b32_e32 v1, s1
	v_add_co_u32_e32 v0, vcc, s0, v0
	v_addc_co_u32_e32 v1, vcc, 0, v1, vcc
	s_waitcnt lgkmcnt(0)
	v_mul_lo_u32 v2, s7, v0
	v_lshlrev_b64 v[0:1], 2, v[0:1]
	v_mov_b32_e32 v3, s5
	v_add_co_u32_e32 v0, vcc, s4, v0
	v_add_u32_e32 v2, s6, v2
	v_addc_co_u32_e32 v1, vcc, v3, v1, vcc
	flat_store_dword v[0:1], v2
.LBB280_2:
	s_endpgm
	.section	.rodata,"a",@progbits
	.p2align	6, 0x0
	.amdhsa_kernel _ZN6thrust23THRUST_200600_302600_NS11hip_rocprim14__parallel_for6kernelILj256ENS1_10__tabulate7functorINS0_6detail15normal_iteratorINS0_10device_ptrIjEEEENS0_6system6detail7generic6detail22compute_sequence_valueIjvEElEElLj1EEEvT0_T1_SJ_
		.amdhsa_group_segment_fixed_size 0
		.amdhsa_private_segment_fixed_size 0
		.amdhsa_kernarg_size 32
		.amdhsa_user_sgpr_count 6
		.amdhsa_user_sgpr_private_segment_buffer 1
		.amdhsa_user_sgpr_dispatch_ptr 0
		.amdhsa_user_sgpr_queue_ptr 0
		.amdhsa_user_sgpr_kernarg_segment_ptr 1
		.amdhsa_user_sgpr_dispatch_id 0
		.amdhsa_user_sgpr_flat_scratch_init 0
		.amdhsa_user_sgpr_kernarg_preload_length 0
		.amdhsa_user_sgpr_kernarg_preload_offset 0
		.amdhsa_user_sgpr_private_segment_size 0
		.amdhsa_uses_dynamic_stack 0
		.amdhsa_system_sgpr_private_segment_wavefront_offset 0
		.amdhsa_system_sgpr_workgroup_id_x 1
		.amdhsa_system_sgpr_workgroup_id_y 0
		.amdhsa_system_sgpr_workgroup_id_z 0
		.amdhsa_system_sgpr_workgroup_info 0
		.amdhsa_system_vgpr_workitem_id 0
		.amdhsa_next_free_vgpr 4
		.amdhsa_next_free_sgpr 12
		.amdhsa_accum_offset 4
		.amdhsa_reserve_vcc 1
		.amdhsa_reserve_flat_scratch 0
		.amdhsa_float_round_mode_32 0
		.amdhsa_float_round_mode_16_64 0
		.amdhsa_float_denorm_mode_32 3
		.amdhsa_float_denorm_mode_16_64 3
		.amdhsa_dx10_clamp 1
		.amdhsa_ieee_mode 1
		.amdhsa_fp16_overflow 0
		.amdhsa_tg_split 0
		.amdhsa_exception_fp_ieee_invalid_op 0
		.amdhsa_exception_fp_denorm_src 0
		.amdhsa_exception_fp_ieee_div_zero 0
		.amdhsa_exception_fp_ieee_overflow 0
		.amdhsa_exception_fp_ieee_underflow 0
		.amdhsa_exception_fp_ieee_inexact 0
		.amdhsa_exception_int_div_zero 0
	.end_amdhsa_kernel
	.section	.text._ZN6thrust23THRUST_200600_302600_NS11hip_rocprim14__parallel_for6kernelILj256ENS1_10__tabulate7functorINS0_6detail15normal_iteratorINS0_10device_ptrIjEEEENS0_6system6detail7generic6detail22compute_sequence_valueIjvEElEElLj1EEEvT0_T1_SJ_,"axG",@progbits,_ZN6thrust23THRUST_200600_302600_NS11hip_rocprim14__parallel_for6kernelILj256ENS1_10__tabulate7functorINS0_6detail15normal_iteratorINS0_10device_ptrIjEEEENS0_6system6detail7generic6detail22compute_sequence_valueIjvEElEElLj1EEEvT0_T1_SJ_,comdat
.Lfunc_end280:
	.size	_ZN6thrust23THRUST_200600_302600_NS11hip_rocprim14__parallel_for6kernelILj256ENS1_10__tabulate7functorINS0_6detail15normal_iteratorINS0_10device_ptrIjEEEENS0_6system6detail7generic6detail22compute_sequence_valueIjvEElEElLj1EEEvT0_T1_SJ_, .Lfunc_end280-_ZN6thrust23THRUST_200600_302600_NS11hip_rocprim14__parallel_for6kernelILj256ENS1_10__tabulate7functorINS0_6detail15normal_iteratorINS0_10device_ptrIjEEEENS0_6system6detail7generic6detail22compute_sequence_valueIjvEElEElLj1EEEvT0_T1_SJ_
                                        ; -- End function
	.section	.AMDGPU.csdata,"",@progbits
; Kernel info:
; codeLenInByte = 152
; NumSgprs: 16
; NumVgprs: 4
; NumAgprs: 0
; TotalNumVgprs: 4
; ScratchSize: 0
; MemoryBound: 0
; FloatMode: 240
; IeeeMode: 1
; LDSByteSize: 0 bytes/workgroup (compile time only)
; SGPRBlocks: 1
; VGPRBlocks: 0
; NumSGPRsForWavesPerEU: 16
; NumVGPRsForWavesPerEU: 4
; AccumOffset: 4
; Occupancy: 8
; WaveLimiterHint : 0
; COMPUTE_PGM_RSRC2:SCRATCH_EN: 0
; COMPUTE_PGM_RSRC2:USER_SGPR: 6
; COMPUTE_PGM_RSRC2:TRAP_HANDLER: 0
; COMPUTE_PGM_RSRC2:TGID_X_EN: 1
; COMPUTE_PGM_RSRC2:TGID_Y_EN: 0
; COMPUTE_PGM_RSRC2:TGID_Z_EN: 0
; COMPUTE_PGM_RSRC2:TIDIG_COMP_CNT: 0
; COMPUTE_PGM_RSRC3_GFX90A:ACCUM_OFFSET: 0
; COMPUTE_PGM_RSRC3_GFX90A:TG_SPLIT: 0
	.section	.text._ZN7rocprim17ROCPRIM_400000_NS6detail17trampoline_kernelINS0_14default_configENS1_27lower_bound_config_selectorIjiEEZNS1_14transform_implILb0ES3_S5_N6thrust23THRUST_200600_302600_NS6detail15normal_iteratorINS8_10device_ptrIjEEEENSA_INSB_IiEEEEZNS1_13binary_searchIS3_S5_SD_SD_SF_NS1_21lower_bound_search_opENS9_16wrapped_functionINS0_4lessIvEEbEEEE10hipError_tPvRmT1_T2_T3_mmT4_T5_P12ihipStream_tbEUlRKjE_EESM_SQ_SR_mSS_SV_bEUlT_E_NS1_11comp_targetILNS1_3genE0ELNS1_11target_archE4294967295ELNS1_3gpuE0ELNS1_3repE0EEENS1_30default_config_static_selectorELNS0_4arch9wavefront6targetE1EEEvSP_,"axG",@progbits,_ZN7rocprim17ROCPRIM_400000_NS6detail17trampoline_kernelINS0_14default_configENS1_27lower_bound_config_selectorIjiEEZNS1_14transform_implILb0ES3_S5_N6thrust23THRUST_200600_302600_NS6detail15normal_iteratorINS8_10device_ptrIjEEEENSA_INSB_IiEEEEZNS1_13binary_searchIS3_S5_SD_SD_SF_NS1_21lower_bound_search_opENS9_16wrapped_functionINS0_4lessIvEEbEEEE10hipError_tPvRmT1_T2_T3_mmT4_T5_P12ihipStream_tbEUlRKjE_EESM_SQ_SR_mSS_SV_bEUlT_E_NS1_11comp_targetILNS1_3genE0ELNS1_11target_archE4294967295ELNS1_3gpuE0ELNS1_3repE0EEENS1_30default_config_static_selectorELNS0_4arch9wavefront6targetE1EEEvSP_,comdat
	.protected	_ZN7rocprim17ROCPRIM_400000_NS6detail17trampoline_kernelINS0_14default_configENS1_27lower_bound_config_selectorIjiEEZNS1_14transform_implILb0ES3_S5_N6thrust23THRUST_200600_302600_NS6detail15normal_iteratorINS8_10device_ptrIjEEEENSA_INSB_IiEEEEZNS1_13binary_searchIS3_S5_SD_SD_SF_NS1_21lower_bound_search_opENS9_16wrapped_functionINS0_4lessIvEEbEEEE10hipError_tPvRmT1_T2_T3_mmT4_T5_P12ihipStream_tbEUlRKjE_EESM_SQ_SR_mSS_SV_bEUlT_E_NS1_11comp_targetILNS1_3genE0ELNS1_11target_archE4294967295ELNS1_3gpuE0ELNS1_3repE0EEENS1_30default_config_static_selectorELNS0_4arch9wavefront6targetE1EEEvSP_ ; -- Begin function _ZN7rocprim17ROCPRIM_400000_NS6detail17trampoline_kernelINS0_14default_configENS1_27lower_bound_config_selectorIjiEEZNS1_14transform_implILb0ES3_S5_N6thrust23THRUST_200600_302600_NS6detail15normal_iteratorINS8_10device_ptrIjEEEENSA_INSB_IiEEEEZNS1_13binary_searchIS3_S5_SD_SD_SF_NS1_21lower_bound_search_opENS9_16wrapped_functionINS0_4lessIvEEbEEEE10hipError_tPvRmT1_T2_T3_mmT4_T5_P12ihipStream_tbEUlRKjE_EESM_SQ_SR_mSS_SV_bEUlT_E_NS1_11comp_targetILNS1_3genE0ELNS1_11target_archE4294967295ELNS1_3gpuE0ELNS1_3repE0EEENS1_30default_config_static_selectorELNS0_4arch9wavefront6targetE1EEEvSP_
	.globl	_ZN7rocprim17ROCPRIM_400000_NS6detail17trampoline_kernelINS0_14default_configENS1_27lower_bound_config_selectorIjiEEZNS1_14transform_implILb0ES3_S5_N6thrust23THRUST_200600_302600_NS6detail15normal_iteratorINS8_10device_ptrIjEEEENSA_INSB_IiEEEEZNS1_13binary_searchIS3_S5_SD_SD_SF_NS1_21lower_bound_search_opENS9_16wrapped_functionINS0_4lessIvEEbEEEE10hipError_tPvRmT1_T2_T3_mmT4_T5_P12ihipStream_tbEUlRKjE_EESM_SQ_SR_mSS_SV_bEUlT_E_NS1_11comp_targetILNS1_3genE0ELNS1_11target_archE4294967295ELNS1_3gpuE0ELNS1_3repE0EEENS1_30default_config_static_selectorELNS0_4arch9wavefront6targetE1EEEvSP_
	.p2align	8
	.type	_ZN7rocprim17ROCPRIM_400000_NS6detail17trampoline_kernelINS0_14default_configENS1_27lower_bound_config_selectorIjiEEZNS1_14transform_implILb0ES3_S5_N6thrust23THRUST_200600_302600_NS6detail15normal_iteratorINS8_10device_ptrIjEEEENSA_INSB_IiEEEEZNS1_13binary_searchIS3_S5_SD_SD_SF_NS1_21lower_bound_search_opENS9_16wrapped_functionINS0_4lessIvEEbEEEE10hipError_tPvRmT1_T2_T3_mmT4_T5_P12ihipStream_tbEUlRKjE_EESM_SQ_SR_mSS_SV_bEUlT_E_NS1_11comp_targetILNS1_3genE0ELNS1_11target_archE4294967295ELNS1_3gpuE0ELNS1_3repE0EEENS1_30default_config_static_selectorELNS0_4arch9wavefront6targetE1EEEvSP_,@function
_ZN7rocprim17ROCPRIM_400000_NS6detail17trampoline_kernelINS0_14default_configENS1_27lower_bound_config_selectorIjiEEZNS1_14transform_implILb0ES3_S5_N6thrust23THRUST_200600_302600_NS6detail15normal_iteratorINS8_10device_ptrIjEEEENSA_INSB_IiEEEEZNS1_13binary_searchIS3_S5_SD_SD_SF_NS1_21lower_bound_search_opENS9_16wrapped_functionINS0_4lessIvEEbEEEE10hipError_tPvRmT1_T2_T3_mmT4_T5_P12ihipStream_tbEUlRKjE_EESM_SQ_SR_mSS_SV_bEUlT_E_NS1_11comp_targetILNS1_3genE0ELNS1_11target_archE4294967295ELNS1_3gpuE0ELNS1_3repE0EEENS1_30default_config_static_selectorELNS0_4arch9wavefront6targetE1EEEvSP_: ; @_ZN7rocprim17ROCPRIM_400000_NS6detail17trampoline_kernelINS0_14default_configENS1_27lower_bound_config_selectorIjiEEZNS1_14transform_implILb0ES3_S5_N6thrust23THRUST_200600_302600_NS6detail15normal_iteratorINS8_10device_ptrIjEEEENSA_INSB_IiEEEEZNS1_13binary_searchIS3_S5_SD_SD_SF_NS1_21lower_bound_search_opENS9_16wrapped_functionINS0_4lessIvEEbEEEE10hipError_tPvRmT1_T2_T3_mmT4_T5_P12ihipStream_tbEUlRKjE_EESM_SQ_SR_mSS_SV_bEUlT_E_NS1_11comp_targetILNS1_3genE0ELNS1_11target_archE4294967295ELNS1_3gpuE0ELNS1_3repE0EEENS1_30default_config_static_selectorELNS0_4arch9wavefront6targetE1EEEvSP_
; %bb.0:
	.section	.rodata,"a",@progbits
	.p2align	6, 0x0
	.amdhsa_kernel _ZN7rocprim17ROCPRIM_400000_NS6detail17trampoline_kernelINS0_14default_configENS1_27lower_bound_config_selectorIjiEEZNS1_14transform_implILb0ES3_S5_N6thrust23THRUST_200600_302600_NS6detail15normal_iteratorINS8_10device_ptrIjEEEENSA_INSB_IiEEEEZNS1_13binary_searchIS3_S5_SD_SD_SF_NS1_21lower_bound_search_opENS9_16wrapped_functionINS0_4lessIvEEbEEEE10hipError_tPvRmT1_T2_T3_mmT4_T5_P12ihipStream_tbEUlRKjE_EESM_SQ_SR_mSS_SV_bEUlT_E_NS1_11comp_targetILNS1_3genE0ELNS1_11target_archE4294967295ELNS1_3gpuE0ELNS1_3repE0EEENS1_30default_config_static_selectorELNS0_4arch9wavefront6targetE1EEEvSP_
		.amdhsa_group_segment_fixed_size 0
		.amdhsa_private_segment_fixed_size 0
		.amdhsa_kernarg_size 56
		.amdhsa_user_sgpr_count 6
		.amdhsa_user_sgpr_private_segment_buffer 1
		.amdhsa_user_sgpr_dispatch_ptr 0
		.amdhsa_user_sgpr_queue_ptr 0
		.amdhsa_user_sgpr_kernarg_segment_ptr 1
		.amdhsa_user_sgpr_dispatch_id 0
		.amdhsa_user_sgpr_flat_scratch_init 0
		.amdhsa_user_sgpr_kernarg_preload_length 0
		.amdhsa_user_sgpr_kernarg_preload_offset 0
		.amdhsa_user_sgpr_private_segment_size 0
		.amdhsa_uses_dynamic_stack 0
		.amdhsa_system_sgpr_private_segment_wavefront_offset 0
		.amdhsa_system_sgpr_workgroup_id_x 1
		.amdhsa_system_sgpr_workgroup_id_y 0
		.amdhsa_system_sgpr_workgroup_id_z 0
		.amdhsa_system_sgpr_workgroup_info 0
		.amdhsa_system_vgpr_workitem_id 0
		.amdhsa_next_free_vgpr 1
		.amdhsa_next_free_sgpr 0
		.amdhsa_accum_offset 4
		.amdhsa_reserve_vcc 0
		.amdhsa_reserve_flat_scratch 0
		.amdhsa_float_round_mode_32 0
		.amdhsa_float_round_mode_16_64 0
		.amdhsa_float_denorm_mode_32 3
		.amdhsa_float_denorm_mode_16_64 3
		.amdhsa_dx10_clamp 1
		.amdhsa_ieee_mode 1
		.amdhsa_fp16_overflow 0
		.amdhsa_tg_split 0
		.amdhsa_exception_fp_ieee_invalid_op 0
		.amdhsa_exception_fp_denorm_src 0
		.amdhsa_exception_fp_ieee_div_zero 0
		.amdhsa_exception_fp_ieee_overflow 0
		.amdhsa_exception_fp_ieee_underflow 0
		.amdhsa_exception_fp_ieee_inexact 0
		.amdhsa_exception_int_div_zero 0
	.end_amdhsa_kernel
	.section	.text._ZN7rocprim17ROCPRIM_400000_NS6detail17trampoline_kernelINS0_14default_configENS1_27lower_bound_config_selectorIjiEEZNS1_14transform_implILb0ES3_S5_N6thrust23THRUST_200600_302600_NS6detail15normal_iteratorINS8_10device_ptrIjEEEENSA_INSB_IiEEEEZNS1_13binary_searchIS3_S5_SD_SD_SF_NS1_21lower_bound_search_opENS9_16wrapped_functionINS0_4lessIvEEbEEEE10hipError_tPvRmT1_T2_T3_mmT4_T5_P12ihipStream_tbEUlRKjE_EESM_SQ_SR_mSS_SV_bEUlT_E_NS1_11comp_targetILNS1_3genE0ELNS1_11target_archE4294967295ELNS1_3gpuE0ELNS1_3repE0EEENS1_30default_config_static_selectorELNS0_4arch9wavefront6targetE1EEEvSP_,"axG",@progbits,_ZN7rocprim17ROCPRIM_400000_NS6detail17trampoline_kernelINS0_14default_configENS1_27lower_bound_config_selectorIjiEEZNS1_14transform_implILb0ES3_S5_N6thrust23THRUST_200600_302600_NS6detail15normal_iteratorINS8_10device_ptrIjEEEENSA_INSB_IiEEEEZNS1_13binary_searchIS3_S5_SD_SD_SF_NS1_21lower_bound_search_opENS9_16wrapped_functionINS0_4lessIvEEbEEEE10hipError_tPvRmT1_T2_T3_mmT4_T5_P12ihipStream_tbEUlRKjE_EESM_SQ_SR_mSS_SV_bEUlT_E_NS1_11comp_targetILNS1_3genE0ELNS1_11target_archE4294967295ELNS1_3gpuE0ELNS1_3repE0EEENS1_30default_config_static_selectorELNS0_4arch9wavefront6targetE1EEEvSP_,comdat
.Lfunc_end281:
	.size	_ZN7rocprim17ROCPRIM_400000_NS6detail17trampoline_kernelINS0_14default_configENS1_27lower_bound_config_selectorIjiEEZNS1_14transform_implILb0ES3_S5_N6thrust23THRUST_200600_302600_NS6detail15normal_iteratorINS8_10device_ptrIjEEEENSA_INSB_IiEEEEZNS1_13binary_searchIS3_S5_SD_SD_SF_NS1_21lower_bound_search_opENS9_16wrapped_functionINS0_4lessIvEEbEEEE10hipError_tPvRmT1_T2_T3_mmT4_T5_P12ihipStream_tbEUlRKjE_EESM_SQ_SR_mSS_SV_bEUlT_E_NS1_11comp_targetILNS1_3genE0ELNS1_11target_archE4294967295ELNS1_3gpuE0ELNS1_3repE0EEENS1_30default_config_static_selectorELNS0_4arch9wavefront6targetE1EEEvSP_, .Lfunc_end281-_ZN7rocprim17ROCPRIM_400000_NS6detail17trampoline_kernelINS0_14default_configENS1_27lower_bound_config_selectorIjiEEZNS1_14transform_implILb0ES3_S5_N6thrust23THRUST_200600_302600_NS6detail15normal_iteratorINS8_10device_ptrIjEEEENSA_INSB_IiEEEEZNS1_13binary_searchIS3_S5_SD_SD_SF_NS1_21lower_bound_search_opENS9_16wrapped_functionINS0_4lessIvEEbEEEE10hipError_tPvRmT1_T2_T3_mmT4_T5_P12ihipStream_tbEUlRKjE_EESM_SQ_SR_mSS_SV_bEUlT_E_NS1_11comp_targetILNS1_3genE0ELNS1_11target_archE4294967295ELNS1_3gpuE0ELNS1_3repE0EEENS1_30default_config_static_selectorELNS0_4arch9wavefront6targetE1EEEvSP_
                                        ; -- End function
	.section	.AMDGPU.csdata,"",@progbits
; Kernel info:
; codeLenInByte = 0
; NumSgprs: 4
; NumVgprs: 0
; NumAgprs: 0
; TotalNumVgprs: 0
; ScratchSize: 0
; MemoryBound: 0
; FloatMode: 240
; IeeeMode: 1
; LDSByteSize: 0 bytes/workgroup (compile time only)
; SGPRBlocks: 0
; VGPRBlocks: 0
; NumSGPRsForWavesPerEU: 4
; NumVGPRsForWavesPerEU: 1
; AccumOffset: 4
; Occupancy: 8
; WaveLimiterHint : 0
; COMPUTE_PGM_RSRC2:SCRATCH_EN: 0
; COMPUTE_PGM_RSRC2:USER_SGPR: 6
; COMPUTE_PGM_RSRC2:TRAP_HANDLER: 0
; COMPUTE_PGM_RSRC2:TGID_X_EN: 1
; COMPUTE_PGM_RSRC2:TGID_Y_EN: 0
; COMPUTE_PGM_RSRC2:TGID_Z_EN: 0
; COMPUTE_PGM_RSRC2:TIDIG_COMP_CNT: 0
; COMPUTE_PGM_RSRC3_GFX90A:ACCUM_OFFSET: 0
; COMPUTE_PGM_RSRC3_GFX90A:TG_SPLIT: 0
	.section	.text._ZN7rocprim17ROCPRIM_400000_NS6detail17trampoline_kernelINS0_14default_configENS1_27lower_bound_config_selectorIjiEEZNS1_14transform_implILb0ES3_S5_N6thrust23THRUST_200600_302600_NS6detail15normal_iteratorINS8_10device_ptrIjEEEENSA_INSB_IiEEEEZNS1_13binary_searchIS3_S5_SD_SD_SF_NS1_21lower_bound_search_opENS9_16wrapped_functionINS0_4lessIvEEbEEEE10hipError_tPvRmT1_T2_T3_mmT4_T5_P12ihipStream_tbEUlRKjE_EESM_SQ_SR_mSS_SV_bEUlT_E_NS1_11comp_targetILNS1_3genE5ELNS1_11target_archE942ELNS1_3gpuE9ELNS1_3repE0EEENS1_30default_config_static_selectorELNS0_4arch9wavefront6targetE1EEEvSP_,"axG",@progbits,_ZN7rocprim17ROCPRIM_400000_NS6detail17trampoline_kernelINS0_14default_configENS1_27lower_bound_config_selectorIjiEEZNS1_14transform_implILb0ES3_S5_N6thrust23THRUST_200600_302600_NS6detail15normal_iteratorINS8_10device_ptrIjEEEENSA_INSB_IiEEEEZNS1_13binary_searchIS3_S5_SD_SD_SF_NS1_21lower_bound_search_opENS9_16wrapped_functionINS0_4lessIvEEbEEEE10hipError_tPvRmT1_T2_T3_mmT4_T5_P12ihipStream_tbEUlRKjE_EESM_SQ_SR_mSS_SV_bEUlT_E_NS1_11comp_targetILNS1_3genE5ELNS1_11target_archE942ELNS1_3gpuE9ELNS1_3repE0EEENS1_30default_config_static_selectorELNS0_4arch9wavefront6targetE1EEEvSP_,comdat
	.protected	_ZN7rocprim17ROCPRIM_400000_NS6detail17trampoline_kernelINS0_14default_configENS1_27lower_bound_config_selectorIjiEEZNS1_14transform_implILb0ES3_S5_N6thrust23THRUST_200600_302600_NS6detail15normal_iteratorINS8_10device_ptrIjEEEENSA_INSB_IiEEEEZNS1_13binary_searchIS3_S5_SD_SD_SF_NS1_21lower_bound_search_opENS9_16wrapped_functionINS0_4lessIvEEbEEEE10hipError_tPvRmT1_T2_T3_mmT4_T5_P12ihipStream_tbEUlRKjE_EESM_SQ_SR_mSS_SV_bEUlT_E_NS1_11comp_targetILNS1_3genE5ELNS1_11target_archE942ELNS1_3gpuE9ELNS1_3repE0EEENS1_30default_config_static_selectorELNS0_4arch9wavefront6targetE1EEEvSP_ ; -- Begin function _ZN7rocprim17ROCPRIM_400000_NS6detail17trampoline_kernelINS0_14default_configENS1_27lower_bound_config_selectorIjiEEZNS1_14transform_implILb0ES3_S5_N6thrust23THRUST_200600_302600_NS6detail15normal_iteratorINS8_10device_ptrIjEEEENSA_INSB_IiEEEEZNS1_13binary_searchIS3_S5_SD_SD_SF_NS1_21lower_bound_search_opENS9_16wrapped_functionINS0_4lessIvEEbEEEE10hipError_tPvRmT1_T2_T3_mmT4_T5_P12ihipStream_tbEUlRKjE_EESM_SQ_SR_mSS_SV_bEUlT_E_NS1_11comp_targetILNS1_3genE5ELNS1_11target_archE942ELNS1_3gpuE9ELNS1_3repE0EEENS1_30default_config_static_selectorELNS0_4arch9wavefront6targetE1EEEvSP_
	.globl	_ZN7rocprim17ROCPRIM_400000_NS6detail17trampoline_kernelINS0_14default_configENS1_27lower_bound_config_selectorIjiEEZNS1_14transform_implILb0ES3_S5_N6thrust23THRUST_200600_302600_NS6detail15normal_iteratorINS8_10device_ptrIjEEEENSA_INSB_IiEEEEZNS1_13binary_searchIS3_S5_SD_SD_SF_NS1_21lower_bound_search_opENS9_16wrapped_functionINS0_4lessIvEEbEEEE10hipError_tPvRmT1_T2_T3_mmT4_T5_P12ihipStream_tbEUlRKjE_EESM_SQ_SR_mSS_SV_bEUlT_E_NS1_11comp_targetILNS1_3genE5ELNS1_11target_archE942ELNS1_3gpuE9ELNS1_3repE0EEENS1_30default_config_static_selectorELNS0_4arch9wavefront6targetE1EEEvSP_
	.p2align	8
	.type	_ZN7rocprim17ROCPRIM_400000_NS6detail17trampoline_kernelINS0_14default_configENS1_27lower_bound_config_selectorIjiEEZNS1_14transform_implILb0ES3_S5_N6thrust23THRUST_200600_302600_NS6detail15normal_iteratorINS8_10device_ptrIjEEEENSA_INSB_IiEEEEZNS1_13binary_searchIS3_S5_SD_SD_SF_NS1_21lower_bound_search_opENS9_16wrapped_functionINS0_4lessIvEEbEEEE10hipError_tPvRmT1_T2_T3_mmT4_T5_P12ihipStream_tbEUlRKjE_EESM_SQ_SR_mSS_SV_bEUlT_E_NS1_11comp_targetILNS1_3genE5ELNS1_11target_archE942ELNS1_3gpuE9ELNS1_3repE0EEENS1_30default_config_static_selectorELNS0_4arch9wavefront6targetE1EEEvSP_,@function
_ZN7rocprim17ROCPRIM_400000_NS6detail17trampoline_kernelINS0_14default_configENS1_27lower_bound_config_selectorIjiEEZNS1_14transform_implILb0ES3_S5_N6thrust23THRUST_200600_302600_NS6detail15normal_iteratorINS8_10device_ptrIjEEEENSA_INSB_IiEEEEZNS1_13binary_searchIS3_S5_SD_SD_SF_NS1_21lower_bound_search_opENS9_16wrapped_functionINS0_4lessIvEEbEEEE10hipError_tPvRmT1_T2_T3_mmT4_T5_P12ihipStream_tbEUlRKjE_EESM_SQ_SR_mSS_SV_bEUlT_E_NS1_11comp_targetILNS1_3genE5ELNS1_11target_archE942ELNS1_3gpuE9ELNS1_3repE0EEENS1_30default_config_static_selectorELNS0_4arch9wavefront6targetE1EEEvSP_: ; @_ZN7rocprim17ROCPRIM_400000_NS6detail17trampoline_kernelINS0_14default_configENS1_27lower_bound_config_selectorIjiEEZNS1_14transform_implILb0ES3_S5_N6thrust23THRUST_200600_302600_NS6detail15normal_iteratorINS8_10device_ptrIjEEEENSA_INSB_IiEEEEZNS1_13binary_searchIS3_S5_SD_SD_SF_NS1_21lower_bound_search_opENS9_16wrapped_functionINS0_4lessIvEEbEEEE10hipError_tPvRmT1_T2_T3_mmT4_T5_P12ihipStream_tbEUlRKjE_EESM_SQ_SR_mSS_SV_bEUlT_E_NS1_11comp_targetILNS1_3genE5ELNS1_11target_archE942ELNS1_3gpuE9ELNS1_3repE0EEENS1_30default_config_static_selectorELNS0_4arch9wavefront6targetE1EEEvSP_
; %bb.0:
	.section	.rodata,"a",@progbits
	.p2align	6, 0x0
	.amdhsa_kernel _ZN7rocprim17ROCPRIM_400000_NS6detail17trampoline_kernelINS0_14default_configENS1_27lower_bound_config_selectorIjiEEZNS1_14transform_implILb0ES3_S5_N6thrust23THRUST_200600_302600_NS6detail15normal_iteratorINS8_10device_ptrIjEEEENSA_INSB_IiEEEEZNS1_13binary_searchIS3_S5_SD_SD_SF_NS1_21lower_bound_search_opENS9_16wrapped_functionINS0_4lessIvEEbEEEE10hipError_tPvRmT1_T2_T3_mmT4_T5_P12ihipStream_tbEUlRKjE_EESM_SQ_SR_mSS_SV_bEUlT_E_NS1_11comp_targetILNS1_3genE5ELNS1_11target_archE942ELNS1_3gpuE9ELNS1_3repE0EEENS1_30default_config_static_selectorELNS0_4arch9wavefront6targetE1EEEvSP_
		.amdhsa_group_segment_fixed_size 0
		.amdhsa_private_segment_fixed_size 0
		.amdhsa_kernarg_size 56
		.amdhsa_user_sgpr_count 6
		.amdhsa_user_sgpr_private_segment_buffer 1
		.amdhsa_user_sgpr_dispatch_ptr 0
		.amdhsa_user_sgpr_queue_ptr 0
		.amdhsa_user_sgpr_kernarg_segment_ptr 1
		.amdhsa_user_sgpr_dispatch_id 0
		.amdhsa_user_sgpr_flat_scratch_init 0
		.amdhsa_user_sgpr_kernarg_preload_length 0
		.amdhsa_user_sgpr_kernarg_preload_offset 0
		.amdhsa_user_sgpr_private_segment_size 0
		.amdhsa_uses_dynamic_stack 0
		.amdhsa_system_sgpr_private_segment_wavefront_offset 0
		.amdhsa_system_sgpr_workgroup_id_x 1
		.amdhsa_system_sgpr_workgroup_id_y 0
		.amdhsa_system_sgpr_workgroup_id_z 0
		.amdhsa_system_sgpr_workgroup_info 0
		.amdhsa_system_vgpr_workitem_id 0
		.amdhsa_next_free_vgpr 1
		.amdhsa_next_free_sgpr 0
		.amdhsa_accum_offset 4
		.amdhsa_reserve_vcc 0
		.amdhsa_reserve_flat_scratch 0
		.amdhsa_float_round_mode_32 0
		.amdhsa_float_round_mode_16_64 0
		.amdhsa_float_denorm_mode_32 3
		.amdhsa_float_denorm_mode_16_64 3
		.amdhsa_dx10_clamp 1
		.amdhsa_ieee_mode 1
		.amdhsa_fp16_overflow 0
		.amdhsa_tg_split 0
		.amdhsa_exception_fp_ieee_invalid_op 0
		.amdhsa_exception_fp_denorm_src 0
		.amdhsa_exception_fp_ieee_div_zero 0
		.amdhsa_exception_fp_ieee_overflow 0
		.amdhsa_exception_fp_ieee_underflow 0
		.amdhsa_exception_fp_ieee_inexact 0
		.amdhsa_exception_int_div_zero 0
	.end_amdhsa_kernel
	.section	.text._ZN7rocprim17ROCPRIM_400000_NS6detail17trampoline_kernelINS0_14default_configENS1_27lower_bound_config_selectorIjiEEZNS1_14transform_implILb0ES3_S5_N6thrust23THRUST_200600_302600_NS6detail15normal_iteratorINS8_10device_ptrIjEEEENSA_INSB_IiEEEEZNS1_13binary_searchIS3_S5_SD_SD_SF_NS1_21lower_bound_search_opENS9_16wrapped_functionINS0_4lessIvEEbEEEE10hipError_tPvRmT1_T2_T3_mmT4_T5_P12ihipStream_tbEUlRKjE_EESM_SQ_SR_mSS_SV_bEUlT_E_NS1_11comp_targetILNS1_3genE5ELNS1_11target_archE942ELNS1_3gpuE9ELNS1_3repE0EEENS1_30default_config_static_selectorELNS0_4arch9wavefront6targetE1EEEvSP_,"axG",@progbits,_ZN7rocprim17ROCPRIM_400000_NS6detail17trampoline_kernelINS0_14default_configENS1_27lower_bound_config_selectorIjiEEZNS1_14transform_implILb0ES3_S5_N6thrust23THRUST_200600_302600_NS6detail15normal_iteratorINS8_10device_ptrIjEEEENSA_INSB_IiEEEEZNS1_13binary_searchIS3_S5_SD_SD_SF_NS1_21lower_bound_search_opENS9_16wrapped_functionINS0_4lessIvEEbEEEE10hipError_tPvRmT1_T2_T3_mmT4_T5_P12ihipStream_tbEUlRKjE_EESM_SQ_SR_mSS_SV_bEUlT_E_NS1_11comp_targetILNS1_3genE5ELNS1_11target_archE942ELNS1_3gpuE9ELNS1_3repE0EEENS1_30default_config_static_selectorELNS0_4arch9wavefront6targetE1EEEvSP_,comdat
.Lfunc_end282:
	.size	_ZN7rocprim17ROCPRIM_400000_NS6detail17trampoline_kernelINS0_14default_configENS1_27lower_bound_config_selectorIjiEEZNS1_14transform_implILb0ES3_S5_N6thrust23THRUST_200600_302600_NS6detail15normal_iteratorINS8_10device_ptrIjEEEENSA_INSB_IiEEEEZNS1_13binary_searchIS3_S5_SD_SD_SF_NS1_21lower_bound_search_opENS9_16wrapped_functionINS0_4lessIvEEbEEEE10hipError_tPvRmT1_T2_T3_mmT4_T5_P12ihipStream_tbEUlRKjE_EESM_SQ_SR_mSS_SV_bEUlT_E_NS1_11comp_targetILNS1_3genE5ELNS1_11target_archE942ELNS1_3gpuE9ELNS1_3repE0EEENS1_30default_config_static_selectorELNS0_4arch9wavefront6targetE1EEEvSP_, .Lfunc_end282-_ZN7rocprim17ROCPRIM_400000_NS6detail17trampoline_kernelINS0_14default_configENS1_27lower_bound_config_selectorIjiEEZNS1_14transform_implILb0ES3_S5_N6thrust23THRUST_200600_302600_NS6detail15normal_iteratorINS8_10device_ptrIjEEEENSA_INSB_IiEEEEZNS1_13binary_searchIS3_S5_SD_SD_SF_NS1_21lower_bound_search_opENS9_16wrapped_functionINS0_4lessIvEEbEEEE10hipError_tPvRmT1_T2_T3_mmT4_T5_P12ihipStream_tbEUlRKjE_EESM_SQ_SR_mSS_SV_bEUlT_E_NS1_11comp_targetILNS1_3genE5ELNS1_11target_archE942ELNS1_3gpuE9ELNS1_3repE0EEENS1_30default_config_static_selectorELNS0_4arch9wavefront6targetE1EEEvSP_
                                        ; -- End function
	.section	.AMDGPU.csdata,"",@progbits
; Kernel info:
; codeLenInByte = 0
; NumSgprs: 4
; NumVgprs: 0
; NumAgprs: 0
; TotalNumVgprs: 0
; ScratchSize: 0
; MemoryBound: 0
; FloatMode: 240
; IeeeMode: 1
; LDSByteSize: 0 bytes/workgroup (compile time only)
; SGPRBlocks: 0
; VGPRBlocks: 0
; NumSGPRsForWavesPerEU: 4
; NumVGPRsForWavesPerEU: 1
; AccumOffset: 4
; Occupancy: 8
; WaveLimiterHint : 0
; COMPUTE_PGM_RSRC2:SCRATCH_EN: 0
; COMPUTE_PGM_RSRC2:USER_SGPR: 6
; COMPUTE_PGM_RSRC2:TRAP_HANDLER: 0
; COMPUTE_PGM_RSRC2:TGID_X_EN: 1
; COMPUTE_PGM_RSRC2:TGID_Y_EN: 0
; COMPUTE_PGM_RSRC2:TGID_Z_EN: 0
; COMPUTE_PGM_RSRC2:TIDIG_COMP_CNT: 0
; COMPUTE_PGM_RSRC3_GFX90A:ACCUM_OFFSET: 0
; COMPUTE_PGM_RSRC3_GFX90A:TG_SPLIT: 0
	.section	.text._ZN7rocprim17ROCPRIM_400000_NS6detail17trampoline_kernelINS0_14default_configENS1_27lower_bound_config_selectorIjiEEZNS1_14transform_implILb0ES3_S5_N6thrust23THRUST_200600_302600_NS6detail15normal_iteratorINS8_10device_ptrIjEEEENSA_INSB_IiEEEEZNS1_13binary_searchIS3_S5_SD_SD_SF_NS1_21lower_bound_search_opENS9_16wrapped_functionINS0_4lessIvEEbEEEE10hipError_tPvRmT1_T2_T3_mmT4_T5_P12ihipStream_tbEUlRKjE_EESM_SQ_SR_mSS_SV_bEUlT_E_NS1_11comp_targetILNS1_3genE4ELNS1_11target_archE910ELNS1_3gpuE8ELNS1_3repE0EEENS1_30default_config_static_selectorELNS0_4arch9wavefront6targetE1EEEvSP_,"axG",@progbits,_ZN7rocprim17ROCPRIM_400000_NS6detail17trampoline_kernelINS0_14default_configENS1_27lower_bound_config_selectorIjiEEZNS1_14transform_implILb0ES3_S5_N6thrust23THRUST_200600_302600_NS6detail15normal_iteratorINS8_10device_ptrIjEEEENSA_INSB_IiEEEEZNS1_13binary_searchIS3_S5_SD_SD_SF_NS1_21lower_bound_search_opENS9_16wrapped_functionINS0_4lessIvEEbEEEE10hipError_tPvRmT1_T2_T3_mmT4_T5_P12ihipStream_tbEUlRKjE_EESM_SQ_SR_mSS_SV_bEUlT_E_NS1_11comp_targetILNS1_3genE4ELNS1_11target_archE910ELNS1_3gpuE8ELNS1_3repE0EEENS1_30default_config_static_selectorELNS0_4arch9wavefront6targetE1EEEvSP_,comdat
	.protected	_ZN7rocprim17ROCPRIM_400000_NS6detail17trampoline_kernelINS0_14default_configENS1_27lower_bound_config_selectorIjiEEZNS1_14transform_implILb0ES3_S5_N6thrust23THRUST_200600_302600_NS6detail15normal_iteratorINS8_10device_ptrIjEEEENSA_INSB_IiEEEEZNS1_13binary_searchIS3_S5_SD_SD_SF_NS1_21lower_bound_search_opENS9_16wrapped_functionINS0_4lessIvEEbEEEE10hipError_tPvRmT1_T2_T3_mmT4_T5_P12ihipStream_tbEUlRKjE_EESM_SQ_SR_mSS_SV_bEUlT_E_NS1_11comp_targetILNS1_3genE4ELNS1_11target_archE910ELNS1_3gpuE8ELNS1_3repE0EEENS1_30default_config_static_selectorELNS0_4arch9wavefront6targetE1EEEvSP_ ; -- Begin function _ZN7rocprim17ROCPRIM_400000_NS6detail17trampoline_kernelINS0_14default_configENS1_27lower_bound_config_selectorIjiEEZNS1_14transform_implILb0ES3_S5_N6thrust23THRUST_200600_302600_NS6detail15normal_iteratorINS8_10device_ptrIjEEEENSA_INSB_IiEEEEZNS1_13binary_searchIS3_S5_SD_SD_SF_NS1_21lower_bound_search_opENS9_16wrapped_functionINS0_4lessIvEEbEEEE10hipError_tPvRmT1_T2_T3_mmT4_T5_P12ihipStream_tbEUlRKjE_EESM_SQ_SR_mSS_SV_bEUlT_E_NS1_11comp_targetILNS1_3genE4ELNS1_11target_archE910ELNS1_3gpuE8ELNS1_3repE0EEENS1_30default_config_static_selectorELNS0_4arch9wavefront6targetE1EEEvSP_
	.globl	_ZN7rocprim17ROCPRIM_400000_NS6detail17trampoline_kernelINS0_14default_configENS1_27lower_bound_config_selectorIjiEEZNS1_14transform_implILb0ES3_S5_N6thrust23THRUST_200600_302600_NS6detail15normal_iteratorINS8_10device_ptrIjEEEENSA_INSB_IiEEEEZNS1_13binary_searchIS3_S5_SD_SD_SF_NS1_21lower_bound_search_opENS9_16wrapped_functionINS0_4lessIvEEbEEEE10hipError_tPvRmT1_T2_T3_mmT4_T5_P12ihipStream_tbEUlRKjE_EESM_SQ_SR_mSS_SV_bEUlT_E_NS1_11comp_targetILNS1_3genE4ELNS1_11target_archE910ELNS1_3gpuE8ELNS1_3repE0EEENS1_30default_config_static_selectorELNS0_4arch9wavefront6targetE1EEEvSP_
	.p2align	8
	.type	_ZN7rocprim17ROCPRIM_400000_NS6detail17trampoline_kernelINS0_14default_configENS1_27lower_bound_config_selectorIjiEEZNS1_14transform_implILb0ES3_S5_N6thrust23THRUST_200600_302600_NS6detail15normal_iteratorINS8_10device_ptrIjEEEENSA_INSB_IiEEEEZNS1_13binary_searchIS3_S5_SD_SD_SF_NS1_21lower_bound_search_opENS9_16wrapped_functionINS0_4lessIvEEbEEEE10hipError_tPvRmT1_T2_T3_mmT4_T5_P12ihipStream_tbEUlRKjE_EESM_SQ_SR_mSS_SV_bEUlT_E_NS1_11comp_targetILNS1_3genE4ELNS1_11target_archE910ELNS1_3gpuE8ELNS1_3repE0EEENS1_30default_config_static_selectorELNS0_4arch9wavefront6targetE1EEEvSP_,@function
_ZN7rocprim17ROCPRIM_400000_NS6detail17trampoline_kernelINS0_14default_configENS1_27lower_bound_config_selectorIjiEEZNS1_14transform_implILb0ES3_S5_N6thrust23THRUST_200600_302600_NS6detail15normal_iteratorINS8_10device_ptrIjEEEENSA_INSB_IiEEEEZNS1_13binary_searchIS3_S5_SD_SD_SF_NS1_21lower_bound_search_opENS9_16wrapped_functionINS0_4lessIvEEbEEEE10hipError_tPvRmT1_T2_T3_mmT4_T5_P12ihipStream_tbEUlRKjE_EESM_SQ_SR_mSS_SV_bEUlT_E_NS1_11comp_targetILNS1_3genE4ELNS1_11target_archE910ELNS1_3gpuE8ELNS1_3repE0EEENS1_30default_config_static_selectorELNS0_4arch9wavefront6targetE1EEEvSP_: ; @_ZN7rocprim17ROCPRIM_400000_NS6detail17trampoline_kernelINS0_14default_configENS1_27lower_bound_config_selectorIjiEEZNS1_14transform_implILb0ES3_S5_N6thrust23THRUST_200600_302600_NS6detail15normal_iteratorINS8_10device_ptrIjEEEENSA_INSB_IiEEEEZNS1_13binary_searchIS3_S5_SD_SD_SF_NS1_21lower_bound_search_opENS9_16wrapped_functionINS0_4lessIvEEbEEEE10hipError_tPvRmT1_T2_T3_mmT4_T5_P12ihipStream_tbEUlRKjE_EESM_SQ_SR_mSS_SV_bEUlT_E_NS1_11comp_targetILNS1_3genE4ELNS1_11target_archE910ELNS1_3gpuE8ELNS1_3repE0EEENS1_30default_config_static_selectorELNS0_4arch9wavefront6targetE1EEEvSP_
; %bb.0:
	s_load_dwordx4 s[12:15], s[4:5], 0x0
	s_load_dwordx4 s[0:3], s[4:5], 0x18
	s_load_dwordx2 s[10:11], s[4:5], 0x28
	s_load_dword s16, s[4:5], 0x38
	s_waitcnt lgkmcnt(0)
	s_lshl_b64 s[8:9], s[14:15], 2
	s_add_u32 s7, s12, s8
	s_addc_u32 s14, s13, s9
	s_add_u32 s12, s0, s8
	s_addc_u32 s13, s1, s9
	s_lshl_b32 s8, s6, 8
	s_add_i32 s16, s16, -1
	s_mov_b32 s9, 0
	s_cmp_lg_u32 s6, s16
	s_mov_b64 s[0:1], -1
	s_cbranch_scc0 .LBB283_6
; %bb.1:
	v_mov_b32_e32 v2, 0
	s_cmp_eq_u64 s[10:11], 0
	s_mov_b64 s[0:1], 0
	s_cbranch_scc1 .LBB283_5
; %bb.2:
	s_lshl_b64 s[16:17], s[8:9], 2
	s_add_u32 s6, s7, s16
	s_addc_u32 s15, s14, s17
	v_lshlrev_b32_e32 v1, 2, v0
	v_mov_b32_e32 v3, s15
	v_add_co_u32_e32 v2, vcc, s6, v1
	v_addc_co_u32_e32 v3, vcc, 0, v3, vcc
	flat_load_dword v1, v[2:3]
	v_pk_mov_b32 v[2:3], 0, 0
	v_pk_mov_b32 v[4:5], s[10:11], s[10:11] op_sel:[0,1]
	v_mov_b32_e32 v6, s3
.LBB283_3:                              ; =>This Inner Loop Header: Depth=1
	v_sub_co_u32_e32 v8, vcc, v4, v2
	v_subb_co_u32_e32 v9, vcc, v5, v3, vcc
	v_lshrrev_b64 v[10:11], 1, v[8:9]
	v_add_co_u32_e32 v7, vcc, v10, v2
	v_lshrrev_b64 v[8:9], 6, v[8:9]
	v_addc_co_u32_e32 v10, vcc, v11, v3, vcc
	v_add_co_u32_e32 v8, vcc, v7, v8
	v_addc_co_u32_e32 v9, vcc, v10, v9, vcc
	v_lshlrev_b64 v[10:11], 2, v[8:9]
	v_add_co_u32_e32 v10, vcc, s2, v10
	v_addc_co_u32_e32 v11, vcc, v6, v11, vcc
	global_load_dword v7, v[10:11], off
	v_add_co_u32_e32 v10, vcc, 1, v8
	v_addc_co_u32_e32 v11, vcc, 0, v9, vcc
	s_waitcnt vmcnt(0) lgkmcnt(0)
	v_cmp_lt_u32_e32 vcc, v7, v1
	v_cndmask_b32_e32 v5, v9, v5, vcc
	v_cndmask_b32_e32 v4, v8, v4, vcc
	;; [unrolled: 1-line block ×4, first 2 shown]
	v_cmp_ge_u64_e32 vcc, v[2:3], v[4:5]
	s_or_b64 s[0:1], vcc, s[0:1]
	s_andn2_b64 exec, exec, s[0:1]
	s_cbranch_execnz .LBB283_3
; %bb.4:
	s_or_b64 exec, exec, s[0:1]
.LBB283_5:
	s_lshl_b64 s[0:1], s[8:9], 2
	s_add_u32 s0, s12, s0
	s_addc_u32 s1, s13, s1
	v_lshlrev_b32_e32 v1, 2, v0
	v_mov_b32_e32 v3, s1
	v_add_co_u32_e32 v4, vcc, s0, v1
	v_addc_co_u32_e32 v5, vcc, 0, v3, vcc
	s_mov_b64 s[0:1], 0
	flat_store_dword v[4:5], v2
.LBB283_6:
	s_and_b64 vcc, exec, s[0:1]
	s_cbranch_vccz .LBB283_11
; %bb.7:
	s_load_dword s0, s[4:5], 0x10
                                        ; implicit-def: $vgpr1
	s_waitcnt lgkmcnt(0)
	s_sub_i32 s0, s0, s8
	v_cmp_gt_u32_e32 vcc, s0, v0
	s_and_saveexec_b64 s[4:5], vcc
	s_cbranch_execnz .LBB283_12
; %bb.8:
	s_or_b64 exec, exec, s[4:5]
                                        ; implicit-def: $vgpr2
	s_and_saveexec_b64 s[4:5], vcc
	s_cbranch_execnz .LBB283_13
.LBB283_9:
	s_or_b64 exec, exec, s[4:5]
	s_and_saveexec_b64 s[0:1], vcc
	s_cbranch_execz .LBB283_11
.LBB283_10:
	s_lshl_b64 s[0:1], s[8:9], 2
	s_add_u32 s0, s12, s0
	s_addc_u32 s1, s13, s1
	v_lshlrev_b32_e32 v0, 2, v0
	s_waitcnt vmcnt(0) lgkmcnt(0)
	v_mov_b32_e32 v1, s1
	v_add_co_u32_e32 v0, vcc, s0, v0
	v_addc_co_u32_e32 v1, vcc, 0, v1, vcc
	flat_store_dword v[0:1], v2
.LBB283_11:
	s_endpgm
.LBB283_12:
	s_lshl_b64 s[0:1], s[8:9], 2
	s_add_u32 s0, s7, s0
	s_addc_u32 s1, s14, s1
	v_lshlrev_b32_e32 v1, 2, v0
	v_mov_b32_e32 v3, s1
	v_add_co_u32_e64 v2, s[0:1], s0, v1
	v_addc_co_u32_e64 v3, s[0:1], 0, v3, s[0:1]
	flat_load_dword v1, v[2:3]
	s_or_b64 exec, exec, s[4:5]
                                        ; implicit-def: $vgpr2
	s_and_saveexec_b64 s[4:5], vcc
	s_cbranch_execz .LBB283_9
.LBB283_13:
	s_cmp_eq_u64 s[10:11], 0
	s_mov_b64 s[6:7], 0
	s_cbranch_scc1 .LBB283_17
; %bb.14:
	v_pk_mov_b32 v[2:3], 0, 0
	v_pk_mov_b32 v[4:5], s[10:11], s[10:11] op_sel:[0,1]
	v_mov_b32_e32 v6, s3
.LBB283_15:                             ; =>This Inner Loop Header: Depth=1
	v_sub_co_u32_e64 v8, s[0:1], v4, v2
	v_subb_co_u32_e64 v9, s[0:1], v5, v3, s[0:1]
	v_lshrrev_b64 v[10:11], 1, v[8:9]
	v_add_co_u32_e64 v7, s[0:1], v10, v2
	v_lshrrev_b64 v[8:9], 6, v[8:9]
	v_addc_co_u32_e64 v10, s[0:1], v11, v3, s[0:1]
	v_add_co_u32_e64 v8, s[0:1], v7, v8
	v_addc_co_u32_e64 v9, s[0:1], v10, v9, s[0:1]
	v_lshlrev_b64 v[10:11], 2, v[8:9]
	v_add_co_u32_e64 v10, s[0:1], s2, v10
	v_addc_co_u32_e64 v11, s[0:1], v6, v11, s[0:1]
	global_load_dword v7, v[10:11], off
	v_add_co_u32_e64 v10, s[0:1], 1, v8
	v_addc_co_u32_e64 v11, s[0:1], 0, v9, s[0:1]
	s_waitcnt vmcnt(0) lgkmcnt(0)
	v_cmp_lt_u32_e64 s[0:1], v7, v1
	v_cndmask_b32_e64 v5, v9, v5, s[0:1]
	v_cndmask_b32_e64 v4, v8, v4, s[0:1]
	;; [unrolled: 1-line block ×4, first 2 shown]
	v_cmp_ge_u64_e64 s[0:1], v[2:3], v[4:5]
	s_or_b64 s[6:7], s[0:1], s[6:7]
	s_andn2_b64 exec, exec, s[6:7]
	s_cbranch_execnz .LBB283_15
; %bb.16:
	s_or_b64 exec, exec, s[6:7]
	s_or_b64 exec, exec, s[4:5]
	s_and_saveexec_b64 s[0:1], vcc
	s_cbranch_execnz .LBB283_10
	s_branch .LBB283_11
.LBB283_17:
	v_mov_b32_e32 v2, 0
	s_or_b64 exec, exec, s[4:5]
	s_and_saveexec_b64 s[0:1], vcc
	s_cbranch_execnz .LBB283_10
	s_branch .LBB283_11
	.section	.rodata,"a",@progbits
	.p2align	6, 0x0
	.amdhsa_kernel _ZN7rocprim17ROCPRIM_400000_NS6detail17trampoline_kernelINS0_14default_configENS1_27lower_bound_config_selectorIjiEEZNS1_14transform_implILb0ES3_S5_N6thrust23THRUST_200600_302600_NS6detail15normal_iteratorINS8_10device_ptrIjEEEENSA_INSB_IiEEEEZNS1_13binary_searchIS3_S5_SD_SD_SF_NS1_21lower_bound_search_opENS9_16wrapped_functionINS0_4lessIvEEbEEEE10hipError_tPvRmT1_T2_T3_mmT4_T5_P12ihipStream_tbEUlRKjE_EESM_SQ_SR_mSS_SV_bEUlT_E_NS1_11comp_targetILNS1_3genE4ELNS1_11target_archE910ELNS1_3gpuE8ELNS1_3repE0EEENS1_30default_config_static_selectorELNS0_4arch9wavefront6targetE1EEEvSP_
		.amdhsa_group_segment_fixed_size 0
		.amdhsa_private_segment_fixed_size 0
		.amdhsa_kernarg_size 312
		.amdhsa_user_sgpr_count 6
		.amdhsa_user_sgpr_private_segment_buffer 1
		.amdhsa_user_sgpr_dispatch_ptr 0
		.amdhsa_user_sgpr_queue_ptr 0
		.amdhsa_user_sgpr_kernarg_segment_ptr 1
		.amdhsa_user_sgpr_dispatch_id 0
		.amdhsa_user_sgpr_flat_scratch_init 0
		.amdhsa_user_sgpr_kernarg_preload_length 0
		.amdhsa_user_sgpr_kernarg_preload_offset 0
		.amdhsa_user_sgpr_private_segment_size 0
		.amdhsa_uses_dynamic_stack 0
		.amdhsa_system_sgpr_private_segment_wavefront_offset 0
		.amdhsa_system_sgpr_workgroup_id_x 1
		.amdhsa_system_sgpr_workgroup_id_y 0
		.amdhsa_system_sgpr_workgroup_id_z 0
		.amdhsa_system_sgpr_workgroup_info 0
		.amdhsa_system_vgpr_workitem_id 0
		.amdhsa_next_free_vgpr 12
		.amdhsa_next_free_sgpr 18
		.amdhsa_accum_offset 12
		.amdhsa_reserve_vcc 1
		.amdhsa_reserve_flat_scratch 0
		.amdhsa_float_round_mode_32 0
		.amdhsa_float_round_mode_16_64 0
		.amdhsa_float_denorm_mode_32 3
		.amdhsa_float_denorm_mode_16_64 3
		.amdhsa_dx10_clamp 1
		.amdhsa_ieee_mode 1
		.amdhsa_fp16_overflow 0
		.amdhsa_tg_split 0
		.amdhsa_exception_fp_ieee_invalid_op 0
		.amdhsa_exception_fp_denorm_src 0
		.amdhsa_exception_fp_ieee_div_zero 0
		.amdhsa_exception_fp_ieee_overflow 0
		.amdhsa_exception_fp_ieee_underflow 0
		.amdhsa_exception_fp_ieee_inexact 0
		.amdhsa_exception_int_div_zero 0
	.end_amdhsa_kernel
	.section	.text._ZN7rocprim17ROCPRIM_400000_NS6detail17trampoline_kernelINS0_14default_configENS1_27lower_bound_config_selectorIjiEEZNS1_14transform_implILb0ES3_S5_N6thrust23THRUST_200600_302600_NS6detail15normal_iteratorINS8_10device_ptrIjEEEENSA_INSB_IiEEEEZNS1_13binary_searchIS3_S5_SD_SD_SF_NS1_21lower_bound_search_opENS9_16wrapped_functionINS0_4lessIvEEbEEEE10hipError_tPvRmT1_T2_T3_mmT4_T5_P12ihipStream_tbEUlRKjE_EESM_SQ_SR_mSS_SV_bEUlT_E_NS1_11comp_targetILNS1_3genE4ELNS1_11target_archE910ELNS1_3gpuE8ELNS1_3repE0EEENS1_30default_config_static_selectorELNS0_4arch9wavefront6targetE1EEEvSP_,"axG",@progbits,_ZN7rocprim17ROCPRIM_400000_NS6detail17trampoline_kernelINS0_14default_configENS1_27lower_bound_config_selectorIjiEEZNS1_14transform_implILb0ES3_S5_N6thrust23THRUST_200600_302600_NS6detail15normal_iteratorINS8_10device_ptrIjEEEENSA_INSB_IiEEEEZNS1_13binary_searchIS3_S5_SD_SD_SF_NS1_21lower_bound_search_opENS9_16wrapped_functionINS0_4lessIvEEbEEEE10hipError_tPvRmT1_T2_T3_mmT4_T5_P12ihipStream_tbEUlRKjE_EESM_SQ_SR_mSS_SV_bEUlT_E_NS1_11comp_targetILNS1_3genE4ELNS1_11target_archE910ELNS1_3gpuE8ELNS1_3repE0EEENS1_30default_config_static_selectorELNS0_4arch9wavefront6targetE1EEEvSP_,comdat
.Lfunc_end283:
	.size	_ZN7rocprim17ROCPRIM_400000_NS6detail17trampoline_kernelINS0_14default_configENS1_27lower_bound_config_selectorIjiEEZNS1_14transform_implILb0ES3_S5_N6thrust23THRUST_200600_302600_NS6detail15normal_iteratorINS8_10device_ptrIjEEEENSA_INSB_IiEEEEZNS1_13binary_searchIS3_S5_SD_SD_SF_NS1_21lower_bound_search_opENS9_16wrapped_functionINS0_4lessIvEEbEEEE10hipError_tPvRmT1_T2_T3_mmT4_T5_P12ihipStream_tbEUlRKjE_EESM_SQ_SR_mSS_SV_bEUlT_E_NS1_11comp_targetILNS1_3genE4ELNS1_11target_archE910ELNS1_3gpuE8ELNS1_3repE0EEENS1_30default_config_static_selectorELNS0_4arch9wavefront6targetE1EEEvSP_, .Lfunc_end283-_ZN7rocprim17ROCPRIM_400000_NS6detail17trampoline_kernelINS0_14default_configENS1_27lower_bound_config_selectorIjiEEZNS1_14transform_implILb0ES3_S5_N6thrust23THRUST_200600_302600_NS6detail15normal_iteratorINS8_10device_ptrIjEEEENSA_INSB_IiEEEEZNS1_13binary_searchIS3_S5_SD_SD_SF_NS1_21lower_bound_search_opENS9_16wrapped_functionINS0_4lessIvEEbEEEE10hipError_tPvRmT1_T2_T3_mmT4_T5_P12ihipStream_tbEUlRKjE_EESM_SQ_SR_mSS_SV_bEUlT_E_NS1_11comp_targetILNS1_3genE4ELNS1_11target_archE910ELNS1_3gpuE8ELNS1_3repE0EEENS1_30default_config_static_selectorELNS0_4arch9wavefront6targetE1EEEvSP_
                                        ; -- End function
	.section	.AMDGPU.csdata,"",@progbits
; Kernel info:
; codeLenInByte = 716
; NumSgprs: 22
; NumVgprs: 12
; NumAgprs: 0
; TotalNumVgprs: 12
; ScratchSize: 0
; MemoryBound: 0
; FloatMode: 240
; IeeeMode: 1
; LDSByteSize: 0 bytes/workgroup (compile time only)
; SGPRBlocks: 2
; VGPRBlocks: 1
; NumSGPRsForWavesPerEU: 22
; NumVGPRsForWavesPerEU: 12
; AccumOffset: 12
; Occupancy: 8
; WaveLimiterHint : 0
; COMPUTE_PGM_RSRC2:SCRATCH_EN: 0
; COMPUTE_PGM_RSRC2:USER_SGPR: 6
; COMPUTE_PGM_RSRC2:TRAP_HANDLER: 0
; COMPUTE_PGM_RSRC2:TGID_X_EN: 1
; COMPUTE_PGM_RSRC2:TGID_Y_EN: 0
; COMPUTE_PGM_RSRC2:TGID_Z_EN: 0
; COMPUTE_PGM_RSRC2:TIDIG_COMP_CNT: 0
; COMPUTE_PGM_RSRC3_GFX90A:ACCUM_OFFSET: 2
; COMPUTE_PGM_RSRC3_GFX90A:TG_SPLIT: 0
	.section	.text._ZN7rocprim17ROCPRIM_400000_NS6detail17trampoline_kernelINS0_14default_configENS1_27lower_bound_config_selectorIjiEEZNS1_14transform_implILb0ES3_S5_N6thrust23THRUST_200600_302600_NS6detail15normal_iteratorINS8_10device_ptrIjEEEENSA_INSB_IiEEEEZNS1_13binary_searchIS3_S5_SD_SD_SF_NS1_21lower_bound_search_opENS9_16wrapped_functionINS0_4lessIvEEbEEEE10hipError_tPvRmT1_T2_T3_mmT4_T5_P12ihipStream_tbEUlRKjE_EESM_SQ_SR_mSS_SV_bEUlT_E_NS1_11comp_targetILNS1_3genE3ELNS1_11target_archE908ELNS1_3gpuE7ELNS1_3repE0EEENS1_30default_config_static_selectorELNS0_4arch9wavefront6targetE1EEEvSP_,"axG",@progbits,_ZN7rocprim17ROCPRIM_400000_NS6detail17trampoline_kernelINS0_14default_configENS1_27lower_bound_config_selectorIjiEEZNS1_14transform_implILb0ES3_S5_N6thrust23THRUST_200600_302600_NS6detail15normal_iteratorINS8_10device_ptrIjEEEENSA_INSB_IiEEEEZNS1_13binary_searchIS3_S5_SD_SD_SF_NS1_21lower_bound_search_opENS9_16wrapped_functionINS0_4lessIvEEbEEEE10hipError_tPvRmT1_T2_T3_mmT4_T5_P12ihipStream_tbEUlRKjE_EESM_SQ_SR_mSS_SV_bEUlT_E_NS1_11comp_targetILNS1_3genE3ELNS1_11target_archE908ELNS1_3gpuE7ELNS1_3repE0EEENS1_30default_config_static_selectorELNS0_4arch9wavefront6targetE1EEEvSP_,comdat
	.protected	_ZN7rocprim17ROCPRIM_400000_NS6detail17trampoline_kernelINS0_14default_configENS1_27lower_bound_config_selectorIjiEEZNS1_14transform_implILb0ES3_S5_N6thrust23THRUST_200600_302600_NS6detail15normal_iteratorINS8_10device_ptrIjEEEENSA_INSB_IiEEEEZNS1_13binary_searchIS3_S5_SD_SD_SF_NS1_21lower_bound_search_opENS9_16wrapped_functionINS0_4lessIvEEbEEEE10hipError_tPvRmT1_T2_T3_mmT4_T5_P12ihipStream_tbEUlRKjE_EESM_SQ_SR_mSS_SV_bEUlT_E_NS1_11comp_targetILNS1_3genE3ELNS1_11target_archE908ELNS1_3gpuE7ELNS1_3repE0EEENS1_30default_config_static_selectorELNS0_4arch9wavefront6targetE1EEEvSP_ ; -- Begin function _ZN7rocprim17ROCPRIM_400000_NS6detail17trampoline_kernelINS0_14default_configENS1_27lower_bound_config_selectorIjiEEZNS1_14transform_implILb0ES3_S5_N6thrust23THRUST_200600_302600_NS6detail15normal_iteratorINS8_10device_ptrIjEEEENSA_INSB_IiEEEEZNS1_13binary_searchIS3_S5_SD_SD_SF_NS1_21lower_bound_search_opENS9_16wrapped_functionINS0_4lessIvEEbEEEE10hipError_tPvRmT1_T2_T3_mmT4_T5_P12ihipStream_tbEUlRKjE_EESM_SQ_SR_mSS_SV_bEUlT_E_NS1_11comp_targetILNS1_3genE3ELNS1_11target_archE908ELNS1_3gpuE7ELNS1_3repE0EEENS1_30default_config_static_selectorELNS0_4arch9wavefront6targetE1EEEvSP_
	.globl	_ZN7rocprim17ROCPRIM_400000_NS6detail17trampoline_kernelINS0_14default_configENS1_27lower_bound_config_selectorIjiEEZNS1_14transform_implILb0ES3_S5_N6thrust23THRUST_200600_302600_NS6detail15normal_iteratorINS8_10device_ptrIjEEEENSA_INSB_IiEEEEZNS1_13binary_searchIS3_S5_SD_SD_SF_NS1_21lower_bound_search_opENS9_16wrapped_functionINS0_4lessIvEEbEEEE10hipError_tPvRmT1_T2_T3_mmT4_T5_P12ihipStream_tbEUlRKjE_EESM_SQ_SR_mSS_SV_bEUlT_E_NS1_11comp_targetILNS1_3genE3ELNS1_11target_archE908ELNS1_3gpuE7ELNS1_3repE0EEENS1_30default_config_static_selectorELNS0_4arch9wavefront6targetE1EEEvSP_
	.p2align	8
	.type	_ZN7rocprim17ROCPRIM_400000_NS6detail17trampoline_kernelINS0_14default_configENS1_27lower_bound_config_selectorIjiEEZNS1_14transform_implILb0ES3_S5_N6thrust23THRUST_200600_302600_NS6detail15normal_iteratorINS8_10device_ptrIjEEEENSA_INSB_IiEEEEZNS1_13binary_searchIS3_S5_SD_SD_SF_NS1_21lower_bound_search_opENS9_16wrapped_functionINS0_4lessIvEEbEEEE10hipError_tPvRmT1_T2_T3_mmT4_T5_P12ihipStream_tbEUlRKjE_EESM_SQ_SR_mSS_SV_bEUlT_E_NS1_11comp_targetILNS1_3genE3ELNS1_11target_archE908ELNS1_3gpuE7ELNS1_3repE0EEENS1_30default_config_static_selectorELNS0_4arch9wavefront6targetE1EEEvSP_,@function
_ZN7rocprim17ROCPRIM_400000_NS6detail17trampoline_kernelINS0_14default_configENS1_27lower_bound_config_selectorIjiEEZNS1_14transform_implILb0ES3_S5_N6thrust23THRUST_200600_302600_NS6detail15normal_iteratorINS8_10device_ptrIjEEEENSA_INSB_IiEEEEZNS1_13binary_searchIS3_S5_SD_SD_SF_NS1_21lower_bound_search_opENS9_16wrapped_functionINS0_4lessIvEEbEEEE10hipError_tPvRmT1_T2_T3_mmT4_T5_P12ihipStream_tbEUlRKjE_EESM_SQ_SR_mSS_SV_bEUlT_E_NS1_11comp_targetILNS1_3genE3ELNS1_11target_archE908ELNS1_3gpuE7ELNS1_3repE0EEENS1_30default_config_static_selectorELNS0_4arch9wavefront6targetE1EEEvSP_: ; @_ZN7rocprim17ROCPRIM_400000_NS6detail17trampoline_kernelINS0_14default_configENS1_27lower_bound_config_selectorIjiEEZNS1_14transform_implILb0ES3_S5_N6thrust23THRUST_200600_302600_NS6detail15normal_iteratorINS8_10device_ptrIjEEEENSA_INSB_IiEEEEZNS1_13binary_searchIS3_S5_SD_SD_SF_NS1_21lower_bound_search_opENS9_16wrapped_functionINS0_4lessIvEEbEEEE10hipError_tPvRmT1_T2_T3_mmT4_T5_P12ihipStream_tbEUlRKjE_EESM_SQ_SR_mSS_SV_bEUlT_E_NS1_11comp_targetILNS1_3genE3ELNS1_11target_archE908ELNS1_3gpuE7ELNS1_3repE0EEENS1_30default_config_static_selectorELNS0_4arch9wavefront6targetE1EEEvSP_
; %bb.0:
	.section	.rodata,"a",@progbits
	.p2align	6, 0x0
	.amdhsa_kernel _ZN7rocprim17ROCPRIM_400000_NS6detail17trampoline_kernelINS0_14default_configENS1_27lower_bound_config_selectorIjiEEZNS1_14transform_implILb0ES3_S5_N6thrust23THRUST_200600_302600_NS6detail15normal_iteratorINS8_10device_ptrIjEEEENSA_INSB_IiEEEEZNS1_13binary_searchIS3_S5_SD_SD_SF_NS1_21lower_bound_search_opENS9_16wrapped_functionINS0_4lessIvEEbEEEE10hipError_tPvRmT1_T2_T3_mmT4_T5_P12ihipStream_tbEUlRKjE_EESM_SQ_SR_mSS_SV_bEUlT_E_NS1_11comp_targetILNS1_3genE3ELNS1_11target_archE908ELNS1_3gpuE7ELNS1_3repE0EEENS1_30default_config_static_selectorELNS0_4arch9wavefront6targetE1EEEvSP_
		.amdhsa_group_segment_fixed_size 0
		.amdhsa_private_segment_fixed_size 0
		.amdhsa_kernarg_size 56
		.amdhsa_user_sgpr_count 6
		.amdhsa_user_sgpr_private_segment_buffer 1
		.amdhsa_user_sgpr_dispatch_ptr 0
		.amdhsa_user_sgpr_queue_ptr 0
		.amdhsa_user_sgpr_kernarg_segment_ptr 1
		.amdhsa_user_sgpr_dispatch_id 0
		.amdhsa_user_sgpr_flat_scratch_init 0
		.amdhsa_user_sgpr_kernarg_preload_length 0
		.amdhsa_user_sgpr_kernarg_preload_offset 0
		.amdhsa_user_sgpr_private_segment_size 0
		.amdhsa_uses_dynamic_stack 0
		.amdhsa_system_sgpr_private_segment_wavefront_offset 0
		.amdhsa_system_sgpr_workgroup_id_x 1
		.amdhsa_system_sgpr_workgroup_id_y 0
		.amdhsa_system_sgpr_workgroup_id_z 0
		.amdhsa_system_sgpr_workgroup_info 0
		.amdhsa_system_vgpr_workitem_id 0
		.amdhsa_next_free_vgpr 1
		.amdhsa_next_free_sgpr 0
		.amdhsa_accum_offset 4
		.amdhsa_reserve_vcc 0
		.amdhsa_reserve_flat_scratch 0
		.amdhsa_float_round_mode_32 0
		.amdhsa_float_round_mode_16_64 0
		.amdhsa_float_denorm_mode_32 3
		.amdhsa_float_denorm_mode_16_64 3
		.amdhsa_dx10_clamp 1
		.amdhsa_ieee_mode 1
		.amdhsa_fp16_overflow 0
		.amdhsa_tg_split 0
		.amdhsa_exception_fp_ieee_invalid_op 0
		.amdhsa_exception_fp_denorm_src 0
		.amdhsa_exception_fp_ieee_div_zero 0
		.amdhsa_exception_fp_ieee_overflow 0
		.amdhsa_exception_fp_ieee_underflow 0
		.amdhsa_exception_fp_ieee_inexact 0
		.amdhsa_exception_int_div_zero 0
	.end_amdhsa_kernel
	.section	.text._ZN7rocprim17ROCPRIM_400000_NS6detail17trampoline_kernelINS0_14default_configENS1_27lower_bound_config_selectorIjiEEZNS1_14transform_implILb0ES3_S5_N6thrust23THRUST_200600_302600_NS6detail15normal_iteratorINS8_10device_ptrIjEEEENSA_INSB_IiEEEEZNS1_13binary_searchIS3_S5_SD_SD_SF_NS1_21lower_bound_search_opENS9_16wrapped_functionINS0_4lessIvEEbEEEE10hipError_tPvRmT1_T2_T3_mmT4_T5_P12ihipStream_tbEUlRKjE_EESM_SQ_SR_mSS_SV_bEUlT_E_NS1_11comp_targetILNS1_3genE3ELNS1_11target_archE908ELNS1_3gpuE7ELNS1_3repE0EEENS1_30default_config_static_selectorELNS0_4arch9wavefront6targetE1EEEvSP_,"axG",@progbits,_ZN7rocprim17ROCPRIM_400000_NS6detail17trampoline_kernelINS0_14default_configENS1_27lower_bound_config_selectorIjiEEZNS1_14transform_implILb0ES3_S5_N6thrust23THRUST_200600_302600_NS6detail15normal_iteratorINS8_10device_ptrIjEEEENSA_INSB_IiEEEEZNS1_13binary_searchIS3_S5_SD_SD_SF_NS1_21lower_bound_search_opENS9_16wrapped_functionINS0_4lessIvEEbEEEE10hipError_tPvRmT1_T2_T3_mmT4_T5_P12ihipStream_tbEUlRKjE_EESM_SQ_SR_mSS_SV_bEUlT_E_NS1_11comp_targetILNS1_3genE3ELNS1_11target_archE908ELNS1_3gpuE7ELNS1_3repE0EEENS1_30default_config_static_selectorELNS0_4arch9wavefront6targetE1EEEvSP_,comdat
.Lfunc_end284:
	.size	_ZN7rocprim17ROCPRIM_400000_NS6detail17trampoline_kernelINS0_14default_configENS1_27lower_bound_config_selectorIjiEEZNS1_14transform_implILb0ES3_S5_N6thrust23THRUST_200600_302600_NS6detail15normal_iteratorINS8_10device_ptrIjEEEENSA_INSB_IiEEEEZNS1_13binary_searchIS3_S5_SD_SD_SF_NS1_21lower_bound_search_opENS9_16wrapped_functionINS0_4lessIvEEbEEEE10hipError_tPvRmT1_T2_T3_mmT4_T5_P12ihipStream_tbEUlRKjE_EESM_SQ_SR_mSS_SV_bEUlT_E_NS1_11comp_targetILNS1_3genE3ELNS1_11target_archE908ELNS1_3gpuE7ELNS1_3repE0EEENS1_30default_config_static_selectorELNS0_4arch9wavefront6targetE1EEEvSP_, .Lfunc_end284-_ZN7rocprim17ROCPRIM_400000_NS6detail17trampoline_kernelINS0_14default_configENS1_27lower_bound_config_selectorIjiEEZNS1_14transform_implILb0ES3_S5_N6thrust23THRUST_200600_302600_NS6detail15normal_iteratorINS8_10device_ptrIjEEEENSA_INSB_IiEEEEZNS1_13binary_searchIS3_S5_SD_SD_SF_NS1_21lower_bound_search_opENS9_16wrapped_functionINS0_4lessIvEEbEEEE10hipError_tPvRmT1_T2_T3_mmT4_T5_P12ihipStream_tbEUlRKjE_EESM_SQ_SR_mSS_SV_bEUlT_E_NS1_11comp_targetILNS1_3genE3ELNS1_11target_archE908ELNS1_3gpuE7ELNS1_3repE0EEENS1_30default_config_static_selectorELNS0_4arch9wavefront6targetE1EEEvSP_
                                        ; -- End function
	.section	.AMDGPU.csdata,"",@progbits
; Kernel info:
; codeLenInByte = 0
; NumSgprs: 4
; NumVgprs: 0
; NumAgprs: 0
; TotalNumVgprs: 0
; ScratchSize: 0
; MemoryBound: 0
; FloatMode: 240
; IeeeMode: 1
; LDSByteSize: 0 bytes/workgroup (compile time only)
; SGPRBlocks: 0
; VGPRBlocks: 0
; NumSGPRsForWavesPerEU: 4
; NumVGPRsForWavesPerEU: 1
; AccumOffset: 4
; Occupancy: 8
; WaveLimiterHint : 0
; COMPUTE_PGM_RSRC2:SCRATCH_EN: 0
; COMPUTE_PGM_RSRC2:USER_SGPR: 6
; COMPUTE_PGM_RSRC2:TRAP_HANDLER: 0
; COMPUTE_PGM_RSRC2:TGID_X_EN: 1
; COMPUTE_PGM_RSRC2:TGID_Y_EN: 0
; COMPUTE_PGM_RSRC2:TGID_Z_EN: 0
; COMPUTE_PGM_RSRC2:TIDIG_COMP_CNT: 0
; COMPUTE_PGM_RSRC3_GFX90A:ACCUM_OFFSET: 0
; COMPUTE_PGM_RSRC3_GFX90A:TG_SPLIT: 0
	.section	.text._ZN7rocprim17ROCPRIM_400000_NS6detail17trampoline_kernelINS0_14default_configENS1_27lower_bound_config_selectorIjiEEZNS1_14transform_implILb0ES3_S5_N6thrust23THRUST_200600_302600_NS6detail15normal_iteratorINS8_10device_ptrIjEEEENSA_INSB_IiEEEEZNS1_13binary_searchIS3_S5_SD_SD_SF_NS1_21lower_bound_search_opENS9_16wrapped_functionINS0_4lessIvEEbEEEE10hipError_tPvRmT1_T2_T3_mmT4_T5_P12ihipStream_tbEUlRKjE_EESM_SQ_SR_mSS_SV_bEUlT_E_NS1_11comp_targetILNS1_3genE2ELNS1_11target_archE906ELNS1_3gpuE6ELNS1_3repE0EEENS1_30default_config_static_selectorELNS0_4arch9wavefront6targetE1EEEvSP_,"axG",@progbits,_ZN7rocprim17ROCPRIM_400000_NS6detail17trampoline_kernelINS0_14default_configENS1_27lower_bound_config_selectorIjiEEZNS1_14transform_implILb0ES3_S5_N6thrust23THRUST_200600_302600_NS6detail15normal_iteratorINS8_10device_ptrIjEEEENSA_INSB_IiEEEEZNS1_13binary_searchIS3_S5_SD_SD_SF_NS1_21lower_bound_search_opENS9_16wrapped_functionINS0_4lessIvEEbEEEE10hipError_tPvRmT1_T2_T3_mmT4_T5_P12ihipStream_tbEUlRKjE_EESM_SQ_SR_mSS_SV_bEUlT_E_NS1_11comp_targetILNS1_3genE2ELNS1_11target_archE906ELNS1_3gpuE6ELNS1_3repE0EEENS1_30default_config_static_selectorELNS0_4arch9wavefront6targetE1EEEvSP_,comdat
	.protected	_ZN7rocprim17ROCPRIM_400000_NS6detail17trampoline_kernelINS0_14default_configENS1_27lower_bound_config_selectorIjiEEZNS1_14transform_implILb0ES3_S5_N6thrust23THRUST_200600_302600_NS6detail15normal_iteratorINS8_10device_ptrIjEEEENSA_INSB_IiEEEEZNS1_13binary_searchIS3_S5_SD_SD_SF_NS1_21lower_bound_search_opENS9_16wrapped_functionINS0_4lessIvEEbEEEE10hipError_tPvRmT1_T2_T3_mmT4_T5_P12ihipStream_tbEUlRKjE_EESM_SQ_SR_mSS_SV_bEUlT_E_NS1_11comp_targetILNS1_3genE2ELNS1_11target_archE906ELNS1_3gpuE6ELNS1_3repE0EEENS1_30default_config_static_selectorELNS0_4arch9wavefront6targetE1EEEvSP_ ; -- Begin function _ZN7rocprim17ROCPRIM_400000_NS6detail17trampoline_kernelINS0_14default_configENS1_27lower_bound_config_selectorIjiEEZNS1_14transform_implILb0ES3_S5_N6thrust23THRUST_200600_302600_NS6detail15normal_iteratorINS8_10device_ptrIjEEEENSA_INSB_IiEEEEZNS1_13binary_searchIS3_S5_SD_SD_SF_NS1_21lower_bound_search_opENS9_16wrapped_functionINS0_4lessIvEEbEEEE10hipError_tPvRmT1_T2_T3_mmT4_T5_P12ihipStream_tbEUlRKjE_EESM_SQ_SR_mSS_SV_bEUlT_E_NS1_11comp_targetILNS1_3genE2ELNS1_11target_archE906ELNS1_3gpuE6ELNS1_3repE0EEENS1_30default_config_static_selectorELNS0_4arch9wavefront6targetE1EEEvSP_
	.globl	_ZN7rocprim17ROCPRIM_400000_NS6detail17trampoline_kernelINS0_14default_configENS1_27lower_bound_config_selectorIjiEEZNS1_14transform_implILb0ES3_S5_N6thrust23THRUST_200600_302600_NS6detail15normal_iteratorINS8_10device_ptrIjEEEENSA_INSB_IiEEEEZNS1_13binary_searchIS3_S5_SD_SD_SF_NS1_21lower_bound_search_opENS9_16wrapped_functionINS0_4lessIvEEbEEEE10hipError_tPvRmT1_T2_T3_mmT4_T5_P12ihipStream_tbEUlRKjE_EESM_SQ_SR_mSS_SV_bEUlT_E_NS1_11comp_targetILNS1_3genE2ELNS1_11target_archE906ELNS1_3gpuE6ELNS1_3repE0EEENS1_30default_config_static_selectorELNS0_4arch9wavefront6targetE1EEEvSP_
	.p2align	8
	.type	_ZN7rocprim17ROCPRIM_400000_NS6detail17trampoline_kernelINS0_14default_configENS1_27lower_bound_config_selectorIjiEEZNS1_14transform_implILb0ES3_S5_N6thrust23THRUST_200600_302600_NS6detail15normal_iteratorINS8_10device_ptrIjEEEENSA_INSB_IiEEEEZNS1_13binary_searchIS3_S5_SD_SD_SF_NS1_21lower_bound_search_opENS9_16wrapped_functionINS0_4lessIvEEbEEEE10hipError_tPvRmT1_T2_T3_mmT4_T5_P12ihipStream_tbEUlRKjE_EESM_SQ_SR_mSS_SV_bEUlT_E_NS1_11comp_targetILNS1_3genE2ELNS1_11target_archE906ELNS1_3gpuE6ELNS1_3repE0EEENS1_30default_config_static_selectorELNS0_4arch9wavefront6targetE1EEEvSP_,@function
_ZN7rocprim17ROCPRIM_400000_NS6detail17trampoline_kernelINS0_14default_configENS1_27lower_bound_config_selectorIjiEEZNS1_14transform_implILb0ES3_S5_N6thrust23THRUST_200600_302600_NS6detail15normal_iteratorINS8_10device_ptrIjEEEENSA_INSB_IiEEEEZNS1_13binary_searchIS3_S5_SD_SD_SF_NS1_21lower_bound_search_opENS9_16wrapped_functionINS0_4lessIvEEbEEEE10hipError_tPvRmT1_T2_T3_mmT4_T5_P12ihipStream_tbEUlRKjE_EESM_SQ_SR_mSS_SV_bEUlT_E_NS1_11comp_targetILNS1_3genE2ELNS1_11target_archE906ELNS1_3gpuE6ELNS1_3repE0EEENS1_30default_config_static_selectorELNS0_4arch9wavefront6targetE1EEEvSP_: ; @_ZN7rocprim17ROCPRIM_400000_NS6detail17trampoline_kernelINS0_14default_configENS1_27lower_bound_config_selectorIjiEEZNS1_14transform_implILb0ES3_S5_N6thrust23THRUST_200600_302600_NS6detail15normal_iteratorINS8_10device_ptrIjEEEENSA_INSB_IiEEEEZNS1_13binary_searchIS3_S5_SD_SD_SF_NS1_21lower_bound_search_opENS9_16wrapped_functionINS0_4lessIvEEbEEEE10hipError_tPvRmT1_T2_T3_mmT4_T5_P12ihipStream_tbEUlRKjE_EESM_SQ_SR_mSS_SV_bEUlT_E_NS1_11comp_targetILNS1_3genE2ELNS1_11target_archE906ELNS1_3gpuE6ELNS1_3repE0EEENS1_30default_config_static_selectorELNS0_4arch9wavefront6targetE1EEEvSP_
; %bb.0:
	.section	.rodata,"a",@progbits
	.p2align	6, 0x0
	.amdhsa_kernel _ZN7rocprim17ROCPRIM_400000_NS6detail17trampoline_kernelINS0_14default_configENS1_27lower_bound_config_selectorIjiEEZNS1_14transform_implILb0ES3_S5_N6thrust23THRUST_200600_302600_NS6detail15normal_iteratorINS8_10device_ptrIjEEEENSA_INSB_IiEEEEZNS1_13binary_searchIS3_S5_SD_SD_SF_NS1_21lower_bound_search_opENS9_16wrapped_functionINS0_4lessIvEEbEEEE10hipError_tPvRmT1_T2_T3_mmT4_T5_P12ihipStream_tbEUlRKjE_EESM_SQ_SR_mSS_SV_bEUlT_E_NS1_11comp_targetILNS1_3genE2ELNS1_11target_archE906ELNS1_3gpuE6ELNS1_3repE0EEENS1_30default_config_static_selectorELNS0_4arch9wavefront6targetE1EEEvSP_
		.amdhsa_group_segment_fixed_size 0
		.amdhsa_private_segment_fixed_size 0
		.amdhsa_kernarg_size 56
		.amdhsa_user_sgpr_count 6
		.amdhsa_user_sgpr_private_segment_buffer 1
		.amdhsa_user_sgpr_dispatch_ptr 0
		.amdhsa_user_sgpr_queue_ptr 0
		.amdhsa_user_sgpr_kernarg_segment_ptr 1
		.amdhsa_user_sgpr_dispatch_id 0
		.amdhsa_user_sgpr_flat_scratch_init 0
		.amdhsa_user_sgpr_kernarg_preload_length 0
		.amdhsa_user_sgpr_kernarg_preload_offset 0
		.amdhsa_user_sgpr_private_segment_size 0
		.amdhsa_uses_dynamic_stack 0
		.amdhsa_system_sgpr_private_segment_wavefront_offset 0
		.amdhsa_system_sgpr_workgroup_id_x 1
		.amdhsa_system_sgpr_workgroup_id_y 0
		.amdhsa_system_sgpr_workgroup_id_z 0
		.amdhsa_system_sgpr_workgroup_info 0
		.amdhsa_system_vgpr_workitem_id 0
		.amdhsa_next_free_vgpr 1
		.amdhsa_next_free_sgpr 0
		.amdhsa_accum_offset 4
		.amdhsa_reserve_vcc 0
		.amdhsa_reserve_flat_scratch 0
		.amdhsa_float_round_mode_32 0
		.amdhsa_float_round_mode_16_64 0
		.amdhsa_float_denorm_mode_32 3
		.amdhsa_float_denorm_mode_16_64 3
		.amdhsa_dx10_clamp 1
		.amdhsa_ieee_mode 1
		.amdhsa_fp16_overflow 0
		.amdhsa_tg_split 0
		.amdhsa_exception_fp_ieee_invalid_op 0
		.amdhsa_exception_fp_denorm_src 0
		.amdhsa_exception_fp_ieee_div_zero 0
		.amdhsa_exception_fp_ieee_overflow 0
		.amdhsa_exception_fp_ieee_underflow 0
		.amdhsa_exception_fp_ieee_inexact 0
		.amdhsa_exception_int_div_zero 0
	.end_amdhsa_kernel
	.section	.text._ZN7rocprim17ROCPRIM_400000_NS6detail17trampoline_kernelINS0_14default_configENS1_27lower_bound_config_selectorIjiEEZNS1_14transform_implILb0ES3_S5_N6thrust23THRUST_200600_302600_NS6detail15normal_iteratorINS8_10device_ptrIjEEEENSA_INSB_IiEEEEZNS1_13binary_searchIS3_S5_SD_SD_SF_NS1_21lower_bound_search_opENS9_16wrapped_functionINS0_4lessIvEEbEEEE10hipError_tPvRmT1_T2_T3_mmT4_T5_P12ihipStream_tbEUlRKjE_EESM_SQ_SR_mSS_SV_bEUlT_E_NS1_11comp_targetILNS1_3genE2ELNS1_11target_archE906ELNS1_3gpuE6ELNS1_3repE0EEENS1_30default_config_static_selectorELNS0_4arch9wavefront6targetE1EEEvSP_,"axG",@progbits,_ZN7rocprim17ROCPRIM_400000_NS6detail17trampoline_kernelINS0_14default_configENS1_27lower_bound_config_selectorIjiEEZNS1_14transform_implILb0ES3_S5_N6thrust23THRUST_200600_302600_NS6detail15normal_iteratorINS8_10device_ptrIjEEEENSA_INSB_IiEEEEZNS1_13binary_searchIS3_S5_SD_SD_SF_NS1_21lower_bound_search_opENS9_16wrapped_functionINS0_4lessIvEEbEEEE10hipError_tPvRmT1_T2_T3_mmT4_T5_P12ihipStream_tbEUlRKjE_EESM_SQ_SR_mSS_SV_bEUlT_E_NS1_11comp_targetILNS1_3genE2ELNS1_11target_archE906ELNS1_3gpuE6ELNS1_3repE0EEENS1_30default_config_static_selectorELNS0_4arch9wavefront6targetE1EEEvSP_,comdat
.Lfunc_end285:
	.size	_ZN7rocprim17ROCPRIM_400000_NS6detail17trampoline_kernelINS0_14default_configENS1_27lower_bound_config_selectorIjiEEZNS1_14transform_implILb0ES3_S5_N6thrust23THRUST_200600_302600_NS6detail15normal_iteratorINS8_10device_ptrIjEEEENSA_INSB_IiEEEEZNS1_13binary_searchIS3_S5_SD_SD_SF_NS1_21lower_bound_search_opENS9_16wrapped_functionINS0_4lessIvEEbEEEE10hipError_tPvRmT1_T2_T3_mmT4_T5_P12ihipStream_tbEUlRKjE_EESM_SQ_SR_mSS_SV_bEUlT_E_NS1_11comp_targetILNS1_3genE2ELNS1_11target_archE906ELNS1_3gpuE6ELNS1_3repE0EEENS1_30default_config_static_selectorELNS0_4arch9wavefront6targetE1EEEvSP_, .Lfunc_end285-_ZN7rocprim17ROCPRIM_400000_NS6detail17trampoline_kernelINS0_14default_configENS1_27lower_bound_config_selectorIjiEEZNS1_14transform_implILb0ES3_S5_N6thrust23THRUST_200600_302600_NS6detail15normal_iteratorINS8_10device_ptrIjEEEENSA_INSB_IiEEEEZNS1_13binary_searchIS3_S5_SD_SD_SF_NS1_21lower_bound_search_opENS9_16wrapped_functionINS0_4lessIvEEbEEEE10hipError_tPvRmT1_T2_T3_mmT4_T5_P12ihipStream_tbEUlRKjE_EESM_SQ_SR_mSS_SV_bEUlT_E_NS1_11comp_targetILNS1_3genE2ELNS1_11target_archE906ELNS1_3gpuE6ELNS1_3repE0EEENS1_30default_config_static_selectorELNS0_4arch9wavefront6targetE1EEEvSP_
                                        ; -- End function
	.section	.AMDGPU.csdata,"",@progbits
; Kernel info:
; codeLenInByte = 0
; NumSgprs: 4
; NumVgprs: 0
; NumAgprs: 0
; TotalNumVgprs: 0
; ScratchSize: 0
; MemoryBound: 0
; FloatMode: 240
; IeeeMode: 1
; LDSByteSize: 0 bytes/workgroup (compile time only)
; SGPRBlocks: 0
; VGPRBlocks: 0
; NumSGPRsForWavesPerEU: 4
; NumVGPRsForWavesPerEU: 1
; AccumOffset: 4
; Occupancy: 8
; WaveLimiterHint : 0
; COMPUTE_PGM_RSRC2:SCRATCH_EN: 0
; COMPUTE_PGM_RSRC2:USER_SGPR: 6
; COMPUTE_PGM_RSRC2:TRAP_HANDLER: 0
; COMPUTE_PGM_RSRC2:TGID_X_EN: 1
; COMPUTE_PGM_RSRC2:TGID_Y_EN: 0
; COMPUTE_PGM_RSRC2:TGID_Z_EN: 0
; COMPUTE_PGM_RSRC2:TIDIG_COMP_CNT: 0
; COMPUTE_PGM_RSRC3_GFX90A:ACCUM_OFFSET: 0
; COMPUTE_PGM_RSRC3_GFX90A:TG_SPLIT: 0
	.section	.text._ZN7rocprim17ROCPRIM_400000_NS6detail17trampoline_kernelINS0_14default_configENS1_27lower_bound_config_selectorIjiEEZNS1_14transform_implILb0ES3_S5_N6thrust23THRUST_200600_302600_NS6detail15normal_iteratorINS8_10device_ptrIjEEEENSA_INSB_IiEEEEZNS1_13binary_searchIS3_S5_SD_SD_SF_NS1_21lower_bound_search_opENS9_16wrapped_functionINS0_4lessIvEEbEEEE10hipError_tPvRmT1_T2_T3_mmT4_T5_P12ihipStream_tbEUlRKjE_EESM_SQ_SR_mSS_SV_bEUlT_E_NS1_11comp_targetILNS1_3genE10ELNS1_11target_archE1201ELNS1_3gpuE5ELNS1_3repE0EEENS1_30default_config_static_selectorELNS0_4arch9wavefront6targetE1EEEvSP_,"axG",@progbits,_ZN7rocprim17ROCPRIM_400000_NS6detail17trampoline_kernelINS0_14default_configENS1_27lower_bound_config_selectorIjiEEZNS1_14transform_implILb0ES3_S5_N6thrust23THRUST_200600_302600_NS6detail15normal_iteratorINS8_10device_ptrIjEEEENSA_INSB_IiEEEEZNS1_13binary_searchIS3_S5_SD_SD_SF_NS1_21lower_bound_search_opENS9_16wrapped_functionINS0_4lessIvEEbEEEE10hipError_tPvRmT1_T2_T3_mmT4_T5_P12ihipStream_tbEUlRKjE_EESM_SQ_SR_mSS_SV_bEUlT_E_NS1_11comp_targetILNS1_3genE10ELNS1_11target_archE1201ELNS1_3gpuE5ELNS1_3repE0EEENS1_30default_config_static_selectorELNS0_4arch9wavefront6targetE1EEEvSP_,comdat
	.protected	_ZN7rocprim17ROCPRIM_400000_NS6detail17trampoline_kernelINS0_14default_configENS1_27lower_bound_config_selectorIjiEEZNS1_14transform_implILb0ES3_S5_N6thrust23THRUST_200600_302600_NS6detail15normal_iteratorINS8_10device_ptrIjEEEENSA_INSB_IiEEEEZNS1_13binary_searchIS3_S5_SD_SD_SF_NS1_21lower_bound_search_opENS9_16wrapped_functionINS0_4lessIvEEbEEEE10hipError_tPvRmT1_T2_T3_mmT4_T5_P12ihipStream_tbEUlRKjE_EESM_SQ_SR_mSS_SV_bEUlT_E_NS1_11comp_targetILNS1_3genE10ELNS1_11target_archE1201ELNS1_3gpuE5ELNS1_3repE0EEENS1_30default_config_static_selectorELNS0_4arch9wavefront6targetE1EEEvSP_ ; -- Begin function _ZN7rocprim17ROCPRIM_400000_NS6detail17trampoline_kernelINS0_14default_configENS1_27lower_bound_config_selectorIjiEEZNS1_14transform_implILb0ES3_S5_N6thrust23THRUST_200600_302600_NS6detail15normal_iteratorINS8_10device_ptrIjEEEENSA_INSB_IiEEEEZNS1_13binary_searchIS3_S5_SD_SD_SF_NS1_21lower_bound_search_opENS9_16wrapped_functionINS0_4lessIvEEbEEEE10hipError_tPvRmT1_T2_T3_mmT4_T5_P12ihipStream_tbEUlRKjE_EESM_SQ_SR_mSS_SV_bEUlT_E_NS1_11comp_targetILNS1_3genE10ELNS1_11target_archE1201ELNS1_3gpuE5ELNS1_3repE0EEENS1_30default_config_static_selectorELNS0_4arch9wavefront6targetE1EEEvSP_
	.globl	_ZN7rocprim17ROCPRIM_400000_NS6detail17trampoline_kernelINS0_14default_configENS1_27lower_bound_config_selectorIjiEEZNS1_14transform_implILb0ES3_S5_N6thrust23THRUST_200600_302600_NS6detail15normal_iteratorINS8_10device_ptrIjEEEENSA_INSB_IiEEEEZNS1_13binary_searchIS3_S5_SD_SD_SF_NS1_21lower_bound_search_opENS9_16wrapped_functionINS0_4lessIvEEbEEEE10hipError_tPvRmT1_T2_T3_mmT4_T5_P12ihipStream_tbEUlRKjE_EESM_SQ_SR_mSS_SV_bEUlT_E_NS1_11comp_targetILNS1_3genE10ELNS1_11target_archE1201ELNS1_3gpuE5ELNS1_3repE0EEENS1_30default_config_static_selectorELNS0_4arch9wavefront6targetE1EEEvSP_
	.p2align	8
	.type	_ZN7rocprim17ROCPRIM_400000_NS6detail17trampoline_kernelINS0_14default_configENS1_27lower_bound_config_selectorIjiEEZNS1_14transform_implILb0ES3_S5_N6thrust23THRUST_200600_302600_NS6detail15normal_iteratorINS8_10device_ptrIjEEEENSA_INSB_IiEEEEZNS1_13binary_searchIS3_S5_SD_SD_SF_NS1_21lower_bound_search_opENS9_16wrapped_functionINS0_4lessIvEEbEEEE10hipError_tPvRmT1_T2_T3_mmT4_T5_P12ihipStream_tbEUlRKjE_EESM_SQ_SR_mSS_SV_bEUlT_E_NS1_11comp_targetILNS1_3genE10ELNS1_11target_archE1201ELNS1_3gpuE5ELNS1_3repE0EEENS1_30default_config_static_selectorELNS0_4arch9wavefront6targetE1EEEvSP_,@function
_ZN7rocprim17ROCPRIM_400000_NS6detail17trampoline_kernelINS0_14default_configENS1_27lower_bound_config_selectorIjiEEZNS1_14transform_implILb0ES3_S5_N6thrust23THRUST_200600_302600_NS6detail15normal_iteratorINS8_10device_ptrIjEEEENSA_INSB_IiEEEEZNS1_13binary_searchIS3_S5_SD_SD_SF_NS1_21lower_bound_search_opENS9_16wrapped_functionINS0_4lessIvEEbEEEE10hipError_tPvRmT1_T2_T3_mmT4_T5_P12ihipStream_tbEUlRKjE_EESM_SQ_SR_mSS_SV_bEUlT_E_NS1_11comp_targetILNS1_3genE10ELNS1_11target_archE1201ELNS1_3gpuE5ELNS1_3repE0EEENS1_30default_config_static_selectorELNS0_4arch9wavefront6targetE1EEEvSP_: ; @_ZN7rocprim17ROCPRIM_400000_NS6detail17trampoline_kernelINS0_14default_configENS1_27lower_bound_config_selectorIjiEEZNS1_14transform_implILb0ES3_S5_N6thrust23THRUST_200600_302600_NS6detail15normal_iteratorINS8_10device_ptrIjEEEENSA_INSB_IiEEEEZNS1_13binary_searchIS3_S5_SD_SD_SF_NS1_21lower_bound_search_opENS9_16wrapped_functionINS0_4lessIvEEbEEEE10hipError_tPvRmT1_T2_T3_mmT4_T5_P12ihipStream_tbEUlRKjE_EESM_SQ_SR_mSS_SV_bEUlT_E_NS1_11comp_targetILNS1_3genE10ELNS1_11target_archE1201ELNS1_3gpuE5ELNS1_3repE0EEENS1_30default_config_static_selectorELNS0_4arch9wavefront6targetE1EEEvSP_
; %bb.0:
	.section	.rodata,"a",@progbits
	.p2align	6, 0x0
	.amdhsa_kernel _ZN7rocprim17ROCPRIM_400000_NS6detail17trampoline_kernelINS0_14default_configENS1_27lower_bound_config_selectorIjiEEZNS1_14transform_implILb0ES3_S5_N6thrust23THRUST_200600_302600_NS6detail15normal_iteratorINS8_10device_ptrIjEEEENSA_INSB_IiEEEEZNS1_13binary_searchIS3_S5_SD_SD_SF_NS1_21lower_bound_search_opENS9_16wrapped_functionINS0_4lessIvEEbEEEE10hipError_tPvRmT1_T2_T3_mmT4_T5_P12ihipStream_tbEUlRKjE_EESM_SQ_SR_mSS_SV_bEUlT_E_NS1_11comp_targetILNS1_3genE10ELNS1_11target_archE1201ELNS1_3gpuE5ELNS1_3repE0EEENS1_30default_config_static_selectorELNS0_4arch9wavefront6targetE1EEEvSP_
		.amdhsa_group_segment_fixed_size 0
		.amdhsa_private_segment_fixed_size 0
		.amdhsa_kernarg_size 56
		.amdhsa_user_sgpr_count 6
		.amdhsa_user_sgpr_private_segment_buffer 1
		.amdhsa_user_sgpr_dispatch_ptr 0
		.amdhsa_user_sgpr_queue_ptr 0
		.amdhsa_user_sgpr_kernarg_segment_ptr 1
		.amdhsa_user_sgpr_dispatch_id 0
		.amdhsa_user_sgpr_flat_scratch_init 0
		.amdhsa_user_sgpr_kernarg_preload_length 0
		.amdhsa_user_sgpr_kernarg_preload_offset 0
		.amdhsa_user_sgpr_private_segment_size 0
		.amdhsa_uses_dynamic_stack 0
		.amdhsa_system_sgpr_private_segment_wavefront_offset 0
		.amdhsa_system_sgpr_workgroup_id_x 1
		.amdhsa_system_sgpr_workgroup_id_y 0
		.amdhsa_system_sgpr_workgroup_id_z 0
		.amdhsa_system_sgpr_workgroup_info 0
		.amdhsa_system_vgpr_workitem_id 0
		.amdhsa_next_free_vgpr 1
		.amdhsa_next_free_sgpr 0
		.amdhsa_accum_offset 4
		.amdhsa_reserve_vcc 0
		.amdhsa_reserve_flat_scratch 0
		.amdhsa_float_round_mode_32 0
		.amdhsa_float_round_mode_16_64 0
		.amdhsa_float_denorm_mode_32 3
		.amdhsa_float_denorm_mode_16_64 3
		.amdhsa_dx10_clamp 1
		.amdhsa_ieee_mode 1
		.amdhsa_fp16_overflow 0
		.amdhsa_tg_split 0
		.amdhsa_exception_fp_ieee_invalid_op 0
		.amdhsa_exception_fp_denorm_src 0
		.amdhsa_exception_fp_ieee_div_zero 0
		.amdhsa_exception_fp_ieee_overflow 0
		.amdhsa_exception_fp_ieee_underflow 0
		.amdhsa_exception_fp_ieee_inexact 0
		.amdhsa_exception_int_div_zero 0
	.end_amdhsa_kernel
	.section	.text._ZN7rocprim17ROCPRIM_400000_NS6detail17trampoline_kernelINS0_14default_configENS1_27lower_bound_config_selectorIjiEEZNS1_14transform_implILb0ES3_S5_N6thrust23THRUST_200600_302600_NS6detail15normal_iteratorINS8_10device_ptrIjEEEENSA_INSB_IiEEEEZNS1_13binary_searchIS3_S5_SD_SD_SF_NS1_21lower_bound_search_opENS9_16wrapped_functionINS0_4lessIvEEbEEEE10hipError_tPvRmT1_T2_T3_mmT4_T5_P12ihipStream_tbEUlRKjE_EESM_SQ_SR_mSS_SV_bEUlT_E_NS1_11comp_targetILNS1_3genE10ELNS1_11target_archE1201ELNS1_3gpuE5ELNS1_3repE0EEENS1_30default_config_static_selectorELNS0_4arch9wavefront6targetE1EEEvSP_,"axG",@progbits,_ZN7rocprim17ROCPRIM_400000_NS6detail17trampoline_kernelINS0_14default_configENS1_27lower_bound_config_selectorIjiEEZNS1_14transform_implILb0ES3_S5_N6thrust23THRUST_200600_302600_NS6detail15normal_iteratorINS8_10device_ptrIjEEEENSA_INSB_IiEEEEZNS1_13binary_searchIS3_S5_SD_SD_SF_NS1_21lower_bound_search_opENS9_16wrapped_functionINS0_4lessIvEEbEEEE10hipError_tPvRmT1_T2_T3_mmT4_T5_P12ihipStream_tbEUlRKjE_EESM_SQ_SR_mSS_SV_bEUlT_E_NS1_11comp_targetILNS1_3genE10ELNS1_11target_archE1201ELNS1_3gpuE5ELNS1_3repE0EEENS1_30default_config_static_selectorELNS0_4arch9wavefront6targetE1EEEvSP_,comdat
.Lfunc_end286:
	.size	_ZN7rocprim17ROCPRIM_400000_NS6detail17trampoline_kernelINS0_14default_configENS1_27lower_bound_config_selectorIjiEEZNS1_14transform_implILb0ES3_S5_N6thrust23THRUST_200600_302600_NS6detail15normal_iteratorINS8_10device_ptrIjEEEENSA_INSB_IiEEEEZNS1_13binary_searchIS3_S5_SD_SD_SF_NS1_21lower_bound_search_opENS9_16wrapped_functionINS0_4lessIvEEbEEEE10hipError_tPvRmT1_T2_T3_mmT4_T5_P12ihipStream_tbEUlRKjE_EESM_SQ_SR_mSS_SV_bEUlT_E_NS1_11comp_targetILNS1_3genE10ELNS1_11target_archE1201ELNS1_3gpuE5ELNS1_3repE0EEENS1_30default_config_static_selectorELNS0_4arch9wavefront6targetE1EEEvSP_, .Lfunc_end286-_ZN7rocprim17ROCPRIM_400000_NS6detail17trampoline_kernelINS0_14default_configENS1_27lower_bound_config_selectorIjiEEZNS1_14transform_implILb0ES3_S5_N6thrust23THRUST_200600_302600_NS6detail15normal_iteratorINS8_10device_ptrIjEEEENSA_INSB_IiEEEEZNS1_13binary_searchIS3_S5_SD_SD_SF_NS1_21lower_bound_search_opENS9_16wrapped_functionINS0_4lessIvEEbEEEE10hipError_tPvRmT1_T2_T3_mmT4_T5_P12ihipStream_tbEUlRKjE_EESM_SQ_SR_mSS_SV_bEUlT_E_NS1_11comp_targetILNS1_3genE10ELNS1_11target_archE1201ELNS1_3gpuE5ELNS1_3repE0EEENS1_30default_config_static_selectorELNS0_4arch9wavefront6targetE1EEEvSP_
                                        ; -- End function
	.section	.AMDGPU.csdata,"",@progbits
; Kernel info:
; codeLenInByte = 0
; NumSgprs: 4
; NumVgprs: 0
; NumAgprs: 0
; TotalNumVgprs: 0
; ScratchSize: 0
; MemoryBound: 0
; FloatMode: 240
; IeeeMode: 1
; LDSByteSize: 0 bytes/workgroup (compile time only)
; SGPRBlocks: 0
; VGPRBlocks: 0
; NumSGPRsForWavesPerEU: 4
; NumVGPRsForWavesPerEU: 1
; AccumOffset: 4
; Occupancy: 8
; WaveLimiterHint : 0
; COMPUTE_PGM_RSRC2:SCRATCH_EN: 0
; COMPUTE_PGM_RSRC2:USER_SGPR: 6
; COMPUTE_PGM_RSRC2:TRAP_HANDLER: 0
; COMPUTE_PGM_RSRC2:TGID_X_EN: 1
; COMPUTE_PGM_RSRC2:TGID_Y_EN: 0
; COMPUTE_PGM_RSRC2:TGID_Z_EN: 0
; COMPUTE_PGM_RSRC2:TIDIG_COMP_CNT: 0
; COMPUTE_PGM_RSRC3_GFX90A:ACCUM_OFFSET: 0
; COMPUTE_PGM_RSRC3_GFX90A:TG_SPLIT: 0
	.section	.text._ZN7rocprim17ROCPRIM_400000_NS6detail17trampoline_kernelINS0_14default_configENS1_27lower_bound_config_selectorIjiEEZNS1_14transform_implILb0ES3_S5_N6thrust23THRUST_200600_302600_NS6detail15normal_iteratorINS8_10device_ptrIjEEEENSA_INSB_IiEEEEZNS1_13binary_searchIS3_S5_SD_SD_SF_NS1_21lower_bound_search_opENS9_16wrapped_functionINS0_4lessIvEEbEEEE10hipError_tPvRmT1_T2_T3_mmT4_T5_P12ihipStream_tbEUlRKjE_EESM_SQ_SR_mSS_SV_bEUlT_E_NS1_11comp_targetILNS1_3genE10ELNS1_11target_archE1200ELNS1_3gpuE4ELNS1_3repE0EEENS1_30default_config_static_selectorELNS0_4arch9wavefront6targetE1EEEvSP_,"axG",@progbits,_ZN7rocprim17ROCPRIM_400000_NS6detail17trampoline_kernelINS0_14default_configENS1_27lower_bound_config_selectorIjiEEZNS1_14transform_implILb0ES3_S5_N6thrust23THRUST_200600_302600_NS6detail15normal_iteratorINS8_10device_ptrIjEEEENSA_INSB_IiEEEEZNS1_13binary_searchIS3_S5_SD_SD_SF_NS1_21lower_bound_search_opENS9_16wrapped_functionINS0_4lessIvEEbEEEE10hipError_tPvRmT1_T2_T3_mmT4_T5_P12ihipStream_tbEUlRKjE_EESM_SQ_SR_mSS_SV_bEUlT_E_NS1_11comp_targetILNS1_3genE10ELNS1_11target_archE1200ELNS1_3gpuE4ELNS1_3repE0EEENS1_30default_config_static_selectorELNS0_4arch9wavefront6targetE1EEEvSP_,comdat
	.protected	_ZN7rocprim17ROCPRIM_400000_NS6detail17trampoline_kernelINS0_14default_configENS1_27lower_bound_config_selectorIjiEEZNS1_14transform_implILb0ES3_S5_N6thrust23THRUST_200600_302600_NS6detail15normal_iteratorINS8_10device_ptrIjEEEENSA_INSB_IiEEEEZNS1_13binary_searchIS3_S5_SD_SD_SF_NS1_21lower_bound_search_opENS9_16wrapped_functionINS0_4lessIvEEbEEEE10hipError_tPvRmT1_T2_T3_mmT4_T5_P12ihipStream_tbEUlRKjE_EESM_SQ_SR_mSS_SV_bEUlT_E_NS1_11comp_targetILNS1_3genE10ELNS1_11target_archE1200ELNS1_3gpuE4ELNS1_3repE0EEENS1_30default_config_static_selectorELNS0_4arch9wavefront6targetE1EEEvSP_ ; -- Begin function _ZN7rocprim17ROCPRIM_400000_NS6detail17trampoline_kernelINS0_14default_configENS1_27lower_bound_config_selectorIjiEEZNS1_14transform_implILb0ES3_S5_N6thrust23THRUST_200600_302600_NS6detail15normal_iteratorINS8_10device_ptrIjEEEENSA_INSB_IiEEEEZNS1_13binary_searchIS3_S5_SD_SD_SF_NS1_21lower_bound_search_opENS9_16wrapped_functionINS0_4lessIvEEbEEEE10hipError_tPvRmT1_T2_T3_mmT4_T5_P12ihipStream_tbEUlRKjE_EESM_SQ_SR_mSS_SV_bEUlT_E_NS1_11comp_targetILNS1_3genE10ELNS1_11target_archE1200ELNS1_3gpuE4ELNS1_3repE0EEENS1_30default_config_static_selectorELNS0_4arch9wavefront6targetE1EEEvSP_
	.globl	_ZN7rocprim17ROCPRIM_400000_NS6detail17trampoline_kernelINS0_14default_configENS1_27lower_bound_config_selectorIjiEEZNS1_14transform_implILb0ES3_S5_N6thrust23THRUST_200600_302600_NS6detail15normal_iteratorINS8_10device_ptrIjEEEENSA_INSB_IiEEEEZNS1_13binary_searchIS3_S5_SD_SD_SF_NS1_21lower_bound_search_opENS9_16wrapped_functionINS0_4lessIvEEbEEEE10hipError_tPvRmT1_T2_T3_mmT4_T5_P12ihipStream_tbEUlRKjE_EESM_SQ_SR_mSS_SV_bEUlT_E_NS1_11comp_targetILNS1_3genE10ELNS1_11target_archE1200ELNS1_3gpuE4ELNS1_3repE0EEENS1_30default_config_static_selectorELNS0_4arch9wavefront6targetE1EEEvSP_
	.p2align	8
	.type	_ZN7rocprim17ROCPRIM_400000_NS6detail17trampoline_kernelINS0_14default_configENS1_27lower_bound_config_selectorIjiEEZNS1_14transform_implILb0ES3_S5_N6thrust23THRUST_200600_302600_NS6detail15normal_iteratorINS8_10device_ptrIjEEEENSA_INSB_IiEEEEZNS1_13binary_searchIS3_S5_SD_SD_SF_NS1_21lower_bound_search_opENS9_16wrapped_functionINS0_4lessIvEEbEEEE10hipError_tPvRmT1_T2_T3_mmT4_T5_P12ihipStream_tbEUlRKjE_EESM_SQ_SR_mSS_SV_bEUlT_E_NS1_11comp_targetILNS1_3genE10ELNS1_11target_archE1200ELNS1_3gpuE4ELNS1_3repE0EEENS1_30default_config_static_selectorELNS0_4arch9wavefront6targetE1EEEvSP_,@function
_ZN7rocprim17ROCPRIM_400000_NS6detail17trampoline_kernelINS0_14default_configENS1_27lower_bound_config_selectorIjiEEZNS1_14transform_implILb0ES3_S5_N6thrust23THRUST_200600_302600_NS6detail15normal_iteratorINS8_10device_ptrIjEEEENSA_INSB_IiEEEEZNS1_13binary_searchIS3_S5_SD_SD_SF_NS1_21lower_bound_search_opENS9_16wrapped_functionINS0_4lessIvEEbEEEE10hipError_tPvRmT1_T2_T3_mmT4_T5_P12ihipStream_tbEUlRKjE_EESM_SQ_SR_mSS_SV_bEUlT_E_NS1_11comp_targetILNS1_3genE10ELNS1_11target_archE1200ELNS1_3gpuE4ELNS1_3repE0EEENS1_30default_config_static_selectorELNS0_4arch9wavefront6targetE1EEEvSP_: ; @_ZN7rocprim17ROCPRIM_400000_NS6detail17trampoline_kernelINS0_14default_configENS1_27lower_bound_config_selectorIjiEEZNS1_14transform_implILb0ES3_S5_N6thrust23THRUST_200600_302600_NS6detail15normal_iteratorINS8_10device_ptrIjEEEENSA_INSB_IiEEEEZNS1_13binary_searchIS3_S5_SD_SD_SF_NS1_21lower_bound_search_opENS9_16wrapped_functionINS0_4lessIvEEbEEEE10hipError_tPvRmT1_T2_T3_mmT4_T5_P12ihipStream_tbEUlRKjE_EESM_SQ_SR_mSS_SV_bEUlT_E_NS1_11comp_targetILNS1_3genE10ELNS1_11target_archE1200ELNS1_3gpuE4ELNS1_3repE0EEENS1_30default_config_static_selectorELNS0_4arch9wavefront6targetE1EEEvSP_
; %bb.0:
	.section	.rodata,"a",@progbits
	.p2align	6, 0x0
	.amdhsa_kernel _ZN7rocprim17ROCPRIM_400000_NS6detail17trampoline_kernelINS0_14default_configENS1_27lower_bound_config_selectorIjiEEZNS1_14transform_implILb0ES3_S5_N6thrust23THRUST_200600_302600_NS6detail15normal_iteratorINS8_10device_ptrIjEEEENSA_INSB_IiEEEEZNS1_13binary_searchIS3_S5_SD_SD_SF_NS1_21lower_bound_search_opENS9_16wrapped_functionINS0_4lessIvEEbEEEE10hipError_tPvRmT1_T2_T3_mmT4_T5_P12ihipStream_tbEUlRKjE_EESM_SQ_SR_mSS_SV_bEUlT_E_NS1_11comp_targetILNS1_3genE10ELNS1_11target_archE1200ELNS1_3gpuE4ELNS1_3repE0EEENS1_30default_config_static_selectorELNS0_4arch9wavefront6targetE1EEEvSP_
		.amdhsa_group_segment_fixed_size 0
		.amdhsa_private_segment_fixed_size 0
		.amdhsa_kernarg_size 56
		.amdhsa_user_sgpr_count 6
		.amdhsa_user_sgpr_private_segment_buffer 1
		.amdhsa_user_sgpr_dispatch_ptr 0
		.amdhsa_user_sgpr_queue_ptr 0
		.amdhsa_user_sgpr_kernarg_segment_ptr 1
		.amdhsa_user_sgpr_dispatch_id 0
		.amdhsa_user_sgpr_flat_scratch_init 0
		.amdhsa_user_sgpr_kernarg_preload_length 0
		.amdhsa_user_sgpr_kernarg_preload_offset 0
		.amdhsa_user_sgpr_private_segment_size 0
		.amdhsa_uses_dynamic_stack 0
		.amdhsa_system_sgpr_private_segment_wavefront_offset 0
		.amdhsa_system_sgpr_workgroup_id_x 1
		.amdhsa_system_sgpr_workgroup_id_y 0
		.amdhsa_system_sgpr_workgroup_id_z 0
		.amdhsa_system_sgpr_workgroup_info 0
		.amdhsa_system_vgpr_workitem_id 0
		.amdhsa_next_free_vgpr 1
		.amdhsa_next_free_sgpr 0
		.amdhsa_accum_offset 4
		.amdhsa_reserve_vcc 0
		.amdhsa_reserve_flat_scratch 0
		.amdhsa_float_round_mode_32 0
		.amdhsa_float_round_mode_16_64 0
		.amdhsa_float_denorm_mode_32 3
		.amdhsa_float_denorm_mode_16_64 3
		.amdhsa_dx10_clamp 1
		.amdhsa_ieee_mode 1
		.amdhsa_fp16_overflow 0
		.amdhsa_tg_split 0
		.amdhsa_exception_fp_ieee_invalid_op 0
		.amdhsa_exception_fp_denorm_src 0
		.amdhsa_exception_fp_ieee_div_zero 0
		.amdhsa_exception_fp_ieee_overflow 0
		.amdhsa_exception_fp_ieee_underflow 0
		.amdhsa_exception_fp_ieee_inexact 0
		.amdhsa_exception_int_div_zero 0
	.end_amdhsa_kernel
	.section	.text._ZN7rocprim17ROCPRIM_400000_NS6detail17trampoline_kernelINS0_14default_configENS1_27lower_bound_config_selectorIjiEEZNS1_14transform_implILb0ES3_S5_N6thrust23THRUST_200600_302600_NS6detail15normal_iteratorINS8_10device_ptrIjEEEENSA_INSB_IiEEEEZNS1_13binary_searchIS3_S5_SD_SD_SF_NS1_21lower_bound_search_opENS9_16wrapped_functionINS0_4lessIvEEbEEEE10hipError_tPvRmT1_T2_T3_mmT4_T5_P12ihipStream_tbEUlRKjE_EESM_SQ_SR_mSS_SV_bEUlT_E_NS1_11comp_targetILNS1_3genE10ELNS1_11target_archE1200ELNS1_3gpuE4ELNS1_3repE0EEENS1_30default_config_static_selectorELNS0_4arch9wavefront6targetE1EEEvSP_,"axG",@progbits,_ZN7rocprim17ROCPRIM_400000_NS6detail17trampoline_kernelINS0_14default_configENS1_27lower_bound_config_selectorIjiEEZNS1_14transform_implILb0ES3_S5_N6thrust23THRUST_200600_302600_NS6detail15normal_iteratorINS8_10device_ptrIjEEEENSA_INSB_IiEEEEZNS1_13binary_searchIS3_S5_SD_SD_SF_NS1_21lower_bound_search_opENS9_16wrapped_functionINS0_4lessIvEEbEEEE10hipError_tPvRmT1_T2_T3_mmT4_T5_P12ihipStream_tbEUlRKjE_EESM_SQ_SR_mSS_SV_bEUlT_E_NS1_11comp_targetILNS1_3genE10ELNS1_11target_archE1200ELNS1_3gpuE4ELNS1_3repE0EEENS1_30default_config_static_selectorELNS0_4arch9wavefront6targetE1EEEvSP_,comdat
.Lfunc_end287:
	.size	_ZN7rocprim17ROCPRIM_400000_NS6detail17trampoline_kernelINS0_14default_configENS1_27lower_bound_config_selectorIjiEEZNS1_14transform_implILb0ES3_S5_N6thrust23THRUST_200600_302600_NS6detail15normal_iteratorINS8_10device_ptrIjEEEENSA_INSB_IiEEEEZNS1_13binary_searchIS3_S5_SD_SD_SF_NS1_21lower_bound_search_opENS9_16wrapped_functionINS0_4lessIvEEbEEEE10hipError_tPvRmT1_T2_T3_mmT4_T5_P12ihipStream_tbEUlRKjE_EESM_SQ_SR_mSS_SV_bEUlT_E_NS1_11comp_targetILNS1_3genE10ELNS1_11target_archE1200ELNS1_3gpuE4ELNS1_3repE0EEENS1_30default_config_static_selectorELNS0_4arch9wavefront6targetE1EEEvSP_, .Lfunc_end287-_ZN7rocprim17ROCPRIM_400000_NS6detail17trampoline_kernelINS0_14default_configENS1_27lower_bound_config_selectorIjiEEZNS1_14transform_implILb0ES3_S5_N6thrust23THRUST_200600_302600_NS6detail15normal_iteratorINS8_10device_ptrIjEEEENSA_INSB_IiEEEEZNS1_13binary_searchIS3_S5_SD_SD_SF_NS1_21lower_bound_search_opENS9_16wrapped_functionINS0_4lessIvEEbEEEE10hipError_tPvRmT1_T2_T3_mmT4_T5_P12ihipStream_tbEUlRKjE_EESM_SQ_SR_mSS_SV_bEUlT_E_NS1_11comp_targetILNS1_3genE10ELNS1_11target_archE1200ELNS1_3gpuE4ELNS1_3repE0EEENS1_30default_config_static_selectorELNS0_4arch9wavefront6targetE1EEEvSP_
                                        ; -- End function
	.section	.AMDGPU.csdata,"",@progbits
; Kernel info:
; codeLenInByte = 0
; NumSgprs: 4
; NumVgprs: 0
; NumAgprs: 0
; TotalNumVgprs: 0
; ScratchSize: 0
; MemoryBound: 0
; FloatMode: 240
; IeeeMode: 1
; LDSByteSize: 0 bytes/workgroup (compile time only)
; SGPRBlocks: 0
; VGPRBlocks: 0
; NumSGPRsForWavesPerEU: 4
; NumVGPRsForWavesPerEU: 1
; AccumOffset: 4
; Occupancy: 8
; WaveLimiterHint : 0
; COMPUTE_PGM_RSRC2:SCRATCH_EN: 0
; COMPUTE_PGM_RSRC2:USER_SGPR: 6
; COMPUTE_PGM_RSRC2:TRAP_HANDLER: 0
; COMPUTE_PGM_RSRC2:TGID_X_EN: 1
; COMPUTE_PGM_RSRC2:TGID_Y_EN: 0
; COMPUTE_PGM_RSRC2:TGID_Z_EN: 0
; COMPUTE_PGM_RSRC2:TIDIG_COMP_CNT: 0
; COMPUTE_PGM_RSRC3_GFX90A:ACCUM_OFFSET: 0
; COMPUTE_PGM_RSRC3_GFX90A:TG_SPLIT: 0
	.section	.text._ZN7rocprim17ROCPRIM_400000_NS6detail17trampoline_kernelINS0_14default_configENS1_27lower_bound_config_selectorIjiEEZNS1_14transform_implILb0ES3_S5_N6thrust23THRUST_200600_302600_NS6detail15normal_iteratorINS8_10device_ptrIjEEEENSA_INSB_IiEEEEZNS1_13binary_searchIS3_S5_SD_SD_SF_NS1_21lower_bound_search_opENS9_16wrapped_functionINS0_4lessIvEEbEEEE10hipError_tPvRmT1_T2_T3_mmT4_T5_P12ihipStream_tbEUlRKjE_EESM_SQ_SR_mSS_SV_bEUlT_E_NS1_11comp_targetILNS1_3genE9ELNS1_11target_archE1100ELNS1_3gpuE3ELNS1_3repE0EEENS1_30default_config_static_selectorELNS0_4arch9wavefront6targetE1EEEvSP_,"axG",@progbits,_ZN7rocprim17ROCPRIM_400000_NS6detail17trampoline_kernelINS0_14default_configENS1_27lower_bound_config_selectorIjiEEZNS1_14transform_implILb0ES3_S5_N6thrust23THRUST_200600_302600_NS6detail15normal_iteratorINS8_10device_ptrIjEEEENSA_INSB_IiEEEEZNS1_13binary_searchIS3_S5_SD_SD_SF_NS1_21lower_bound_search_opENS9_16wrapped_functionINS0_4lessIvEEbEEEE10hipError_tPvRmT1_T2_T3_mmT4_T5_P12ihipStream_tbEUlRKjE_EESM_SQ_SR_mSS_SV_bEUlT_E_NS1_11comp_targetILNS1_3genE9ELNS1_11target_archE1100ELNS1_3gpuE3ELNS1_3repE0EEENS1_30default_config_static_selectorELNS0_4arch9wavefront6targetE1EEEvSP_,comdat
	.protected	_ZN7rocprim17ROCPRIM_400000_NS6detail17trampoline_kernelINS0_14default_configENS1_27lower_bound_config_selectorIjiEEZNS1_14transform_implILb0ES3_S5_N6thrust23THRUST_200600_302600_NS6detail15normal_iteratorINS8_10device_ptrIjEEEENSA_INSB_IiEEEEZNS1_13binary_searchIS3_S5_SD_SD_SF_NS1_21lower_bound_search_opENS9_16wrapped_functionINS0_4lessIvEEbEEEE10hipError_tPvRmT1_T2_T3_mmT4_T5_P12ihipStream_tbEUlRKjE_EESM_SQ_SR_mSS_SV_bEUlT_E_NS1_11comp_targetILNS1_3genE9ELNS1_11target_archE1100ELNS1_3gpuE3ELNS1_3repE0EEENS1_30default_config_static_selectorELNS0_4arch9wavefront6targetE1EEEvSP_ ; -- Begin function _ZN7rocprim17ROCPRIM_400000_NS6detail17trampoline_kernelINS0_14default_configENS1_27lower_bound_config_selectorIjiEEZNS1_14transform_implILb0ES3_S5_N6thrust23THRUST_200600_302600_NS6detail15normal_iteratorINS8_10device_ptrIjEEEENSA_INSB_IiEEEEZNS1_13binary_searchIS3_S5_SD_SD_SF_NS1_21lower_bound_search_opENS9_16wrapped_functionINS0_4lessIvEEbEEEE10hipError_tPvRmT1_T2_T3_mmT4_T5_P12ihipStream_tbEUlRKjE_EESM_SQ_SR_mSS_SV_bEUlT_E_NS1_11comp_targetILNS1_3genE9ELNS1_11target_archE1100ELNS1_3gpuE3ELNS1_3repE0EEENS1_30default_config_static_selectorELNS0_4arch9wavefront6targetE1EEEvSP_
	.globl	_ZN7rocprim17ROCPRIM_400000_NS6detail17trampoline_kernelINS0_14default_configENS1_27lower_bound_config_selectorIjiEEZNS1_14transform_implILb0ES3_S5_N6thrust23THRUST_200600_302600_NS6detail15normal_iteratorINS8_10device_ptrIjEEEENSA_INSB_IiEEEEZNS1_13binary_searchIS3_S5_SD_SD_SF_NS1_21lower_bound_search_opENS9_16wrapped_functionINS0_4lessIvEEbEEEE10hipError_tPvRmT1_T2_T3_mmT4_T5_P12ihipStream_tbEUlRKjE_EESM_SQ_SR_mSS_SV_bEUlT_E_NS1_11comp_targetILNS1_3genE9ELNS1_11target_archE1100ELNS1_3gpuE3ELNS1_3repE0EEENS1_30default_config_static_selectorELNS0_4arch9wavefront6targetE1EEEvSP_
	.p2align	8
	.type	_ZN7rocprim17ROCPRIM_400000_NS6detail17trampoline_kernelINS0_14default_configENS1_27lower_bound_config_selectorIjiEEZNS1_14transform_implILb0ES3_S5_N6thrust23THRUST_200600_302600_NS6detail15normal_iteratorINS8_10device_ptrIjEEEENSA_INSB_IiEEEEZNS1_13binary_searchIS3_S5_SD_SD_SF_NS1_21lower_bound_search_opENS9_16wrapped_functionINS0_4lessIvEEbEEEE10hipError_tPvRmT1_T2_T3_mmT4_T5_P12ihipStream_tbEUlRKjE_EESM_SQ_SR_mSS_SV_bEUlT_E_NS1_11comp_targetILNS1_3genE9ELNS1_11target_archE1100ELNS1_3gpuE3ELNS1_3repE0EEENS1_30default_config_static_selectorELNS0_4arch9wavefront6targetE1EEEvSP_,@function
_ZN7rocprim17ROCPRIM_400000_NS6detail17trampoline_kernelINS0_14default_configENS1_27lower_bound_config_selectorIjiEEZNS1_14transform_implILb0ES3_S5_N6thrust23THRUST_200600_302600_NS6detail15normal_iteratorINS8_10device_ptrIjEEEENSA_INSB_IiEEEEZNS1_13binary_searchIS3_S5_SD_SD_SF_NS1_21lower_bound_search_opENS9_16wrapped_functionINS0_4lessIvEEbEEEE10hipError_tPvRmT1_T2_T3_mmT4_T5_P12ihipStream_tbEUlRKjE_EESM_SQ_SR_mSS_SV_bEUlT_E_NS1_11comp_targetILNS1_3genE9ELNS1_11target_archE1100ELNS1_3gpuE3ELNS1_3repE0EEENS1_30default_config_static_selectorELNS0_4arch9wavefront6targetE1EEEvSP_: ; @_ZN7rocprim17ROCPRIM_400000_NS6detail17trampoline_kernelINS0_14default_configENS1_27lower_bound_config_selectorIjiEEZNS1_14transform_implILb0ES3_S5_N6thrust23THRUST_200600_302600_NS6detail15normal_iteratorINS8_10device_ptrIjEEEENSA_INSB_IiEEEEZNS1_13binary_searchIS3_S5_SD_SD_SF_NS1_21lower_bound_search_opENS9_16wrapped_functionINS0_4lessIvEEbEEEE10hipError_tPvRmT1_T2_T3_mmT4_T5_P12ihipStream_tbEUlRKjE_EESM_SQ_SR_mSS_SV_bEUlT_E_NS1_11comp_targetILNS1_3genE9ELNS1_11target_archE1100ELNS1_3gpuE3ELNS1_3repE0EEENS1_30default_config_static_selectorELNS0_4arch9wavefront6targetE1EEEvSP_
; %bb.0:
	.section	.rodata,"a",@progbits
	.p2align	6, 0x0
	.amdhsa_kernel _ZN7rocprim17ROCPRIM_400000_NS6detail17trampoline_kernelINS0_14default_configENS1_27lower_bound_config_selectorIjiEEZNS1_14transform_implILb0ES3_S5_N6thrust23THRUST_200600_302600_NS6detail15normal_iteratorINS8_10device_ptrIjEEEENSA_INSB_IiEEEEZNS1_13binary_searchIS3_S5_SD_SD_SF_NS1_21lower_bound_search_opENS9_16wrapped_functionINS0_4lessIvEEbEEEE10hipError_tPvRmT1_T2_T3_mmT4_T5_P12ihipStream_tbEUlRKjE_EESM_SQ_SR_mSS_SV_bEUlT_E_NS1_11comp_targetILNS1_3genE9ELNS1_11target_archE1100ELNS1_3gpuE3ELNS1_3repE0EEENS1_30default_config_static_selectorELNS0_4arch9wavefront6targetE1EEEvSP_
		.amdhsa_group_segment_fixed_size 0
		.amdhsa_private_segment_fixed_size 0
		.amdhsa_kernarg_size 56
		.amdhsa_user_sgpr_count 6
		.amdhsa_user_sgpr_private_segment_buffer 1
		.amdhsa_user_sgpr_dispatch_ptr 0
		.amdhsa_user_sgpr_queue_ptr 0
		.amdhsa_user_sgpr_kernarg_segment_ptr 1
		.amdhsa_user_sgpr_dispatch_id 0
		.amdhsa_user_sgpr_flat_scratch_init 0
		.amdhsa_user_sgpr_kernarg_preload_length 0
		.amdhsa_user_sgpr_kernarg_preload_offset 0
		.amdhsa_user_sgpr_private_segment_size 0
		.amdhsa_uses_dynamic_stack 0
		.amdhsa_system_sgpr_private_segment_wavefront_offset 0
		.amdhsa_system_sgpr_workgroup_id_x 1
		.amdhsa_system_sgpr_workgroup_id_y 0
		.amdhsa_system_sgpr_workgroup_id_z 0
		.amdhsa_system_sgpr_workgroup_info 0
		.amdhsa_system_vgpr_workitem_id 0
		.amdhsa_next_free_vgpr 1
		.amdhsa_next_free_sgpr 0
		.amdhsa_accum_offset 4
		.amdhsa_reserve_vcc 0
		.amdhsa_reserve_flat_scratch 0
		.amdhsa_float_round_mode_32 0
		.amdhsa_float_round_mode_16_64 0
		.amdhsa_float_denorm_mode_32 3
		.amdhsa_float_denorm_mode_16_64 3
		.amdhsa_dx10_clamp 1
		.amdhsa_ieee_mode 1
		.amdhsa_fp16_overflow 0
		.amdhsa_tg_split 0
		.amdhsa_exception_fp_ieee_invalid_op 0
		.amdhsa_exception_fp_denorm_src 0
		.amdhsa_exception_fp_ieee_div_zero 0
		.amdhsa_exception_fp_ieee_overflow 0
		.amdhsa_exception_fp_ieee_underflow 0
		.amdhsa_exception_fp_ieee_inexact 0
		.amdhsa_exception_int_div_zero 0
	.end_amdhsa_kernel
	.section	.text._ZN7rocprim17ROCPRIM_400000_NS6detail17trampoline_kernelINS0_14default_configENS1_27lower_bound_config_selectorIjiEEZNS1_14transform_implILb0ES3_S5_N6thrust23THRUST_200600_302600_NS6detail15normal_iteratorINS8_10device_ptrIjEEEENSA_INSB_IiEEEEZNS1_13binary_searchIS3_S5_SD_SD_SF_NS1_21lower_bound_search_opENS9_16wrapped_functionINS0_4lessIvEEbEEEE10hipError_tPvRmT1_T2_T3_mmT4_T5_P12ihipStream_tbEUlRKjE_EESM_SQ_SR_mSS_SV_bEUlT_E_NS1_11comp_targetILNS1_3genE9ELNS1_11target_archE1100ELNS1_3gpuE3ELNS1_3repE0EEENS1_30default_config_static_selectorELNS0_4arch9wavefront6targetE1EEEvSP_,"axG",@progbits,_ZN7rocprim17ROCPRIM_400000_NS6detail17trampoline_kernelINS0_14default_configENS1_27lower_bound_config_selectorIjiEEZNS1_14transform_implILb0ES3_S5_N6thrust23THRUST_200600_302600_NS6detail15normal_iteratorINS8_10device_ptrIjEEEENSA_INSB_IiEEEEZNS1_13binary_searchIS3_S5_SD_SD_SF_NS1_21lower_bound_search_opENS9_16wrapped_functionINS0_4lessIvEEbEEEE10hipError_tPvRmT1_T2_T3_mmT4_T5_P12ihipStream_tbEUlRKjE_EESM_SQ_SR_mSS_SV_bEUlT_E_NS1_11comp_targetILNS1_3genE9ELNS1_11target_archE1100ELNS1_3gpuE3ELNS1_3repE0EEENS1_30default_config_static_selectorELNS0_4arch9wavefront6targetE1EEEvSP_,comdat
.Lfunc_end288:
	.size	_ZN7rocprim17ROCPRIM_400000_NS6detail17trampoline_kernelINS0_14default_configENS1_27lower_bound_config_selectorIjiEEZNS1_14transform_implILb0ES3_S5_N6thrust23THRUST_200600_302600_NS6detail15normal_iteratorINS8_10device_ptrIjEEEENSA_INSB_IiEEEEZNS1_13binary_searchIS3_S5_SD_SD_SF_NS1_21lower_bound_search_opENS9_16wrapped_functionINS0_4lessIvEEbEEEE10hipError_tPvRmT1_T2_T3_mmT4_T5_P12ihipStream_tbEUlRKjE_EESM_SQ_SR_mSS_SV_bEUlT_E_NS1_11comp_targetILNS1_3genE9ELNS1_11target_archE1100ELNS1_3gpuE3ELNS1_3repE0EEENS1_30default_config_static_selectorELNS0_4arch9wavefront6targetE1EEEvSP_, .Lfunc_end288-_ZN7rocprim17ROCPRIM_400000_NS6detail17trampoline_kernelINS0_14default_configENS1_27lower_bound_config_selectorIjiEEZNS1_14transform_implILb0ES3_S5_N6thrust23THRUST_200600_302600_NS6detail15normal_iteratorINS8_10device_ptrIjEEEENSA_INSB_IiEEEEZNS1_13binary_searchIS3_S5_SD_SD_SF_NS1_21lower_bound_search_opENS9_16wrapped_functionINS0_4lessIvEEbEEEE10hipError_tPvRmT1_T2_T3_mmT4_T5_P12ihipStream_tbEUlRKjE_EESM_SQ_SR_mSS_SV_bEUlT_E_NS1_11comp_targetILNS1_3genE9ELNS1_11target_archE1100ELNS1_3gpuE3ELNS1_3repE0EEENS1_30default_config_static_selectorELNS0_4arch9wavefront6targetE1EEEvSP_
                                        ; -- End function
	.section	.AMDGPU.csdata,"",@progbits
; Kernel info:
; codeLenInByte = 0
; NumSgprs: 4
; NumVgprs: 0
; NumAgprs: 0
; TotalNumVgprs: 0
; ScratchSize: 0
; MemoryBound: 0
; FloatMode: 240
; IeeeMode: 1
; LDSByteSize: 0 bytes/workgroup (compile time only)
; SGPRBlocks: 0
; VGPRBlocks: 0
; NumSGPRsForWavesPerEU: 4
; NumVGPRsForWavesPerEU: 1
; AccumOffset: 4
; Occupancy: 8
; WaveLimiterHint : 0
; COMPUTE_PGM_RSRC2:SCRATCH_EN: 0
; COMPUTE_PGM_RSRC2:USER_SGPR: 6
; COMPUTE_PGM_RSRC2:TRAP_HANDLER: 0
; COMPUTE_PGM_RSRC2:TGID_X_EN: 1
; COMPUTE_PGM_RSRC2:TGID_Y_EN: 0
; COMPUTE_PGM_RSRC2:TGID_Z_EN: 0
; COMPUTE_PGM_RSRC2:TIDIG_COMP_CNT: 0
; COMPUTE_PGM_RSRC3_GFX90A:ACCUM_OFFSET: 0
; COMPUTE_PGM_RSRC3_GFX90A:TG_SPLIT: 0
	.section	.text._ZN7rocprim17ROCPRIM_400000_NS6detail17trampoline_kernelINS0_14default_configENS1_27lower_bound_config_selectorIjiEEZNS1_14transform_implILb0ES3_S5_N6thrust23THRUST_200600_302600_NS6detail15normal_iteratorINS8_10device_ptrIjEEEENSA_INSB_IiEEEEZNS1_13binary_searchIS3_S5_SD_SD_SF_NS1_21lower_bound_search_opENS9_16wrapped_functionINS0_4lessIvEEbEEEE10hipError_tPvRmT1_T2_T3_mmT4_T5_P12ihipStream_tbEUlRKjE_EESM_SQ_SR_mSS_SV_bEUlT_E_NS1_11comp_targetILNS1_3genE8ELNS1_11target_archE1030ELNS1_3gpuE2ELNS1_3repE0EEENS1_30default_config_static_selectorELNS0_4arch9wavefront6targetE1EEEvSP_,"axG",@progbits,_ZN7rocprim17ROCPRIM_400000_NS6detail17trampoline_kernelINS0_14default_configENS1_27lower_bound_config_selectorIjiEEZNS1_14transform_implILb0ES3_S5_N6thrust23THRUST_200600_302600_NS6detail15normal_iteratorINS8_10device_ptrIjEEEENSA_INSB_IiEEEEZNS1_13binary_searchIS3_S5_SD_SD_SF_NS1_21lower_bound_search_opENS9_16wrapped_functionINS0_4lessIvEEbEEEE10hipError_tPvRmT1_T2_T3_mmT4_T5_P12ihipStream_tbEUlRKjE_EESM_SQ_SR_mSS_SV_bEUlT_E_NS1_11comp_targetILNS1_3genE8ELNS1_11target_archE1030ELNS1_3gpuE2ELNS1_3repE0EEENS1_30default_config_static_selectorELNS0_4arch9wavefront6targetE1EEEvSP_,comdat
	.protected	_ZN7rocprim17ROCPRIM_400000_NS6detail17trampoline_kernelINS0_14default_configENS1_27lower_bound_config_selectorIjiEEZNS1_14transform_implILb0ES3_S5_N6thrust23THRUST_200600_302600_NS6detail15normal_iteratorINS8_10device_ptrIjEEEENSA_INSB_IiEEEEZNS1_13binary_searchIS3_S5_SD_SD_SF_NS1_21lower_bound_search_opENS9_16wrapped_functionINS0_4lessIvEEbEEEE10hipError_tPvRmT1_T2_T3_mmT4_T5_P12ihipStream_tbEUlRKjE_EESM_SQ_SR_mSS_SV_bEUlT_E_NS1_11comp_targetILNS1_3genE8ELNS1_11target_archE1030ELNS1_3gpuE2ELNS1_3repE0EEENS1_30default_config_static_selectorELNS0_4arch9wavefront6targetE1EEEvSP_ ; -- Begin function _ZN7rocprim17ROCPRIM_400000_NS6detail17trampoline_kernelINS0_14default_configENS1_27lower_bound_config_selectorIjiEEZNS1_14transform_implILb0ES3_S5_N6thrust23THRUST_200600_302600_NS6detail15normal_iteratorINS8_10device_ptrIjEEEENSA_INSB_IiEEEEZNS1_13binary_searchIS3_S5_SD_SD_SF_NS1_21lower_bound_search_opENS9_16wrapped_functionINS0_4lessIvEEbEEEE10hipError_tPvRmT1_T2_T3_mmT4_T5_P12ihipStream_tbEUlRKjE_EESM_SQ_SR_mSS_SV_bEUlT_E_NS1_11comp_targetILNS1_3genE8ELNS1_11target_archE1030ELNS1_3gpuE2ELNS1_3repE0EEENS1_30default_config_static_selectorELNS0_4arch9wavefront6targetE1EEEvSP_
	.globl	_ZN7rocprim17ROCPRIM_400000_NS6detail17trampoline_kernelINS0_14default_configENS1_27lower_bound_config_selectorIjiEEZNS1_14transform_implILb0ES3_S5_N6thrust23THRUST_200600_302600_NS6detail15normal_iteratorINS8_10device_ptrIjEEEENSA_INSB_IiEEEEZNS1_13binary_searchIS3_S5_SD_SD_SF_NS1_21lower_bound_search_opENS9_16wrapped_functionINS0_4lessIvEEbEEEE10hipError_tPvRmT1_T2_T3_mmT4_T5_P12ihipStream_tbEUlRKjE_EESM_SQ_SR_mSS_SV_bEUlT_E_NS1_11comp_targetILNS1_3genE8ELNS1_11target_archE1030ELNS1_3gpuE2ELNS1_3repE0EEENS1_30default_config_static_selectorELNS0_4arch9wavefront6targetE1EEEvSP_
	.p2align	8
	.type	_ZN7rocprim17ROCPRIM_400000_NS6detail17trampoline_kernelINS0_14default_configENS1_27lower_bound_config_selectorIjiEEZNS1_14transform_implILb0ES3_S5_N6thrust23THRUST_200600_302600_NS6detail15normal_iteratorINS8_10device_ptrIjEEEENSA_INSB_IiEEEEZNS1_13binary_searchIS3_S5_SD_SD_SF_NS1_21lower_bound_search_opENS9_16wrapped_functionINS0_4lessIvEEbEEEE10hipError_tPvRmT1_T2_T3_mmT4_T5_P12ihipStream_tbEUlRKjE_EESM_SQ_SR_mSS_SV_bEUlT_E_NS1_11comp_targetILNS1_3genE8ELNS1_11target_archE1030ELNS1_3gpuE2ELNS1_3repE0EEENS1_30default_config_static_selectorELNS0_4arch9wavefront6targetE1EEEvSP_,@function
_ZN7rocprim17ROCPRIM_400000_NS6detail17trampoline_kernelINS0_14default_configENS1_27lower_bound_config_selectorIjiEEZNS1_14transform_implILb0ES3_S5_N6thrust23THRUST_200600_302600_NS6detail15normal_iteratorINS8_10device_ptrIjEEEENSA_INSB_IiEEEEZNS1_13binary_searchIS3_S5_SD_SD_SF_NS1_21lower_bound_search_opENS9_16wrapped_functionINS0_4lessIvEEbEEEE10hipError_tPvRmT1_T2_T3_mmT4_T5_P12ihipStream_tbEUlRKjE_EESM_SQ_SR_mSS_SV_bEUlT_E_NS1_11comp_targetILNS1_3genE8ELNS1_11target_archE1030ELNS1_3gpuE2ELNS1_3repE0EEENS1_30default_config_static_selectorELNS0_4arch9wavefront6targetE1EEEvSP_: ; @_ZN7rocprim17ROCPRIM_400000_NS6detail17trampoline_kernelINS0_14default_configENS1_27lower_bound_config_selectorIjiEEZNS1_14transform_implILb0ES3_S5_N6thrust23THRUST_200600_302600_NS6detail15normal_iteratorINS8_10device_ptrIjEEEENSA_INSB_IiEEEEZNS1_13binary_searchIS3_S5_SD_SD_SF_NS1_21lower_bound_search_opENS9_16wrapped_functionINS0_4lessIvEEbEEEE10hipError_tPvRmT1_T2_T3_mmT4_T5_P12ihipStream_tbEUlRKjE_EESM_SQ_SR_mSS_SV_bEUlT_E_NS1_11comp_targetILNS1_3genE8ELNS1_11target_archE1030ELNS1_3gpuE2ELNS1_3repE0EEENS1_30default_config_static_selectorELNS0_4arch9wavefront6targetE1EEEvSP_
; %bb.0:
	.section	.rodata,"a",@progbits
	.p2align	6, 0x0
	.amdhsa_kernel _ZN7rocprim17ROCPRIM_400000_NS6detail17trampoline_kernelINS0_14default_configENS1_27lower_bound_config_selectorIjiEEZNS1_14transform_implILb0ES3_S5_N6thrust23THRUST_200600_302600_NS6detail15normal_iteratorINS8_10device_ptrIjEEEENSA_INSB_IiEEEEZNS1_13binary_searchIS3_S5_SD_SD_SF_NS1_21lower_bound_search_opENS9_16wrapped_functionINS0_4lessIvEEbEEEE10hipError_tPvRmT1_T2_T3_mmT4_T5_P12ihipStream_tbEUlRKjE_EESM_SQ_SR_mSS_SV_bEUlT_E_NS1_11comp_targetILNS1_3genE8ELNS1_11target_archE1030ELNS1_3gpuE2ELNS1_3repE0EEENS1_30default_config_static_selectorELNS0_4arch9wavefront6targetE1EEEvSP_
		.amdhsa_group_segment_fixed_size 0
		.amdhsa_private_segment_fixed_size 0
		.amdhsa_kernarg_size 56
		.amdhsa_user_sgpr_count 6
		.amdhsa_user_sgpr_private_segment_buffer 1
		.amdhsa_user_sgpr_dispatch_ptr 0
		.amdhsa_user_sgpr_queue_ptr 0
		.amdhsa_user_sgpr_kernarg_segment_ptr 1
		.amdhsa_user_sgpr_dispatch_id 0
		.amdhsa_user_sgpr_flat_scratch_init 0
		.amdhsa_user_sgpr_kernarg_preload_length 0
		.amdhsa_user_sgpr_kernarg_preload_offset 0
		.amdhsa_user_sgpr_private_segment_size 0
		.amdhsa_uses_dynamic_stack 0
		.amdhsa_system_sgpr_private_segment_wavefront_offset 0
		.amdhsa_system_sgpr_workgroup_id_x 1
		.amdhsa_system_sgpr_workgroup_id_y 0
		.amdhsa_system_sgpr_workgroup_id_z 0
		.amdhsa_system_sgpr_workgroup_info 0
		.amdhsa_system_vgpr_workitem_id 0
		.amdhsa_next_free_vgpr 1
		.amdhsa_next_free_sgpr 0
		.amdhsa_accum_offset 4
		.amdhsa_reserve_vcc 0
		.amdhsa_reserve_flat_scratch 0
		.amdhsa_float_round_mode_32 0
		.amdhsa_float_round_mode_16_64 0
		.amdhsa_float_denorm_mode_32 3
		.amdhsa_float_denorm_mode_16_64 3
		.amdhsa_dx10_clamp 1
		.amdhsa_ieee_mode 1
		.amdhsa_fp16_overflow 0
		.amdhsa_tg_split 0
		.amdhsa_exception_fp_ieee_invalid_op 0
		.amdhsa_exception_fp_denorm_src 0
		.amdhsa_exception_fp_ieee_div_zero 0
		.amdhsa_exception_fp_ieee_overflow 0
		.amdhsa_exception_fp_ieee_underflow 0
		.amdhsa_exception_fp_ieee_inexact 0
		.amdhsa_exception_int_div_zero 0
	.end_amdhsa_kernel
	.section	.text._ZN7rocprim17ROCPRIM_400000_NS6detail17trampoline_kernelINS0_14default_configENS1_27lower_bound_config_selectorIjiEEZNS1_14transform_implILb0ES3_S5_N6thrust23THRUST_200600_302600_NS6detail15normal_iteratorINS8_10device_ptrIjEEEENSA_INSB_IiEEEEZNS1_13binary_searchIS3_S5_SD_SD_SF_NS1_21lower_bound_search_opENS9_16wrapped_functionINS0_4lessIvEEbEEEE10hipError_tPvRmT1_T2_T3_mmT4_T5_P12ihipStream_tbEUlRKjE_EESM_SQ_SR_mSS_SV_bEUlT_E_NS1_11comp_targetILNS1_3genE8ELNS1_11target_archE1030ELNS1_3gpuE2ELNS1_3repE0EEENS1_30default_config_static_selectorELNS0_4arch9wavefront6targetE1EEEvSP_,"axG",@progbits,_ZN7rocprim17ROCPRIM_400000_NS6detail17trampoline_kernelINS0_14default_configENS1_27lower_bound_config_selectorIjiEEZNS1_14transform_implILb0ES3_S5_N6thrust23THRUST_200600_302600_NS6detail15normal_iteratorINS8_10device_ptrIjEEEENSA_INSB_IiEEEEZNS1_13binary_searchIS3_S5_SD_SD_SF_NS1_21lower_bound_search_opENS9_16wrapped_functionINS0_4lessIvEEbEEEE10hipError_tPvRmT1_T2_T3_mmT4_T5_P12ihipStream_tbEUlRKjE_EESM_SQ_SR_mSS_SV_bEUlT_E_NS1_11comp_targetILNS1_3genE8ELNS1_11target_archE1030ELNS1_3gpuE2ELNS1_3repE0EEENS1_30default_config_static_selectorELNS0_4arch9wavefront6targetE1EEEvSP_,comdat
.Lfunc_end289:
	.size	_ZN7rocprim17ROCPRIM_400000_NS6detail17trampoline_kernelINS0_14default_configENS1_27lower_bound_config_selectorIjiEEZNS1_14transform_implILb0ES3_S5_N6thrust23THRUST_200600_302600_NS6detail15normal_iteratorINS8_10device_ptrIjEEEENSA_INSB_IiEEEEZNS1_13binary_searchIS3_S5_SD_SD_SF_NS1_21lower_bound_search_opENS9_16wrapped_functionINS0_4lessIvEEbEEEE10hipError_tPvRmT1_T2_T3_mmT4_T5_P12ihipStream_tbEUlRKjE_EESM_SQ_SR_mSS_SV_bEUlT_E_NS1_11comp_targetILNS1_3genE8ELNS1_11target_archE1030ELNS1_3gpuE2ELNS1_3repE0EEENS1_30default_config_static_selectorELNS0_4arch9wavefront6targetE1EEEvSP_, .Lfunc_end289-_ZN7rocprim17ROCPRIM_400000_NS6detail17trampoline_kernelINS0_14default_configENS1_27lower_bound_config_selectorIjiEEZNS1_14transform_implILb0ES3_S5_N6thrust23THRUST_200600_302600_NS6detail15normal_iteratorINS8_10device_ptrIjEEEENSA_INSB_IiEEEEZNS1_13binary_searchIS3_S5_SD_SD_SF_NS1_21lower_bound_search_opENS9_16wrapped_functionINS0_4lessIvEEbEEEE10hipError_tPvRmT1_T2_T3_mmT4_T5_P12ihipStream_tbEUlRKjE_EESM_SQ_SR_mSS_SV_bEUlT_E_NS1_11comp_targetILNS1_3genE8ELNS1_11target_archE1030ELNS1_3gpuE2ELNS1_3repE0EEENS1_30default_config_static_selectorELNS0_4arch9wavefront6targetE1EEEvSP_
                                        ; -- End function
	.section	.AMDGPU.csdata,"",@progbits
; Kernel info:
; codeLenInByte = 0
; NumSgprs: 4
; NumVgprs: 0
; NumAgprs: 0
; TotalNumVgprs: 0
; ScratchSize: 0
; MemoryBound: 0
; FloatMode: 240
; IeeeMode: 1
; LDSByteSize: 0 bytes/workgroup (compile time only)
; SGPRBlocks: 0
; VGPRBlocks: 0
; NumSGPRsForWavesPerEU: 4
; NumVGPRsForWavesPerEU: 1
; AccumOffset: 4
; Occupancy: 8
; WaveLimiterHint : 0
; COMPUTE_PGM_RSRC2:SCRATCH_EN: 0
; COMPUTE_PGM_RSRC2:USER_SGPR: 6
; COMPUTE_PGM_RSRC2:TRAP_HANDLER: 0
; COMPUTE_PGM_RSRC2:TGID_X_EN: 1
; COMPUTE_PGM_RSRC2:TGID_Y_EN: 0
; COMPUTE_PGM_RSRC2:TGID_Z_EN: 0
; COMPUTE_PGM_RSRC2:TIDIG_COMP_CNT: 0
; COMPUTE_PGM_RSRC3_GFX90A:ACCUM_OFFSET: 0
; COMPUTE_PGM_RSRC3_GFX90A:TG_SPLIT: 0
	.section	.text._ZN6thrust23THRUST_200600_302600_NS11hip_rocprim14__parallel_for6kernelILj256ENS1_10__tabulate7functorINS0_6detail15normal_iteratorINS0_10device_ptrItEEEENS0_6system6detail7generic6detail22compute_sequence_valueItvEElEElLj1EEEvT0_T1_SJ_,"axG",@progbits,_ZN6thrust23THRUST_200600_302600_NS11hip_rocprim14__parallel_for6kernelILj256ENS1_10__tabulate7functorINS0_6detail15normal_iteratorINS0_10device_ptrItEEEENS0_6system6detail7generic6detail22compute_sequence_valueItvEElEElLj1EEEvT0_T1_SJ_,comdat
	.protected	_ZN6thrust23THRUST_200600_302600_NS11hip_rocprim14__parallel_for6kernelILj256ENS1_10__tabulate7functorINS0_6detail15normal_iteratorINS0_10device_ptrItEEEENS0_6system6detail7generic6detail22compute_sequence_valueItvEElEElLj1EEEvT0_T1_SJ_ ; -- Begin function _ZN6thrust23THRUST_200600_302600_NS11hip_rocprim14__parallel_for6kernelILj256ENS1_10__tabulate7functorINS0_6detail15normal_iteratorINS0_10device_ptrItEEEENS0_6system6detail7generic6detail22compute_sequence_valueItvEElEElLj1EEEvT0_T1_SJ_
	.globl	_ZN6thrust23THRUST_200600_302600_NS11hip_rocprim14__parallel_for6kernelILj256ENS1_10__tabulate7functorINS0_6detail15normal_iteratorINS0_10device_ptrItEEEENS0_6system6detail7generic6detail22compute_sequence_valueItvEElEElLj1EEEvT0_T1_SJ_
	.p2align	8
	.type	_ZN6thrust23THRUST_200600_302600_NS11hip_rocprim14__parallel_for6kernelILj256ENS1_10__tabulate7functorINS0_6detail15normal_iteratorINS0_10device_ptrItEEEENS0_6system6detail7generic6detail22compute_sequence_valueItvEElEElLj1EEEvT0_T1_SJ_,@function
_ZN6thrust23THRUST_200600_302600_NS11hip_rocprim14__parallel_for6kernelILj256ENS1_10__tabulate7functorINS0_6detail15normal_iteratorINS0_10device_ptrItEEEENS0_6system6detail7generic6detail22compute_sequence_valueItvEElEElLj1EEEvT0_T1_SJ_: ; @_ZN6thrust23THRUST_200600_302600_NS11hip_rocprim14__parallel_for6kernelILj256ENS1_10__tabulate7functorINS0_6detail15normal_iteratorINS0_10device_ptrItEEEENS0_6system6detail7generic6detail22compute_sequence_valueItvEElEElLj1EEEvT0_T1_SJ_
; %bb.0:
	s_load_dwordx4 s[8:11], s[4:5], 0x10
	s_lshl_b32 s0, s6, 8
	v_mov_b32_e32 v2, 0x100
	v_mov_b32_e32 v3, 0
	s_waitcnt lgkmcnt(0)
	s_add_u32 s0, s0, s10
	s_addc_u32 s1, 0, s11
	s_sub_u32 s2, s8, s0
	s_subb_u32 s3, s9, s1
	v_cmp_lt_i64_e32 vcc, s[2:3], v[2:3]
	s_and_b64 s[6:7], vcc, exec
	s_cselect_b32 s6, s2, 0x100
	s_cmpk_eq_i32 s6, 0x100
	s_cselect_b64 s[2:3], -1, 0
	v_cmp_gt_u32_e32 vcc, s6, v0
	s_or_b64 s[2:3], s[2:3], vcc
	s_and_saveexec_b64 s[6:7], s[2:3]
	s_cbranch_execz .LBB290_2
; %bb.1:
	s_load_dword s6, s[4:5], 0x8
	s_load_dwordx2 s[2:3], s[4:5], 0x0
	v_mov_b32_e32 v1, s1
	v_add_co_u32_e32 v0, vcc, s0, v0
	s_waitcnt lgkmcnt(0)
	s_lshr_b32 s1, s6, 16
	v_addc_co_u32_e32 v1, vcc, 0, v1, vcc
	v_mov_b32_e32 v2, s6
	v_mad_legacy_u16 v2, s1, v0, v2
	v_lshlrev_b64 v[0:1], 1, v[0:1]
	v_mov_b32_e32 v3, s3
	v_add_co_u32_e32 v0, vcc, s2, v0
	v_addc_co_u32_e32 v1, vcc, v3, v1, vcc
	flat_store_short v[0:1], v2
.LBB290_2:
	s_endpgm
	.section	.rodata,"a",@progbits
	.p2align	6, 0x0
	.amdhsa_kernel _ZN6thrust23THRUST_200600_302600_NS11hip_rocprim14__parallel_for6kernelILj256ENS1_10__tabulate7functorINS0_6detail15normal_iteratorINS0_10device_ptrItEEEENS0_6system6detail7generic6detail22compute_sequence_valueItvEElEElLj1EEEvT0_T1_SJ_
		.amdhsa_group_segment_fixed_size 0
		.amdhsa_private_segment_fixed_size 0
		.amdhsa_kernarg_size 32
		.amdhsa_user_sgpr_count 6
		.amdhsa_user_sgpr_private_segment_buffer 1
		.amdhsa_user_sgpr_dispatch_ptr 0
		.amdhsa_user_sgpr_queue_ptr 0
		.amdhsa_user_sgpr_kernarg_segment_ptr 1
		.amdhsa_user_sgpr_dispatch_id 0
		.amdhsa_user_sgpr_flat_scratch_init 0
		.amdhsa_user_sgpr_kernarg_preload_length 0
		.amdhsa_user_sgpr_kernarg_preload_offset 0
		.amdhsa_user_sgpr_private_segment_size 0
		.amdhsa_uses_dynamic_stack 0
		.amdhsa_system_sgpr_private_segment_wavefront_offset 0
		.amdhsa_system_sgpr_workgroup_id_x 1
		.amdhsa_system_sgpr_workgroup_id_y 0
		.amdhsa_system_sgpr_workgroup_id_z 0
		.amdhsa_system_sgpr_workgroup_info 0
		.amdhsa_system_vgpr_workitem_id 0
		.amdhsa_next_free_vgpr 4
		.amdhsa_next_free_sgpr 12
		.amdhsa_accum_offset 4
		.amdhsa_reserve_vcc 1
		.amdhsa_reserve_flat_scratch 0
		.amdhsa_float_round_mode_32 0
		.amdhsa_float_round_mode_16_64 0
		.amdhsa_float_denorm_mode_32 3
		.amdhsa_float_denorm_mode_16_64 3
		.amdhsa_dx10_clamp 1
		.amdhsa_ieee_mode 1
		.amdhsa_fp16_overflow 0
		.amdhsa_tg_split 0
		.amdhsa_exception_fp_ieee_invalid_op 0
		.amdhsa_exception_fp_denorm_src 0
		.amdhsa_exception_fp_ieee_div_zero 0
		.amdhsa_exception_fp_ieee_overflow 0
		.amdhsa_exception_fp_ieee_underflow 0
		.amdhsa_exception_fp_ieee_inexact 0
		.amdhsa_exception_int_div_zero 0
	.end_amdhsa_kernel
	.section	.text._ZN6thrust23THRUST_200600_302600_NS11hip_rocprim14__parallel_for6kernelILj256ENS1_10__tabulate7functorINS0_6detail15normal_iteratorINS0_10device_ptrItEEEENS0_6system6detail7generic6detail22compute_sequence_valueItvEElEElLj1EEEvT0_T1_SJ_,"axG",@progbits,_ZN6thrust23THRUST_200600_302600_NS11hip_rocprim14__parallel_for6kernelILj256ENS1_10__tabulate7functorINS0_6detail15normal_iteratorINS0_10device_ptrItEEEENS0_6system6detail7generic6detail22compute_sequence_valueItvEElEElLj1EEEvT0_T1_SJ_,comdat
.Lfunc_end290:
	.size	_ZN6thrust23THRUST_200600_302600_NS11hip_rocprim14__parallel_for6kernelILj256ENS1_10__tabulate7functorINS0_6detail15normal_iteratorINS0_10device_ptrItEEEENS0_6system6detail7generic6detail22compute_sequence_valueItvEElEElLj1EEEvT0_T1_SJ_, .Lfunc_end290-_ZN6thrust23THRUST_200600_302600_NS11hip_rocprim14__parallel_for6kernelILj256ENS1_10__tabulate7functorINS0_6detail15normal_iteratorINS0_10device_ptrItEEEENS0_6system6detail7generic6detail22compute_sequence_valueItvEElEElLj1EEEvT0_T1_SJ_
                                        ; -- End function
	.section	.AMDGPU.csdata,"",@progbits
; Kernel info:
; codeLenInByte = 164
; NumSgprs: 16
; NumVgprs: 4
; NumAgprs: 0
; TotalNumVgprs: 4
; ScratchSize: 0
; MemoryBound: 0
; FloatMode: 240
; IeeeMode: 1
; LDSByteSize: 0 bytes/workgroup (compile time only)
; SGPRBlocks: 1
; VGPRBlocks: 0
; NumSGPRsForWavesPerEU: 16
; NumVGPRsForWavesPerEU: 4
; AccumOffset: 4
; Occupancy: 8
; WaveLimiterHint : 0
; COMPUTE_PGM_RSRC2:SCRATCH_EN: 0
; COMPUTE_PGM_RSRC2:USER_SGPR: 6
; COMPUTE_PGM_RSRC2:TRAP_HANDLER: 0
; COMPUTE_PGM_RSRC2:TGID_X_EN: 1
; COMPUTE_PGM_RSRC2:TGID_Y_EN: 0
; COMPUTE_PGM_RSRC2:TGID_Z_EN: 0
; COMPUTE_PGM_RSRC2:TIDIG_COMP_CNT: 0
; COMPUTE_PGM_RSRC3_GFX90A:ACCUM_OFFSET: 0
; COMPUTE_PGM_RSRC3_GFX90A:TG_SPLIT: 0
	.section	.text._ZN7rocprim17ROCPRIM_400000_NS6detail17trampoline_kernelINS0_14default_configENS1_27lower_bound_config_selectorItiEEZNS1_14transform_implILb0ES3_S5_N6thrust23THRUST_200600_302600_NS6detail15normal_iteratorINS8_10device_ptrItEEEENSA_INSB_IiEEEEZNS1_13binary_searchIS3_S5_SD_SD_SF_NS1_21lower_bound_search_opENS9_16wrapped_functionINS0_4lessIvEEbEEEE10hipError_tPvRmT1_T2_T3_mmT4_T5_P12ihipStream_tbEUlRKtE_EESM_SQ_SR_mSS_SV_bEUlT_E_NS1_11comp_targetILNS1_3genE0ELNS1_11target_archE4294967295ELNS1_3gpuE0ELNS1_3repE0EEENS1_30default_config_static_selectorELNS0_4arch9wavefront6targetE1EEEvSP_,"axG",@progbits,_ZN7rocprim17ROCPRIM_400000_NS6detail17trampoline_kernelINS0_14default_configENS1_27lower_bound_config_selectorItiEEZNS1_14transform_implILb0ES3_S5_N6thrust23THRUST_200600_302600_NS6detail15normal_iteratorINS8_10device_ptrItEEEENSA_INSB_IiEEEEZNS1_13binary_searchIS3_S5_SD_SD_SF_NS1_21lower_bound_search_opENS9_16wrapped_functionINS0_4lessIvEEbEEEE10hipError_tPvRmT1_T2_T3_mmT4_T5_P12ihipStream_tbEUlRKtE_EESM_SQ_SR_mSS_SV_bEUlT_E_NS1_11comp_targetILNS1_3genE0ELNS1_11target_archE4294967295ELNS1_3gpuE0ELNS1_3repE0EEENS1_30default_config_static_selectorELNS0_4arch9wavefront6targetE1EEEvSP_,comdat
	.protected	_ZN7rocprim17ROCPRIM_400000_NS6detail17trampoline_kernelINS0_14default_configENS1_27lower_bound_config_selectorItiEEZNS1_14transform_implILb0ES3_S5_N6thrust23THRUST_200600_302600_NS6detail15normal_iteratorINS8_10device_ptrItEEEENSA_INSB_IiEEEEZNS1_13binary_searchIS3_S5_SD_SD_SF_NS1_21lower_bound_search_opENS9_16wrapped_functionINS0_4lessIvEEbEEEE10hipError_tPvRmT1_T2_T3_mmT4_T5_P12ihipStream_tbEUlRKtE_EESM_SQ_SR_mSS_SV_bEUlT_E_NS1_11comp_targetILNS1_3genE0ELNS1_11target_archE4294967295ELNS1_3gpuE0ELNS1_3repE0EEENS1_30default_config_static_selectorELNS0_4arch9wavefront6targetE1EEEvSP_ ; -- Begin function _ZN7rocprim17ROCPRIM_400000_NS6detail17trampoline_kernelINS0_14default_configENS1_27lower_bound_config_selectorItiEEZNS1_14transform_implILb0ES3_S5_N6thrust23THRUST_200600_302600_NS6detail15normal_iteratorINS8_10device_ptrItEEEENSA_INSB_IiEEEEZNS1_13binary_searchIS3_S5_SD_SD_SF_NS1_21lower_bound_search_opENS9_16wrapped_functionINS0_4lessIvEEbEEEE10hipError_tPvRmT1_T2_T3_mmT4_T5_P12ihipStream_tbEUlRKtE_EESM_SQ_SR_mSS_SV_bEUlT_E_NS1_11comp_targetILNS1_3genE0ELNS1_11target_archE4294967295ELNS1_3gpuE0ELNS1_3repE0EEENS1_30default_config_static_selectorELNS0_4arch9wavefront6targetE1EEEvSP_
	.globl	_ZN7rocprim17ROCPRIM_400000_NS6detail17trampoline_kernelINS0_14default_configENS1_27lower_bound_config_selectorItiEEZNS1_14transform_implILb0ES3_S5_N6thrust23THRUST_200600_302600_NS6detail15normal_iteratorINS8_10device_ptrItEEEENSA_INSB_IiEEEEZNS1_13binary_searchIS3_S5_SD_SD_SF_NS1_21lower_bound_search_opENS9_16wrapped_functionINS0_4lessIvEEbEEEE10hipError_tPvRmT1_T2_T3_mmT4_T5_P12ihipStream_tbEUlRKtE_EESM_SQ_SR_mSS_SV_bEUlT_E_NS1_11comp_targetILNS1_3genE0ELNS1_11target_archE4294967295ELNS1_3gpuE0ELNS1_3repE0EEENS1_30default_config_static_selectorELNS0_4arch9wavefront6targetE1EEEvSP_
	.p2align	8
	.type	_ZN7rocprim17ROCPRIM_400000_NS6detail17trampoline_kernelINS0_14default_configENS1_27lower_bound_config_selectorItiEEZNS1_14transform_implILb0ES3_S5_N6thrust23THRUST_200600_302600_NS6detail15normal_iteratorINS8_10device_ptrItEEEENSA_INSB_IiEEEEZNS1_13binary_searchIS3_S5_SD_SD_SF_NS1_21lower_bound_search_opENS9_16wrapped_functionINS0_4lessIvEEbEEEE10hipError_tPvRmT1_T2_T3_mmT4_T5_P12ihipStream_tbEUlRKtE_EESM_SQ_SR_mSS_SV_bEUlT_E_NS1_11comp_targetILNS1_3genE0ELNS1_11target_archE4294967295ELNS1_3gpuE0ELNS1_3repE0EEENS1_30default_config_static_selectorELNS0_4arch9wavefront6targetE1EEEvSP_,@function
_ZN7rocprim17ROCPRIM_400000_NS6detail17trampoline_kernelINS0_14default_configENS1_27lower_bound_config_selectorItiEEZNS1_14transform_implILb0ES3_S5_N6thrust23THRUST_200600_302600_NS6detail15normal_iteratorINS8_10device_ptrItEEEENSA_INSB_IiEEEEZNS1_13binary_searchIS3_S5_SD_SD_SF_NS1_21lower_bound_search_opENS9_16wrapped_functionINS0_4lessIvEEbEEEE10hipError_tPvRmT1_T2_T3_mmT4_T5_P12ihipStream_tbEUlRKtE_EESM_SQ_SR_mSS_SV_bEUlT_E_NS1_11comp_targetILNS1_3genE0ELNS1_11target_archE4294967295ELNS1_3gpuE0ELNS1_3repE0EEENS1_30default_config_static_selectorELNS0_4arch9wavefront6targetE1EEEvSP_: ; @_ZN7rocprim17ROCPRIM_400000_NS6detail17trampoline_kernelINS0_14default_configENS1_27lower_bound_config_selectorItiEEZNS1_14transform_implILb0ES3_S5_N6thrust23THRUST_200600_302600_NS6detail15normal_iteratorINS8_10device_ptrItEEEENSA_INSB_IiEEEEZNS1_13binary_searchIS3_S5_SD_SD_SF_NS1_21lower_bound_search_opENS9_16wrapped_functionINS0_4lessIvEEbEEEE10hipError_tPvRmT1_T2_T3_mmT4_T5_P12ihipStream_tbEUlRKtE_EESM_SQ_SR_mSS_SV_bEUlT_E_NS1_11comp_targetILNS1_3genE0ELNS1_11target_archE4294967295ELNS1_3gpuE0ELNS1_3repE0EEENS1_30default_config_static_selectorELNS0_4arch9wavefront6targetE1EEEvSP_
; %bb.0:
	.section	.rodata,"a",@progbits
	.p2align	6, 0x0
	.amdhsa_kernel _ZN7rocprim17ROCPRIM_400000_NS6detail17trampoline_kernelINS0_14default_configENS1_27lower_bound_config_selectorItiEEZNS1_14transform_implILb0ES3_S5_N6thrust23THRUST_200600_302600_NS6detail15normal_iteratorINS8_10device_ptrItEEEENSA_INSB_IiEEEEZNS1_13binary_searchIS3_S5_SD_SD_SF_NS1_21lower_bound_search_opENS9_16wrapped_functionINS0_4lessIvEEbEEEE10hipError_tPvRmT1_T2_T3_mmT4_T5_P12ihipStream_tbEUlRKtE_EESM_SQ_SR_mSS_SV_bEUlT_E_NS1_11comp_targetILNS1_3genE0ELNS1_11target_archE4294967295ELNS1_3gpuE0ELNS1_3repE0EEENS1_30default_config_static_selectorELNS0_4arch9wavefront6targetE1EEEvSP_
		.amdhsa_group_segment_fixed_size 0
		.amdhsa_private_segment_fixed_size 0
		.amdhsa_kernarg_size 56
		.amdhsa_user_sgpr_count 6
		.amdhsa_user_sgpr_private_segment_buffer 1
		.amdhsa_user_sgpr_dispatch_ptr 0
		.amdhsa_user_sgpr_queue_ptr 0
		.amdhsa_user_sgpr_kernarg_segment_ptr 1
		.amdhsa_user_sgpr_dispatch_id 0
		.amdhsa_user_sgpr_flat_scratch_init 0
		.amdhsa_user_sgpr_kernarg_preload_length 0
		.amdhsa_user_sgpr_kernarg_preload_offset 0
		.amdhsa_user_sgpr_private_segment_size 0
		.amdhsa_uses_dynamic_stack 0
		.amdhsa_system_sgpr_private_segment_wavefront_offset 0
		.amdhsa_system_sgpr_workgroup_id_x 1
		.amdhsa_system_sgpr_workgroup_id_y 0
		.amdhsa_system_sgpr_workgroup_id_z 0
		.amdhsa_system_sgpr_workgroup_info 0
		.amdhsa_system_vgpr_workitem_id 0
		.amdhsa_next_free_vgpr 1
		.amdhsa_next_free_sgpr 0
		.amdhsa_accum_offset 4
		.amdhsa_reserve_vcc 0
		.amdhsa_reserve_flat_scratch 0
		.amdhsa_float_round_mode_32 0
		.amdhsa_float_round_mode_16_64 0
		.amdhsa_float_denorm_mode_32 3
		.amdhsa_float_denorm_mode_16_64 3
		.amdhsa_dx10_clamp 1
		.amdhsa_ieee_mode 1
		.amdhsa_fp16_overflow 0
		.amdhsa_tg_split 0
		.amdhsa_exception_fp_ieee_invalid_op 0
		.amdhsa_exception_fp_denorm_src 0
		.amdhsa_exception_fp_ieee_div_zero 0
		.amdhsa_exception_fp_ieee_overflow 0
		.amdhsa_exception_fp_ieee_underflow 0
		.amdhsa_exception_fp_ieee_inexact 0
		.amdhsa_exception_int_div_zero 0
	.end_amdhsa_kernel
	.section	.text._ZN7rocprim17ROCPRIM_400000_NS6detail17trampoline_kernelINS0_14default_configENS1_27lower_bound_config_selectorItiEEZNS1_14transform_implILb0ES3_S5_N6thrust23THRUST_200600_302600_NS6detail15normal_iteratorINS8_10device_ptrItEEEENSA_INSB_IiEEEEZNS1_13binary_searchIS3_S5_SD_SD_SF_NS1_21lower_bound_search_opENS9_16wrapped_functionINS0_4lessIvEEbEEEE10hipError_tPvRmT1_T2_T3_mmT4_T5_P12ihipStream_tbEUlRKtE_EESM_SQ_SR_mSS_SV_bEUlT_E_NS1_11comp_targetILNS1_3genE0ELNS1_11target_archE4294967295ELNS1_3gpuE0ELNS1_3repE0EEENS1_30default_config_static_selectorELNS0_4arch9wavefront6targetE1EEEvSP_,"axG",@progbits,_ZN7rocprim17ROCPRIM_400000_NS6detail17trampoline_kernelINS0_14default_configENS1_27lower_bound_config_selectorItiEEZNS1_14transform_implILb0ES3_S5_N6thrust23THRUST_200600_302600_NS6detail15normal_iteratorINS8_10device_ptrItEEEENSA_INSB_IiEEEEZNS1_13binary_searchIS3_S5_SD_SD_SF_NS1_21lower_bound_search_opENS9_16wrapped_functionINS0_4lessIvEEbEEEE10hipError_tPvRmT1_T2_T3_mmT4_T5_P12ihipStream_tbEUlRKtE_EESM_SQ_SR_mSS_SV_bEUlT_E_NS1_11comp_targetILNS1_3genE0ELNS1_11target_archE4294967295ELNS1_3gpuE0ELNS1_3repE0EEENS1_30default_config_static_selectorELNS0_4arch9wavefront6targetE1EEEvSP_,comdat
.Lfunc_end291:
	.size	_ZN7rocprim17ROCPRIM_400000_NS6detail17trampoline_kernelINS0_14default_configENS1_27lower_bound_config_selectorItiEEZNS1_14transform_implILb0ES3_S5_N6thrust23THRUST_200600_302600_NS6detail15normal_iteratorINS8_10device_ptrItEEEENSA_INSB_IiEEEEZNS1_13binary_searchIS3_S5_SD_SD_SF_NS1_21lower_bound_search_opENS9_16wrapped_functionINS0_4lessIvEEbEEEE10hipError_tPvRmT1_T2_T3_mmT4_T5_P12ihipStream_tbEUlRKtE_EESM_SQ_SR_mSS_SV_bEUlT_E_NS1_11comp_targetILNS1_3genE0ELNS1_11target_archE4294967295ELNS1_3gpuE0ELNS1_3repE0EEENS1_30default_config_static_selectorELNS0_4arch9wavefront6targetE1EEEvSP_, .Lfunc_end291-_ZN7rocprim17ROCPRIM_400000_NS6detail17trampoline_kernelINS0_14default_configENS1_27lower_bound_config_selectorItiEEZNS1_14transform_implILb0ES3_S5_N6thrust23THRUST_200600_302600_NS6detail15normal_iteratorINS8_10device_ptrItEEEENSA_INSB_IiEEEEZNS1_13binary_searchIS3_S5_SD_SD_SF_NS1_21lower_bound_search_opENS9_16wrapped_functionINS0_4lessIvEEbEEEE10hipError_tPvRmT1_T2_T3_mmT4_T5_P12ihipStream_tbEUlRKtE_EESM_SQ_SR_mSS_SV_bEUlT_E_NS1_11comp_targetILNS1_3genE0ELNS1_11target_archE4294967295ELNS1_3gpuE0ELNS1_3repE0EEENS1_30default_config_static_selectorELNS0_4arch9wavefront6targetE1EEEvSP_
                                        ; -- End function
	.section	.AMDGPU.csdata,"",@progbits
; Kernel info:
; codeLenInByte = 0
; NumSgprs: 4
; NumVgprs: 0
; NumAgprs: 0
; TotalNumVgprs: 0
; ScratchSize: 0
; MemoryBound: 0
; FloatMode: 240
; IeeeMode: 1
; LDSByteSize: 0 bytes/workgroup (compile time only)
; SGPRBlocks: 0
; VGPRBlocks: 0
; NumSGPRsForWavesPerEU: 4
; NumVGPRsForWavesPerEU: 1
; AccumOffset: 4
; Occupancy: 8
; WaveLimiterHint : 0
; COMPUTE_PGM_RSRC2:SCRATCH_EN: 0
; COMPUTE_PGM_RSRC2:USER_SGPR: 6
; COMPUTE_PGM_RSRC2:TRAP_HANDLER: 0
; COMPUTE_PGM_RSRC2:TGID_X_EN: 1
; COMPUTE_PGM_RSRC2:TGID_Y_EN: 0
; COMPUTE_PGM_RSRC2:TGID_Z_EN: 0
; COMPUTE_PGM_RSRC2:TIDIG_COMP_CNT: 0
; COMPUTE_PGM_RSRC3_GFX90A:ACCUM_OFFSET: 0
; COMPUTE_PGM_RSRC3_GFX90A:TG_SPLIT: 0
	.section	.text._ZN7rocprim17ROCPRIM_400000_NS6detail17trampoline_kernelINS0_14default_configENS1_27lower_bound_config_selectorItiEEZNS1_14transform_implILb0ES3_S5_N6thrust23THRUST_200600_302600_NS6detail15normal_iteratorINS8_10device_ptrItEEEENSA_INSB_IiEEEEZNS1_13binary_searchIS3_S5_SD_SD_SF_NS1_21lower_bound_search_opENS9_16wrapped_functionINS0_4lessIvEEbEEEE10hipError_tPvRmT1_T2_T3_mmT4_T5_P12ihipStream_tbEUlRKtE_EESM_SQ_SR_mSS_SV_bEUlT_E_NS1_11comp_targetILNS1_3genE5ELNS1_11target_archE942ELNS1_3gpuE9ELNS1_3repE0EEENS1_30default_config_static_selectorELNS0_4arch9wavefront6targetE1EEEvSP_,"axG",@progbits,_ZN7rocprim17ROCPRIM_400000_NS6detail17trampoline_kernelINS0_14default_configENS1_27lower_bound_config_selectorItiEEZNS1_14transform_implILb0ES3_S5_N6thrust23THRUST_200600_302600_NS6detail15normal_iteratorINS8_10device_ptrItEEEENSA_INSB_IiEEEEZNS1_13binary_searchIS3_S5_SD_SD_SF_NS1_21lower_bound_search_opENS9_16wrapped_functionINS0_4lessIvEEbEEEE10hipError_tPvRmT1_T2_T3_mmT4_T5_P12ihipStream_tbEUlRKtE_EESM_SQ_SR_mSS_SV_bEUlT_E_NS1_11comp_targetILNS1_3genE5ELNS1_11target_archE942ELNS1_3gpuE9ELNS1_3repE0EEENS1_30default_config_static_selectorELNS0_4arch9wavefront6targetE1EEEvSP_,comdat
	.protected	_ZN7rocprim17ROCPRIM_400000_NS6detail17trampoline_kernelINS0_14default_configENS1_27lower_bound_config_selectorItiEEZNS1_14transform_implILb0ES3_S5_N6thrust23THRUST_200600_302600_NS6detail15normal_iteratorINS8_10device_ptrItEEEENSA_INSB_IiEEEEZNS1_13binary_searchIS3_S5_SD_SD_SF_NS1_21lower_bound_search_opENS9_16wrapped_functionINS0_4lessIvEEbEEEE10hipError_tPvRmT1_T2_T3_mmT4_T5_P12ihipStream_tbEUlRKtE_EESM_SQ_SR_mSS_SV_bEUlT_E_NS1_11comp_targetILNS1_3genE5ELNS1_11target_archE942ELNS1_3gpuE9ELNS1_3repE0EEENS1_30default_config_static_selectorELNS0_4arch9wavefront6targetE1EEEvSP_ ; -- Begin function _ZN7rocprim17ROCPRIM_400000_NS6detail17trampoline_kernelINS0_14default_configENS1_27lower_bound_config_selectorItiEEZNS1_14transform_implILb0ES3_S5_N6thrust23THRUST_200600_302600_NS6detail15normal_iteratorINS8_10device_ptrItEEEENSA_INSB_IiEEEEZNS1_13binary_searchIS3_S5_SD_SD_SF_NS1_21lower_bound_search_opENS9_16wrapped_functionINS0_4lessIvEEbEEEE10hipError_tPvRmT1_T2_T3_mmT4_T5_P12ihipStream_tbEUlRKtE_EESM_SQ_SR_mSS_SV_bEUlT_E_NS1_11comp_targetILNS1_3genE5ELNS1_11target_archE942ELNS1_3gpuE9ELNS1_3repE0EEENS1_30default_config_static_selectorELNS0_4arch9wavefront6targetE1EEEvSP_
	.globl	_ZN7rocprim17ROCPRIM_400000_NS6detail17trampoline_kernelINS0_14default_configENS1_27lower_bound_config_selectorItiEEZNS1_14transform_implILb0ES3_S5_N6thrust23THRUST_200600_302600_NS6detail15normal_iteratorINS8_10device_ptrItEEEENSA_INSB_IiEEEEZNS1_13binary_searchIS3_S5_SD_SD_SF_NS1_21lower_bound_search_opENS9_16wrapped_functionINS0_4lessIvEEbEEEE10hipError_tPvRmT1_T2_T3_mmT4_T5_P12ihipStream_tbEUlRKtE_EESM_SQ_SR_mSS_SV_bEUlT_E_NS1_11comp_targetILNS1_3genE5ELNS1_11target_archE942ELNS1_3gpuE9ELNS1_3repE0EEENS1_30default_config_static_selectorELNS0_4arch9wavefront6targetE1EEEvSP_
	.p2align	8
	.type	_ZN7rocprim17ROCPRIM_400000_NS6detail17trampoline_kernelINS0_14default_configENS1_27lower_bound_config_selectorItiEEZNS1_14transform_implILb0ES3_S5_N6thrust23THRUST_200600_302600_NS6detail15normal_iteratorINS8_10device_ptrItEEEENSA_INSB_IiEEEEZNS1_13binary_searchIS3_S5_SD_SD_SF_NS1_21lower_bound_search_opENS9_16wrapped_functionINS0_4lessIvEEbEEEE10hipError_tPvRmT1_T2_T3_mmT4_T5_P12ihipStream_tbEUlRKtE_EESM_SQ_SR_mSS_SV_bEUlT_E_NS1_11comp_targetILNS1_3genE5ELNS1_11target_archE942ELNS1_3gpuE9ELNS1_3repE0EEENS1_30default_config_static_selectorELNS0_4arch9wavefront6targetE1EEEvSP_,@function
_ZN7rocprim17ROCPRIM_400000_NS6detail17trampoline_kernelINS0_14default_configENS1_27lower_bound_config_selectorItiEEZNS1_14transform_implILb0ES3_S5_N6thrust23THRUST_200600_302600_NS6detail15normal_iteratorINS8_10device_ptrItEEEENSA_INSB_IiEEEEZNS1_13binary_searchIS3_S5_SD_SD_SF_NS1_21lower_bound_search_opENS9_16wrapped_functionINS0_4lessIvEEbEEEE10hipError_tPvRmT1_T2_T3_mmT4_T5_P12ihipStream_tbEUlRKtE_EESM_SQ_SR_mSS_SV_bEUlT_E_NS1_11comp_targetILNS1_3genE5ELNS1_11target_archE942ELNS1_3gpuE9ELNS1_3repE0EEENS1_30default_config_static_selectorELNS0_4arch9wavefront6targetE1EEEvSP_: ; @_ZN7rocprim17ROCPRIM_400000_NS6detail17trampoline_kernelINS0_14default_configENS1_27lower_bound_config_selectorItiEEZNS1_14transform_implILb0ES3_S5_N6thrust23THRUST_200600_302600_NS6detail15normal_iteratorINS8_10device_ptrItEEEENSA_INSB_IiEEEEZNS1_13binary_searchIS3_S5_SD_SD_SF_NS1_21lower_bound_search_opENS9_16wrapped_functionINS0_4lessIvEEbEEEE10hipError_tPvRmT1_T2_T3_mmT4_T5_P12ihipStream_tbEUlRKtE_EESM_SQ_SR_mSS_SV_bEUlT_E_NS1_11comp_targetILNS1_3genE5ELNS1_11target_archE942ELNS1_3gpuE9ELNS1_3repE0EEENS1_30default_config_static_selectorELNS0_4arch9wavefront6targetE1EEEvSP_
; %bb.0:
	.section	.rodata,"a",@progbits
	.p2align	6, 0x0
	.amdhsa_kernel _ZN7rocprim17ROCPRIM_400000_NS6detail17trampoline_kernelINS0_14default_configENS1_27lower_bound_config_selectorItiEEZNS1_14transform_implILb0ES3_S5_N6thrust23THRUST_200600_302600_NS6detail15normal_iteratorINS8_10device_ptrItEEEENSA_INSB_IiEEEEZNS1_13binary_searchIS3_S5_SD_SD_SF_NS1_21lower_bound_search_opENS9_16wrapped_functionINS0_4lessIvEEbEEEE10hipError_tPvRmT1_T2_T3_mmT4_T5_P12ihipStream_tbEUlRKtE_EESM_SQ_SR_mSS_SV_bEUlT_E_NS1_11comp_targetILNS1_3genE5ELNS1_11target_archE942ELNS1_3gpuE9ELNS1_3repE0EEENS1_30default_config_static_selectorELNS0_4arch9wavefront6targetE1EEEvSP_
		.amdhsa_group_segment_fixed_size 0
		.amdhsa_private_segment_fixed_size 0
		.amdhsa_kernarg_size 56
		.amdhsa_user_sgpr_count 6
		.amdhsa_user_sgpr_private_segment_buffer 1
		.amdhsa_user_sgpr_dispatch_ptr 0
		.amdhsa_user_sgpr_queue_ptr 0
		.amdhsa_user_sgpr_kernarg_segment_ptr 1
		.amdhsa_user_sgpr_dispatch_id 0
		.amdhsa_user_sgpr_flat_scratch_init 0
		.amdhsa_user_sgpr_kernarg_preload_length 0
		.amdhsa_user_sgpr_kernarg_preload_offset 0
		.amdhsa_user_sgpr_private_segment_size 0
		.amdhsa_uses_dynamic_stack 0
		.amdhsa_system_sgpr_private_segment_wavefront_offset 0
		.amdhsa_system_sgpr_workgroup_id_x 1
		.amdhsa_system_sgpr_workgroup_id_y 0
		.amdhsa_system_sgpr_workgroup_id_z 0
		.amdhsa_system_sgpr_workgroup_info 0
		.amdhsa_system_vgpr_workitem_id 0
		.amdhsa_next_free_vgpr 1
		.amdhsa_next_free_sgpr 0
		.amdhsa_accum_offset 4
		.amdhsa_reserve_vcc 0
		.amdhsa_reserve_flat_scratch 0
		.amdhsa_float_round_mode_32 0
		.amdhsa_float_round_mode_16_64 0
		.amdhsa_float_denorm_mode_32 3
		.amdhsa_float_denorm_mode_16_64 3
		.amdhsa_dx10_clamp 1
		.amdhsa_ieee_mode 1
		.amdhsa_fp16_overflow 0
		.amdhsa_tg_split 0
		.amdhsa_exception_fp_ieee_invalid_op 0
		.amdhsa_exception_fp_denorm_src 0
		.amdhsa_exception_fp_ieee_div_zero 0
		.amdhsa_exception_fp_ieee_overflow 0
		.amdhsa_exception_fp_ieee_underflow 0
		.amdhsa_exception_fp_ieee_inexact 0
		.amdhsa_exception_int_div_zero 0
	.end_amdhsa_kernel
	.section	.text._ZN7rocprim17ROCPRIM_400000_NS6detail17trampoline_kernelINS0_14default_configENS1_27lower_bound_config_selectorItiEEZNS1_14transform_implILb0ES3_S5_N6thrust23THRUST_200600_302600_NS6detail15normal_iteratorINS8_10device_ptrItEEEENSA_INSB_IiEEEEZNS1_13binary_searchIS3_S5_SD_SD_SF_NS1_21lower_bound_search_opENS9_16wrapped_functionINS0_4lessIvEEbEEEE10hipError_tPvRmT1_T2_T3_mmT4_T5_P12ihipStream_tbEUlRKtE_EESM_SQ_SR_mSS_SV_bEUlT_E_NS1_11comp_targetILNS1_3genE5ELNS1_11target_archE942ELNS1_3gpuE9ELNS1_3repE0EEENS1_30default_config_static_selectorELNS0_4arch9wavefront6targetE1EEEvSP_,"axG",@progbits,_ZN7rocprim17ROCPRIM_400000_NS6detail17trampoline_kernelINS0_14default_configENS1_27lower_bound_config_selectorItiEEZNS1_14transform_implILb0ES3_S5_N6thrust23THRUST_200600_302600_NS6detail15normal_iteratorINS8_10device_ptrItEEEENSA_INSB_IiEEEEZNS1_13binary_searchIS3_S5_SD_SD_SF_NS1_21lower_bound_search_opENS9_16wrapped_functionINS0_4lessIvEEbEEEE10hipError_tPvRmT1_T2_T3_mmT4_T5_P12ihipStream_tbEUlRKtE_EESM_SQ_SR_mSS_SV_bEUlT_E_NS1_11comp_targetILNS1_3genE5ELNS1_11target_archE942ELNS1_3gpuE9ELNS1_3repE0EEENS1_30default_config_static_selectorELNS0_4arch9wavefront6targetE1EEEvSP_,comdat
.Lfunc_end292:
	.size	_ZN7rocprim17ROCPRIM_400000_NS6detail17trampoline_kernelINS0_14default_configENS1_27lower_bound_config_selectorItiEEZNS1_14transform_implILb0ES3_S5_N6thrust23THRUST_200600_302600_NS6detail15normal_iteratorINS8_10device_ptrItEEEENSA_INSB_IiEEEEZNS1_13binary_searchIS3_S5_SD_SD_SF_NS1_21lower_bound_search_opENS9_16wrapped_functionINS0_4lessIvEEbEEEE10hipError_tPvRmT1_T2_T3_mmT4_T5_P12ihipStream_tbEUlRKtE_EESM_SQ_SR_mSS_SV_bEUlT_E_NS1_11comp_targetILNS1_3genE5ELNS1_11target_archE942ELNS1_3gpuE9ELNS1_3repE0EEENS1_30default_config_static_selectorELNS0_4arch9wavefront6targetE1EEEvSP_, .Lfunc_end292-_ZN7rocprim17ROCPRIM_400000_NS6detail17trampoline_kernelINS0_14default_configENS1_27lower_bound_config_selectorItiEEZNS1_14transform_implILb0ES3_S5_N6thrust23THRUST_200600_302600_NS6detail15normal_iteratorINS8_10device_ptrItEEEENSA_INSB_IiEEEEZNS1_13binary_searchIS3_S5_SD_SD_SF_NS1_21lower_bound_search_opENS9_16wrapped_functionINS0_4lessIvEEbEEEE10hipError_tPvRmT1_T2_T3_mmT4_T5_P12ihipStream_tbEUlRKtE_EESM_SQ_SR_mSS_SV_bEUlT_E_NS1_11comp_targetILNS1_3genE5ELNS1_11target_archE942ELNS1_3gpuE9ELNS1_3repE0EEENS1_30default_config_static_selectorELNS0_4arch9wavefront6targetE1EEEvSP_
                                        ; -- End function
	.section	.AMDGPU.csdata,"",@progbits
; Kernel info:
; codeLenInByte = 0
; NumSgprs: 4
; NumVgprs: 0
; NumAgprs: 0
; TotalNumVgprs: 0
; ScratchSize: 0
; MemoryBound: 0
; FloatMode: 240
; IeeeMode: 1
; LDSByteSize: 0 bytes/workgroup (compile time only)
; SGPRBlocks: 0
; VGPRBlocks: 0
; NumSGPRsForWavesPerEU: 4
; NumVGPRsForWavesPerEU: 1
; AccumOffset: 4
; Occupancy: 8
; WaveLimiterHint : 0
; COMPUTE_PGM_RSRC2:SCRATCH_EN: 0
; COMPUTE_PGM_RSRC2:USER_SGPR: 6
; COMPUTE_PGM_RSRC2:TRAP_HANDLER: 0
; COMPUTE_PGM_RSRC2:TGID_X_EN: 1
; COMPUTE_PGM_RSRC2:TGID_Y_EN: 0
; COMPUTE_PGM_RSRC2:TGID_Z_EN: 0
; COMPUTE_PGM_RSRC2:TIDIG_COMP_CNT: 0
; COMPUTE_PGM_RSRC3_GFX90A:ACCUM_OFFSET: 0
; COMPUTE_PGM_RSRC3_GFX90A:TG_SPLIT: 0
	.section	.text._ZN7rocprim17ROCPRIM_400000_NS6detail17trampoline_kernelINS0_14default_configENS1_27lower_bound_config_selectorItiEEZNS1_14transform_implILb0ES3_S5_N6thrust23THRUST_200600_302600_NS6detail15normal_iteratorINS8_10device_ptrItEEEENSA_INSB_IiEEEEZNS1_13binary_searchIS3_S5_SD_SD_SF_NS1_21lower_bound_search_opENS9_16wrapped_functionINS0_4lessIvEEbEEEE10hipError_tPvRmT1_T2_T3_mmT4_T5_P12ihipStream_tbEUlRKtE_EESM_SQ_SR_mSS_SV_bEUlT_E_NS1_11comp_targetILNS1_3genE4ELNS1_11target_archE910ELNS1_3gpuE8ELNS1_3repE0EEENS1_30default_config_static_selectorELNS0_4arch9wavefront6targetE1EEEvSP_,"axG",@progbits,_ZN7rocprim17ROCPRIM_400000_NS6detail17trampoline_kernelINS0_14default_configENS1_27lower_bound_config_selectorItiEEZNS1_14transform_implILb0ES3_S5_N6thrust23THRUST_200600_302600_NS6detail15normal_iteratorINS8_10device_ptrItEEEENSA_INSB_IiEEEEZNS1_13binary_searchIS3_S5_SD_SD_SF_NS1_21lower_bound_search_opENS9_16wrapped_functionINS0_4lessIvEEbEEEE10hipError_tPvRmT1_T2_T3_mmT4_T5_P12ihipStream_tbEUlRKtE_EESM_SQ_SR_mSS_SV_bEUlT_E_NS1_11comp_targetILNS1_3genE4ELNS1_11target_archE910ELNS1_3gpuE8ELNS1_3repE0EEENS1_30default_config_static_selectorELNS0_4arch9wavefront6targetE1EEEvSP_,comdat
	.protected	_ZN7rocprim17ROCPRIM_400000_NS6detail17trampoline_kernelINS0_14default_configENS1_27lower_bound_config_selectorItiEEZNS1_14transform_implILb0ES3_S5_N6thrust23THRUST_200600_302600_NS6detail15normal_iteratorINS8_10device_ptrItEEEENSA_INSB_IiEEEEZNS1_13binary_searchIS3_S5_SD_SD_SF_NS1_21lower_bound_search_opENS9_16wrapped_functionINS0_4lessIvEEbEEEE10hipError_tPvRmT1_T2_T3_mmT4_T5_P12ihipStream_tbEUlRKtE_EESM_SQ_SR_mSS_SV_bEUlT_E_NS1_11comp_targetILNS1_3genE4ELNS1_11target_archE910ELNS1_3gpuE8ELNS1_3repE0EEENS1_30default_config_static_selectorELNS0_4arch9wavefront6targetE1EEEvSP_ ; -- Begin function _ZN7rocprim17ROCPRIM_400000_NS6detail17trampoline_kernelINS0_14default_configENS1_27lower_bound_config_selectorItiEEZNS1_14transform_implILb0ES3_S5_N6thrust23THRUST_200600_302600_NS6detail15normal_iteratorINS8_10device_ptrItEEEENSA_INSB_IiEEEEZNS1_13binary_searchIS3_S5_SD_SD_SF_NS1_21lower_bound_search_opENS9_16wrapped_functionINS0_4lessIvEEbEEEE10hipError_tPvRmT1_T2_T3_mmT4_T5_P12ihipStream_tbEUlRKtE_EESM_SQ_SR_mSS_SV_bEUlT_E_NS1_11comp_targetILNS1_3genE4ELNS1_11target_archE910ELNS1_3gpuE8ELNS1_3repE0EEENS1_30default_config_static_selectorELNS0_4arch9wavefront6targetE1EEEvSP_
	.globl	_ZN7rocprim17ROCPRIM_400000_NS6detail17trampoline_kernelINS0_14default_configENS1_27lower_bound_config_selectorItiEEZNS1_14transform_implILb0ES3_S5_N6thrust23THRUST_200600_302600_NS6detail15normal_iteratorINS8_10device_ptrItEEEENSA_INSB_IiEEEEZNS1_13binary_searchIS3_S5_SD_SD_SF_NS1_21lower_bound_search_opENS9_16wrapped_functionINS0_4lessIvEEbEEEE10hipError_tPvRmT1_T2_T3_mmT4_T5_P12ihipStream_tbEUlRKtE_EESM_SQ_SR_mSS_SV_bEUlT_E_NS1_11comp_targetILNS1_3genE4ELNS1_11target_archE910ELNS1_3gpuE8ELNS1_3repE0EEENS1_30default_config_static_selectorELNS0_4arch9wavefront6targetE1EEEvSP_
	.p2align	8
	.type	_ZN7rocprim17ROCPRIM_400000_NS6detail17trampoline_kernelINS0_14default_configENS1_27lower_bound_config_selectorItiEEZNS1_14transform_implILb0ES3_S5_N6thrust23THRUST_200600_302600_NS6detail15normal_iteratorINS8_10device_ptrItEEEENSA_INSB_IiEEEEZNS1_13binary_searchIS3_S5_SD_SD_SF_NS1_21lower_bound_search_opENS9_16wrapped_functionINS0_4lessIvEEbEEEE10hipError_tPvRmT1_T2_T3_mmT4_T5_P12ihipStream_tbEUlRKtE_EESM_SQ_SR_mSS_SV_bEUlT_E_NS1_11comp_targetILNS1_3genE4ELNS1_11target_archE910ELNS1_3gpuE8ELNS1_3repE0EEENS1_30default_config_static_selectorELNS0_4arch9wavefront6targetE1EEEvSP_,@function
_ZN7rocprim17ROCPRIM_400000_NS6detail17trampoline_kernelINS0_14default_configENS1_27lower_bound_config_selectorItiEEZNS1_14transform_implILb0ES3_S5_N6thrust23THRUST_200600_302600_NS6detail15normal_iteratorINS8_10device_ptrItEEEENSA_INSB_IiEEEEZNS1_13binary_searchIS3_S5_SD_SD_SF_NS1_21lower_bound_search_opENS9_16wrapped_functionINS0_4lessIvEEbEEEE10hipError_tPvRmT1_T2_T3_mmT4_T5_P12ihipStream_tbEUlRKtE_EESM_SQ_SR_mSS_SV_bEUlT_E_NS1_11comp_targetILNS1_3genE4ELNS1_11target_archE910ELNS1_3gpuE8ELNS1_3repE0EEENS1_30default_config_static_selectorELNS0_4arch9wavefront6targetE1EEEvSP_: ; @_ZN7rocprim17ROCPRIM_400000_NS6detail17trampoline_kernelINS0_14default_configENS1_27lower_bound_config_selectorItiEEZNS1_14transform_implILb0ES3_S5_N6thrust23THRUST_200600_302600_NS6detail15normal_iteratorINS8_10device_ptrItEEEENSA_INSB_IiEEEEZNS1_13binary_searchIS3_S5_SD_SD_SF_NS1_21lower_bound_search_opENS9_16wrapped_functionINS0_4lessIvEEbEEEE10hipError_tPvRmT1_T2_T3_mmT4_T5_P12ihipStream_tbEUlRKtE_EESM_SQ_SR_mSS_SV_bEUlT_E_NS1_11comp_targetILNS1_3genE4ELNS1_11target_archE910ELNS1_3gpuE8ELNS1_3repE0EEENS1_30default_config_static_selectorELNS0_4arch9wavefront6targetE1EEEvSP_
; %bb.0:
	s_load_dwordx4 s[16:19], s[4:5], 0x0
	s_load_dwordx4 s[0:3], s[4:5], 0x18
	s_load_dwordx2 s[10:11], s[4:5], 0x28
	s_load_dword s15, s[4:5], 0x38
	s_waitcnt lgkmcnt(0)
	s_lshl_b64 s[8:9], s[18:19], 1
	s_add_u32 s7, s16, s8
	s_addc_u32 s14, s17, s9
	s_lshl_b64 s[8:9], s[18:19], 2
	s_add_u32 s12, s0, s8
	s_addc_u32 s13, s1, s9
	s_lshl_b32 s8, s6, 8
	s_add_i32 s15, s15, -1
	s_mov_b32 s9, 0
	s_cmp_lg_u32 s6, s15
	s_mov_b64 s[0:1], -1
	s_cbranch_scc0 .LBB293_6
; %bb.1:
	v_mov_b32_e32 v2, 0
	s_cmp_eq_u64 s[10:11], 0
	s_mov_b64 s[0:1], 0
	s_cbranch_scc1 .LBB293_5
; %bb.2:
	s_lshl_b64 s[16:17], s[8:9], 1
	s_add_u32 s6, s7, s16
	s_addc_u32 s15, s14, s17
	v_lshlrev_b32_e32 v1, 1, v0
	v_mov_b32_e32 v3, s15
	v_add_co_u32_e32 v2, vcc, s6, v1
	v_addc_co_u32_e32 v3, vcc, 0, v3, vcc
	flat_load_ushort v1, v[2:3]
	v_pk_mov_b32 v[2:3], 0, 0
	v_pk_mov_b32 v[4:5], s[10:11], s[10:11] op_sel:[0,1]
	v_mov_b32_e32 v6, s3
.LBB293_3:                              ; =>This Inner Loop Header: Depth=1
	v_sub_co_u32_e32 v8, vcc, v4, v2
	v_subb_co_u32_e32 v9, vcc, v5, v3, vcc
	v_lshrrev_b64 v[10:11], 1, v[8:9]
	v_add_co_u32_e32 v7, vcc, v10, v2
	v_lshrrev_b64 v[8:9], 6, v[8:9]
	v_addc_co_u32_e32 v10, vcc, v11, v3, vcc
	v_add_co_u32_e32 v8, vcc, v7, v8
	v_addc_co_u32_e32 v9, vcc, v10, v9, vcc
	v_lshlrev_b64 v[10:11], 1, v[8:9]
	v_add_co_u32_e32 v10, vcc, s2, v10
	v_addc_co_u32_e32 v11, vcc, v6, v11, vcc
	global_load_ushort v7, v[10:11], off
	v_add_co_u32_e32 v10, vcc, 1, v8
	v_addc_co_u32_e32 v11, vcc, 0, v9, vcc
	s_waitcnt vmcnt(0) lgkmcnt(0)
	v_cmp_lt_u16_e32 vcc, v7, v1
	v_cndmask_b32_e32 v5, v9, v5, vcc
	v_cndmask_b32_e32 v4, v8, v4, vcc
	;; [unrolled: 1-line block ×4, first 2 shown]
	v_cmp_ge_u64_e32 vcc, v[2:3], v[4:5]
	s_or_b64 s[0:1], vcc, s[0:1]
	s_andn2_b64 exec, exec, s[0:1]
	s_cbranch_execnz .LBB293_3
; %bb.4:
	s_or_b64 exec, exec, s[0:1]
.LBB293_5:
	s_lshl_b64 s[0:1], s[8:9], 2
	s_add_u32 s0, s12, s0
	s_addc_u32 s1, s13, s1
	v_lshlrev_b32_e32 v1, 2, v0
	v_mov_b32_e32 v3, s1
	v_add_co_u32_e32 v4, vcc, s0, v1
	v_addc_co_u32_e32 v5, vcc, 0, v3, vcc
	s_mov_b64 s[0:1], 0
	flat_store_dword v[4:5], v2
.LBB293_6:
	s_and_b64 vcc, exec, s[0:1]
	s_cbranch_vccz .LBB293_11
; %bb.7:
	s_load_dword s0, s[4:5], 0x10
                                        ; implicit-def: $vgpr1
	s_waitcnt lgkmcnt(0)
	s_sub_i32 s0, s0, s8
	v_cmp_gt_u32_e32 vcc, s0, v0
	s_and_saveexec_b64 s[4:5], vcc
	s_cbranch_execnz .LBB293_12
; %bb.8:
	s_or_b64 exec, exec, s[4:5]
                                        ; implicit-def: $vgpr2
	s_and_saveexec_b64 s[4:5], vcc
	s_cbranch_execnz .LBB293_13
.LBB293_9:
	s_or_b64 exec, exec, s[4:5]
	s_and_saveexec_b64 s[0:1], vcc
	s_cbranch_execz .LBB293_11
.LBB293_10:
	s_lshl_b64 s[0:1], s[8:9], 2
	s_add_u32 s0, s12, s0
	s_addc_u32 s1, s13, s1
	v_lshlrev_b32_e32 v0, 2, v0
	s_waitcnt vmcnt(0) lgkmcnt(0)
	v_mov_b32_e32 v1, s1
	v_add_co_u32_e32 v0, vcc, s0, v0
	v_addc_co_u32_e32 v1, vcc, 0, v1, vcc
	flat_store_dword v[0:1], v2
.LBB293_11:
	s_endpgm
.LBB293_12:
	s_lshl_b64 s[0:1], s[8:9], 1
	s_add_u32 s0, s7, s0
	s_addc_u32 s1, s14, s1
	v_lshlrev_b32_e32 v1, 1, v0
	v_mov_b32_e32 v3, s1
	v_add_co_u32_e64 v2, s[0:1], s0, v1
	v_addc_co_u32_e64 v3, s[0:1], 0, v3, s[0:1]
	flat_load_ushort v1, v[2:3]
	s_or_b64 exec, exec, s[4:5]
                                        ; implicit-def: $vgpr2
	s_and_saveexec_b64 s[4:5], vcc
	s_cbranch_execz .LBB293_9
.LBB293_13:
	s_cmp_eq_u64 s[10:11], 0
	s_mov_b64 s[6:7], 0
	s_cbranch_scc1 .LBB293_17
; %bb.14:
	v_pk_mov_b32 v[2:3], 0, 0
	v_pk_mov_b32 v[4:5], s[10:11], s[10:11] op_sel:[0,1]
	v_mov_b32_e32 v6, s3
.LBB293_15:                             ; =>This Inner Loop Header: Depth=1
	v_sub_co_u32_e64 v8, s[0:1], v4, v2
	v_subb_co_u32_e64 v9, s[0:1], v5, v3, s[0:1]
	v_lshrrev_b64 v[10:11], 1, v[8:9]
	v_add_co_u32_e64 v7, s[0:1], v10, v2
	v_lshrrev_b64 v[8:9], 6, v[8:9]
	v_addc_co_u32_e64 v10, s[0:1], v11, v3, s[0:1]
	v_add_co_u32_e64 v8, s[0:1], v7, v8
	v_addc_co_u32_e64 v9, s[0:1], v10, v9, s[0:1]
	v_lshlrev_b64 v[10:11], 1, v[8:9]
	v_add_co_u32_e64 v10, s[0:1], s2, v10
	v_addc_co_u32_e64 v11, s[0:1], v6, v11, s[0:1]
	global_load_ushort v7, v[10:11], off
	v_add_co_u32_e64 v10, s[0:1], 1, v8
	v_addc_co_u32_e64 v11, s[0:1], 0, v9, s[0:1]
	s_waitcnt vmcnt(0) lgkmcnt(0)
	v_cmp_lt_u16_e64 s[0:1], v7, v1
	v_cndmask_b32_e64 v5, v9, v5, s[0:1]
	v_cndmask_b32_e64 v4, v8, v4, s[0:1]
	;; [unrolled: 1-line block ×4, first 2 shown]
	v_cmp_ge_u64_e64 s[0:1], v[2:3], v[4:5]
	s_or_b64 s[6:7], s[0:1], s[6:7]
	s_andn2_b64 exec, exec, s[6:7]
	s_cbranch_execnz .LBB293_15
; %bb.16:
	s_or_b64 exec, exec, s[6:7]
	s_or_b64 exec, exec, s[4:5]
	s_and_saveexec_b64 s[0:1], vcc
	s_cbranch_execnz .LBB293_10
	s_branch .LBB293_11
.LBB293_17:
	v_mov_b32_e32 v2, 0
	s_or_b64 exec, exec, s[4:5]
	s_and_saveexec_b64 s[0:1], vcc
	s_cbranch_execnz .LBB293_10
	s_branch .LBB293_11
	.section	.rodata,"a",@progbits
	.p2align	6, 0x0
	.amdhsa_kernel _ZN7rocprim17ROCPRIM_400000_NS6detail17trampoline_kernelINS0_14default_configENS1_27lower_bound_config_selectorItiEEZNS1_14transform_implILb0ES3_S5_N6thrust23THRUST_200600_302600_NS6detail15normal_iteratorINS8_10device_ptrItEEEENSA_INSB_IiEEEEZNS1_13binary_searchIS3_S5_SD_SD_SF_NS1_21lower_bound_search_opENS9_16wrapped_functionINS0_4lessIvEEbEEEE10hipError_tPvRmT1_T2_T3_mmT4_T5_P12ihipStream_tbEUlRKtE_EESM_SQ_SR_mSS_SV_bEUlT_E_NS1_11comp_targetILNS1_3genE4ELNS1_11target_archE910ELNS1_3gpuE8ELNS1_3repE0EEENS1_30default_config_static_selectorELNS0_4arch9wavefront6targetE1EEEvSP_
		.amdhsa_group_segment_fixed_size 0
		.amdhsa_private_segment_fixed_size 0
		.amdhsa_kernarg_size 312
		.amdhsa_user_sgpr_count 6
		.amdhsa_user_sgpr_private_segment_buffer 1
		.amdhsa_user_sgpr_dispatch_ptr 0
		.amdhsa_user_sgpr_queue_ptr 0
		.amdhsa_user_sgpr_kernarg_segment_ptr 1
		.amdhsa_user_sgpr_dispatch_id 0
		.amdhsa_user_sgpr_flat_scratch_init 0
		.amdhsa_user_sgpr_kernarg_preload_length 0
		.amdhsa_user_sgpr_kernarg_preload_offset 0
		.amdhsa_user_sgpr_private_segment_size 0
		.amdhsa_uses_dynamic_stack 0
		.amdhsa_system_sgpr_private_segment_wavefront_offset 0
		.amdhsa_system_sgpr_workgroup_id_x 1
		.amdhsa_system_sgpr_workgroup_id_y 0
		.amdhsa_system_sgpr_workgroup_id_z 0
		.amdhsa_system_sgpr_workgroup_info 0
		.amdhsa_system_vgpr_workitem_id 0
		.amdhsa_next_free_vgpr 12
		.amdhsa_next_free_sgpr 20
		.amdhsa_accum_offset 12
		.amdhsa_reserve_vcc 1
		.amdhsa_reserve_flat_scratch 0
		.amdhsa_float_round_mode_32 0
		.amdhsa_float_round_mode_16_64 0
		.amdhsa_float_denorm_mode_32 3
		.amdhsa_float_denorm_mode_16_64 3
		.amdhsa_dx10_clamp 1
		.amdhsa_ieee_mode 1
		.amdhsa_fp16_overflow 0
		.amdhsa_tg_split 0
		.amdhsa_exception_fp_ieee_invalid_op 0
		.amdhsa_exception_fp_denorm_src 0
		.amdhsa_exception_fp_ieee_div_zero 0
		.amdhsa_exception_fp_ieee_overflow 0
		.amdhsa_exception_fp_ieee_underflow 0
		.amdhsa_exception_fp_ieee_inexact 0
		.amdhsa_exception_int_div_zero 0
	.end_amdhsa_kernel
	.section	.text._ZN7rocprim17ROCPRIM_400000_NS6detail17trampoline_kernelINS0_14default_configENS1_27lower_bound_config_selectorItiEEZNS1_14transform_implILb0ES3_S5_N6thrust23THRUST_200600_302600_NS6detail15normal_iteratorINS8_10device_ptrItEEEENSA_INSB_IiEEEEZNS1_13binary_searchIS3_S5_SD_SD_SF_NS1_21lower_bound_search_opENS9_16wrapped_functionINS0_4lessIvEEbEEEE10hipError_tPvRmT1_T2_T3_mmT4_T5_P12ihipStream_tbEUlRKtE_EESM_SQ_SR_mSS_SV_bEUlT_E_NS1_11comp_targetILNS1_3genE4ELNS1_11target_archE910ELNS1_3gpuE8ELNS1_3repE0EEENS1_30default_config_static_selectorELNS0_4arch9wavefront6targetE1EEEvSP_,"axG",@progbits,_ZN7rocprim17ROCPRIM_400000_NS6detail17trampoline_kernelINS0_14default_configENS1_27lower_bound_config_selectorItiEEZNS1_14transform_implILb0ES3_S5_N6thrust23THRUST_200600_302600_NS6detail15normal_iteratorINS8_10device_ptrItEEEENSA_INSB_IiEEEEZNS1_13binary_searchIS3_S5_SD_SD_SF_NS1_21lower_bound_search_opENS9_16wrapped_functionINS0_4lessIvEEbEEEE10hipError_tPvRmT1_T2_T3_mmT4_T5_P12ihipStream_tbEUlRKtE_EESM_SQ_SR_mSS_SV_bEUlT_E_NS1_11comp_targetILNS1_3genE4ELNS1_11target_archE910ELNS1_3gpuE8ELNS1_3repE0EEENS1_30default_config_static_selectorELNS0_4arch9wavefront6targetE1EEEvSP_,comdat
.Lfunc_end293:
	.size	_ZN7rocprim17ROCPRIM_400000_NS6detail17trampoline_kernelINS0_14default_configENS1_27lower_bound_config_selectorItiEEZNS1_14transform_implILb0ES3_S5_N6thrust23THRUST_200600_302600_NS6detail15normal_iteratorINS8_10device_ptrItEEEENSA_INSB_IiEEEEZNS1_13binary_searchIS3_S5_SD_SD_SF_NS1_21lower_bound_search_opENS9_16wrapped_functionINS0_4lessIvEEbEEEE10hipError_tPvRmT1_T2_T3_mmT4_T5_P12ihipStream_tbEUlRKtE_EESM_SQ_SR_mSS_SV_bEUlT_E_NS1_11comp_targetILNS1_3genE4ELNS1_11target_archE910ELNS1_3gpuE8ELNS1_3repE0EEENS1_30default_config_static_selectorELNS0_4arch9wavefront6targetE1EEEvSP_, .Lfunc_end293-_ZN7rocprim17ROCPRIM_400000_NS6detail17trampoline_kernelINS0_14default_configENS1_27lower_bound_config_selectorItiEEZNS1_14transform_implILb0ES3_S5_N6thrust23THRUST_200600_302600_NS6detail15normal_iteratorINS8_10device_ptrItEEEENSA_INSB_IiEEEEZNS1_13binary_searchIS3_S5_SD_SD_SF_NS1_21lower_bound_search_opENS9_16wrapped_functionINS0_4lessIvEEbEEEE10hipError_tPvRmT1_T2_T3_mmT4_T5_P12ihipStream_tbEUlRKtE_EESM_SQ_SR_mSS_SV_bEUlT_E_NS1_11comp_targetILNS1_3genE4ELNS1_11target_archE910ELNS1_3gpuE8ELNS1_3repE0EEENS1_30default_config_static_selectorELNS0_4arch9wavefront6targetE1EEEvSP_
                                        ; -- End function
	.section	.AMDGPU.csdata,"",@progbits
; Kernel info:
; codeLenInByte = 720
; NumSgprs: 24
; NumVgprs: 12
; NumAgprs: 0
; TotalNumVgprs: 12
; ScratchSize: 0
; MemoryBound: 0
; FloatMode: 240
; IeeeMode: 1
; LDSByteSize: 0 bytes/workgroup (compile time only)
; SGPRBlocks: 2
; VGPRBlocks: 1
; NumSGPRsForWavesPerEU: 24
; NumVGPRsForWavesPerEU: 12
; AccumOffset: 12
; Occupancy: 8
; WaveLimiterHint : 0
; COMPUTE_PGM_RSRC2:SCRATCH_EN: 0
; COMPUTE_PGM_RSRC2:USER_SGPR: 6
; COMPUTE_PGM_RSRC2:TRAP_HANDLER: 0
; COMPUTE_PGM_RSRC2:TGID_X_EN: 1
; COMPUTE_PGM_RSRC2:TGID_Y_EN: 0
; COMPUTE_PGM_RSRC2:TGID_Z_EN: 0
; COMPUTE_PGM_RSRC2:TIDIG_COMP_CNT: 0
; COMPUTE_PGM_RSRC3_GFX90A:ACCUM_OFFSET: 2
; COMPUTE_PGM_RSRC3_GFX90A:TG_SPLIT: 0
	.section	.text._ZN7rocprim17ROCPRIM_400000_NS6detail17trampoline_kernelINS0_14default_configENS1_27lower_bound_config_selectorItiEEZNS1_14transform_implILb0ES3_S5_N6thrust23THRUST_200600_302600_NS6detail15normal_iteratorINS8_10device_ptrItEEEENSA_INSB_IiEEEEZNS1_13binary_searchIS3_S5_SD_SD_SF_NS1_21lower_bound_search_opENS9_16wrapped_functionINS0_4lessIvEEbEEEE10hipError_tPvRmT1_T2_T3_mmT4_T5_P12ihipStream_tbEUlRKtE_EESM_SQ_SR_mSS_SV_bEUlT_E_NS1_11comp_targetILNS1_3genE3ELNS1_11target_archE908ELNS1_3gpuE7ELNS1_3repE0EEENS1_30default_config_static_selectorELNS0_4arch9wavefront6targetE1EEEvSP_,"axG",@progbits,_ZN7rocprim17ROCPRIM_400000_NS6detail17trampoline_kernelINS0_14default_configENS1_27lower_bound_config_selectorItiEEZNS1_14transform_implILb0ES3_S5_N6thrust23THRUST_200600_302600_NS6detail15normal_iteratorINS8_10device_ptrItEEEENSA_INSB_IiEEEEZNS1_13binary_searchIS3_S5_SD_SD_SF_NS1_21lower_bound_search_opENS9_16wrapped_functionINS0_4lessIvEEbEEEE10hipError_tPvRmT1_T2_T3_mmT4_T5_P12ihipStream_tbEUlRKtE_EESM_SQ_SR_mSS_SV_bEUlT_E_NS1_11comp_targetILNS1_3genE3ELNS1_11target_archE908ELNS1_3gpuE7ELNS1_3repE0EEENS1_30default_config_static_selectorELNS0_4arch9wavefront6targetE1EEEvSP_,comdat
	.protected	_ZN7rocprim17ROCPRIM_400000_NS6detail17trampoline_kernelINS0_14default_configENS1_27lower_bound_config_selectorItiEEZNS1_14transform_implILb0ES3_S5_N6thrust23THRUST_200600_302600_NS6detail15normal_iteratorINS8_10device_ptrItEEEENSA_INSB_IiEEEEZNS1_13binary_searchIS3_S5_SD_SD_SF_NS1_21lower_bound_search_opENS9_16wrapped_functionINS0_4lessIvEEbEEEE10hipError_tPvRmT1_T2_T3_mmT4_T5_P12ihipStream_tbEUlRKtE_EESM_SQ_SR_mSS_SV_bEUlT_E_NS1_11comp_targetILNS1_3genE3ELNS1_11target_archE908ELNS1_3gpuE7ELNS1_3repE0EEENS1_30default_config_static_selectorELNS0_4arch9wavefront6targetE1EEEvSP_ ; -- Begin function _ZN7rocprim17ROCPRIM_400000_NS6detail17trampoline_kernelINS0_14default_configENS1_27lower_bound_config_selectorItiEEZNS1_14transform_implILb0ES3_S5_N6thrust23THRUST_200600_302600_NS6detail15normal_iteratorINS8_10device_ptrItEEEENSA_INSB_IiEEEEZNS1_13binary_searchIS3_S5_SD_SD_SF_NS1_21lower_bound_search_opENS9_16wrapped_functionINS0_4lessIvEEbEEEE10hipError_tPvRmT1_T2_T3_mmT4_T5_P12ihipStream_tbEUlRKtE_EESM_SQ_SR_mSS_SV_bEUlT_E_NS1_11comp_targetILNS1_3genE3ELNS1_11target_archE908ELNS1_3gpuE7ELNS1_3repE0EEENS1_30default_config_static_selectorELNS0_4arch9wavefront6targetE1EEEvSP_
	.globl	_ZN7rocprim17ROCPRIM_400000_NS6detail17trampoline_kernelINS0_14default_configENS1_27lower_bound_config_selectorItiEEZNS1_14transform_implILb0ES3_S5_N6thrust23THRUST_200600_302600_NS6detail15normal_iteratorINS8_10device_ptrItEEEENSA_INSB_IiEEEEZNS1_13binary_searchIS3_S5_SD_SD_SF_NS1_21lower_bound_search_opENS9_16wrapped_functionINS0_4lessIvEEbEEEE10hipError_tPvRmT1_T2_T3_mmT4_T5_P12ihipStream_tbEUlRKtE_EESM_SQ_SR_mSS_SV_bEUlT_E_NS1_11comp_targetILNS1_3genE3ELNS1_11target_archE908ELNS1_3gpuE7ELNS1_3repE0EEENS1_30default_config_static_selectorELNS0_4arch9wavefront6targetE1EEEvSP_
	.p2align	8
	.type	_ZN7rocprim17ROCPRIM_400000_NS6detail17trampoline_kernelINS0_14default_configENS1_27lower_bound_config_selectorItiEEZNS1_14transform_implILb0ES3_S5_N6thrust23THRUST_200600_302600_NS6detail15normal_iteratorINS8_10device_ptrItEEEENSA_INSB_IiEEEEZNS1_13binary_searchIS3_S5_SD_SD_SF_NS1_21lower_bound_search_opENS9_16wrapped_functionINS0_4lessIvEEbEEEE10hipError_tPvRmT1_T2_T3_mmT4_T5_P12ihipStream_tbEUlRKtE_EESM_SQ_SR_mSS_SV_bEUlT_E_NS1_11comp_targetILNS1_3genE3ELNS1_11target_archE908ELNS1_3gpuE7ELNS1_3repE0EEENS1_30default_config_static_selectorELNS0_4arch9wavefront6targetE1EEEvSP_,@function
_ZN7rocprim17ROCPRIM_400000_NS6detail17trampoline_kernelINS0_14default_configENS1_27lower_bound_config_selectorItiEEZNS1_14transform_implILb0ES3_S5_N6thrust23THRUST_200600_302600_NS6detail15normal_iteratorINS8_10device_ptrItEEEENSA_INSB_IiEEEEZNS1_13binary_searchIS3_S5_SD_SD_SF_NS1_21lower_bound_search_opENS9_16wrapped_functionINS0_4lessIvEEbEEEE10hipError_tPvRmT1_T2_T3_mmT4_T5_P12ihipStream_tbEUlRKtE_EESM_SQ_SR_mSS_SV_bEUlT_E_NS1_11comp_targetILNS1_3genE3ELNS1_11target_archE908ELNS1_3gpuE7ELNS1_3repE0EEENS1_30default_config_static_selectorELNS0_4arch9wavefront6targetE1EEEvSP_: ; @_ZN7rocprim17ROCPRIM_400000_NS6detail17trampoline_kernelINS0_14default_configENS1_27lower_bound_config_selectorItiEEZNS1_14transform_implILb0ES3_S5_N6thrust23THRUST_200600_302600_NS6detail15normal_iteratorINS8_10device_ptrItEEEENSA_INSB_IiEEEEZNS1_13binary_searchIS3_S5_SD_SD_SF_NS1_21lower_bound_search_opENS9_16wrapped_functionINS0_4lessIvEEbEEEE10hipError_tPvRmT1_T2_T3_mmT4_T5_P12ihipStream_tbEUlRKtE_EESM_SQ_SR_mSS_SV_bEUlT_E_NS1_11comp_targetILNS1_3genE3ELNS1_11target_archE908ELNS1_3gpuE7ELNS1_3repE0EEENS1_30default_config_static_selectorELNS0_4arch9wavefront6targetE1EEEvSP_
; %bb.0:
	.section	.rodata,"a",@progbits
	.p2align	6, 0x0
	.amdhsa_kernel _ZN7rocprim17ROCPRIM_400000_NS6detail17trampoline_kernelINS0_14default_configENS1_27lower_bound_config_selectorItiEEZNS1_14transform_implILb0ES3_S5_N6thrust23THRUST_200600_302600_NS6detail15normal_iteratorINS8_10device_ptrItEEEENSA_INSB_IiEEEEZNS1_13binary_searchIS3_S5_SD_SD_SF_NS1_21lower_bound_search_opENS9_16wrapped_functionINS0_4lessIvEEbEEEE10hipError_tPvRmT1_T2_T3_mmT4_T5_P12ihipStream_tbEUlRKtE_EESM_SQ_SR_mSS_SV_bEUlT_E_NS1_11comp_targetILNS1_3genE3ELNS1_11target_archE908ELNS1_3gpuE7ELNS1_3repE0EEENS1_30default_config_static_selectorELNS0_4arch9wavefront6targetE1EEEvSP_
		.amdhsa_group_segment_fixed_size 0
		.amdhsa_private_segment_fixed_size 0
		.amdhsa_kernarg_size 56
		.amdhsa_user_sgpr_count 6
		.amdhsa_user_sgpr_private_segment_buffer 1
		.amdhsa_user_sgpr_dispatch_ptr 0
		.amdhsa_user_sgpr_queue_ptr 0
		.amdhsa_user_sgpr_kernarg_segment_ptr 1
		.amdhsa_user_sgpr_dispatch_id 0
		.amdhsa_user_sgpr_flat_scratch_init 0
		.amdhsa_user_sgpr_kernarg_preload_length 0
		.amdhsa_user_sgpr_kernarg_preload_offset 0
		.amdhsa_user_sgpr_private_segment_size 0
		.amdhsa_uses_dynamic_stack 0
		.amdhsa_system_sgpr_private_segment_wavefront_offset 0
		.amdhsa_system_sgpr_workgroup_id_x 1
		.amdhsa_system_sgpr_workgroup_id_y 0
		.amdhsa_system_sgpr_workgroup_id_z 0
		.amdhsa_system_sgpr_workgroup_info 0
		.amdhsa_system_vgpr_workitem_id 0
		.amdhsa_next_free_vgpr 1
		.amdhsa_next_free_sgpr 0
		.amdhsa_accum_offset 4
		.amdhsa_reserve_vcc 0
		.amdhsa_reserve_flat_scratch 0
		.amdhsa_float_round_mode_32 0
		.amdhsa_float_round_mode_16_64 0
		.amdhsa_float_denorm_mode_32 3
		.amdhsa_float_denorm_mode_16_64 3
		.amdhsa_dx10_clamp 1
		.amdhsa_ieee_mode 1
		.amdhsa_fp16_overflow 0
		.amdhsa_tg_split 0
		.amdhsa_exception_fp_ieee_invalid_op 0
		.amdhsa_exception_fp_denorm_src 0
		.amdhsa_exception_fp_ieee_div_zero 0
		.amdhsa_exception_fp_ieee_overflow 0
		.amdhsa_exception_fp_ieee_underflow 0
		.amdhsa_exception_fp_ieee_inexact 0
		.amdhsa_exception_int_div_zero 0
	.end_amdhsa_kernel
	.section	.text._ZN7rocprim17ROCPRIM_400000_NS6detail17trampoline_kernelINS0_14default_configENS1_27lower_bound_config_selectorItiEEZNS1_14transform_implILb0ES3_S5_N6thrust23THRUST_200600_302600_NS6detail15normal_iteratorINS8_10device_ptrItEEEENSA_INSB_IiEEEEZNS1_13binary_searchIS3_S5_SD_SD_SF_NS1_21lower_bound_search_opENS9_16wrapped_functionINS0_4lessIvEEbEEEE10hipError_tPvRmT1_T2_T3_mmT4_T5_P12ihipStream_tbEUlRKtE_EESM_SQ_SR_mSS_SV_bEUlT_E_NS1_11comp_targetILNS1_3genE3ELNS1_11target_archE908ELNS1_3gpuE7ELNS1_3repE0EEENS1_30default_config_static_selectorELNS0_4arch9wavefront6targetE1EEEvSP_,"axG",@progbits,_ZN7rocprim17ROCPRIM_400000_NS6detail17trampoline_kernelINS0_14default_configENS1_27lower_bound_config_selectorItiEEZNS1_14transform_implILb0ES3_S5_N6thrust23THRUST_200600_302600_NS6detail15normal_iteratorINS8_10device_ptrItEEEENSA_INSB_IiEEEEZNS1_13binary_searchIS3_S5_SD_SD_SF_NS1_21lower_bound_search_opENS9_16wrapped_functionINS0_4lessIvEEbEEEE10hipError_tPvRmT1_T2_T3_mmT4_T5_P12ihipStream_tbEUlRKtE_EESM_SQ_SR_mSS_SV_bEUlT_E_NS1_11comp_targetILNS1_3genE3ELNS1_11target_archE908ELNS1_3gpuE7ELNS1_3repE0EEENS1_30default_config_static_selectorELNS0_4arch9wavefront6targetE1EEEvSP_,comdat
.Lfunc_end294:
	.size	_ZN7rocprim17ROCPRIM_400000_NS6detail17trampoline_kernelINS0_14default_configENS1_27lower_bound_config_selectorItiEEZNS1_14transform_implILb0ES3_S5_N6thrust23THRUST_200600_302600_NS6detail15normal_iteratorINS8_10device_ptrItEEEENSA_INSB_IiEEEEZNS1_13binary_searchIS3_S5_SD_SD_SF_NS1_21lower_bound_search_opENS9_16wrapped_functionINS0_4lessIvEEbEEEE10hipError_tPvRmT1_T2_T3_mmT4_T5_P12ihipStream_tbEUlRKtE_EESM_SQ_SR_mSS_SV_bEUlT_E_NS1_11comp_targetILNS1_3genE3ELNS1_11target_archE908ELNS1_3gpuE7ELNS1_3repE0EEENS1_30default_config_static_selectorELNS0_4arch9wavefront6targetE1EEEvSP_, .Lfunc_end294-_ZN7rocprim17ROCPRIM_400000_NS6detail17trampoline_kernelINS0_14default_configENS1_27lower_bound_config_selectorItiEEZNS1_14transform_implILb0ES3_S5_N6thrust23THRUST_200600_302600_NS6detail15normal_iteratorINS8_10device_ptrItEEEENSA_INSB_IiEEEEZNS1_13binary_searchIS3_S5_SD_SD_SF_NS1_21lower_bound_search_opENS9_16wrapped_functionINS0_4lessIvEEbEEEE10hipError_tPvRmT1_T2_T3_mmT4_T5_P12ihipStream_tbEUlRKtE_EESM_SQ_SR_mSS_SV_bEUlT_E_NS1_11comp_targetILNS1_3genE3ELNS1_11target_archE908ELNS1_3gpuE7ELNS1_3repE0EEENS1_30default_config_static_selectorELNS0_4arch9wavefront6targetE1EEEvSP_
                                        ; -- End function
	.section	.AMDGPU.csdata,"",@progbits
; Kernel info:
; codeLenInByte = 0
; NumSgprs: 4
; NumVgprs: 0
; NumAgprs: 0
; TotalNumVgprs: 0
; ScratchSize: 0
; MemoryBound: 0
; FloatMode: 240
; IeeeMode: 1
; LDSByteSize: 0 bytes/workgroup (compile time only)
; SGPRBlocks: 0
; VGPRBlocks: 0
; NumSGPRsForWavesPerEU: 4
; NumVGPRsForWavesPerEU: 1
; AccumOffset: 4
; Occupancy: 8
; WaveLimiterHint : 0
; COMPUTE_PGM_RSRC2:SCRATCH_EN: 0
; COMPUTE_PGM_RSRC2:USER_SGPR: 6
; COMPUTE_PGM_RSRC2:TRAP_HANDLER: 0
; COMPUTE_PGM_RSRC2:TGID_X_EN: 1
; COMPUTE_PGM_RSRC2:TGID_Y_EN: 0
; COMPUTE_PGM_RSRC2:TGID_Z_EN: 0
; COMPUTE_PGM_RSRC2:TIDIG_COMP_CNT: 0
; COMPUTE_PGM_RSRC3_GFX90A:ACCUM_OFFSET: 0
; COMPUTE_PGM_RSRC3_GFX90A:TG_SPLIT: 0
	.section	.text._ZN7rocprim17ROCPRIM_400000_NS6detail17trampoline_kernelINS0_14default_configENS1_27lower_bound_config_selectorItiEEZNS1_14transform_implILb0ES3_S5_N6thrust23THRUST_200600_302600_NS6detail15normal_iteratorINS8_10device_ptrItEEEENSA_INSB_IiEEEEZNS1_13binary_searchIS3_S5_SD_SD_SF_NS1_21lower_bound_search_opENS9_16wrapped_functionINS0_4lessIvEEbEEEE10hipError_tPvRmT1_T2_T3_mmT4_T5_P12ihipStream_tbEUlRKtE_EESM_SQ_SR_mSS_SV_bEUlT_E_NS1_11comp_targetILNS1_3genE2ELNS1_11target_archE906ELNS1_3gpuE6ELNS1_3repE0EEENS1_30default_config_static_selectorELNS0_4arch9wavefront6targetE1EEEvSP_,"axG",@progbits,_ZN7rocprim17ROCPRIM_400000_NS6detail17trampoline_kernelINS0_14default_configENS1_27lower_bound_config_selectorItiEEZNS1_14transform_implILb0ES3_S5_N6thrust23THRUST_200600_302600_NS6detail15normal_iteratorINS8_10device_ptrItEEEENSA_INSB_IiEEEEZNS1_13binary_searchIS3_S5_SD_SD_SF_NS1_21lower_bound_search_opENS9_16wrapped_functionINS0_4lessIvEEbEEEE10hipError_tPvRmT1_T2_T3_mmT4_T5_P12ihipStream_tbEUlRKtE_EESM_SQ_SR_mSS_SV_bEUlT_E_NS1_11comp_targetILNS1_3genE2ELNS1_11target_archE906ELNS1_3gpuE6ELNS1_3repE0EEENS1_30default_config_static_selectorELNS0_4arch9wavefront6targetE1EEEvSP_,comdat
	.protected	_ZN7rocprim17ROCPRIM_400000_NS6detail17trampoline_kernelINS0_14default_configENS1_27lower_bound_config_selectorItiEEZNS1_14transform_implILb0ES3_S5_N6thrust23THRUST_200600_302600_NS6detail15normal_iteratorINS8_10device_ptrItEEEENSA_INSB_IiEEEEZNS1_13binary_searchIS3_S5_SD_SD_SF_NS1_21lower_bound_search_opENS9_16wrapped_functionINS0_4lessIvEEbEEEE10hipError_tPvRmT1_T2_T3_mmT4_T5_P12ihipStream_tbEUlRKtE_EESM_SQ_SR_mSS_SV_bEUlT_E_NS1_11comp_targetILNS1_3genE2ELNS1_11target_archE906ELNS1_3gpuE6ELNS1_3repE0EEENS1_30default_config_static_selectorELNS0_4arch9wavefront6targetE1EEEvSP_ ; -- Begin function _ZN7rocprim17ROCPRIM_400000_NS6detail17trampoline_kernelINS0_14default_configENS1_27lower_bound_config_selectorItiEEZNS1_14transform_implILb0ES3_S5_N6thrust23THRUST_200600_302600_NS6detail15normal_iteratorINS8_10device_ptrItEEEENSA_INSB_IiEEEEZNS1_13binary_searchIS3_S5_SD_SD_SF_NS1_21lower_bound_search_opENS9_16wrapped_functionINS0_4lessIvEEbEEEE10hipError_tPvRmT1_T2_T3_mmT4_T5_P12ihipStream_tbEUlRKtE_EESM_SQ_SR_mSS_SV_bEUlT_E_NS1_11comp_targetILNS1_3genE2ELNS1_11target_archE906ELNS1_3gpuE6ELNS1_3repE0EEENS1_30default_config_static_selectorELNS0_4arch9wavefront6targetE1EEEvSP_
	.globl	_ZN7rocprim17ROCPRIM_400000_NS6detail17trampoline_kernelINS0_14default_configENS1_27lower_bound_config_selectorItiEEZNS1_14transform_implILb0ES3_S5_N6thrust23THRUST_200600_302600_NS6detail15normal_iteratorINS8_10device_ptrItEEEENSA_INSB_IiEEEEZNS1_13binary_searchIS3_S5_SD_SD_SF_NS1_21lower_bound_search_opENS9_16wrapped_functionINS0_4lessIvEEbEEEE10hipError_tPvRmT1_T2_T3_mmT4_T5_P12ihipStream_tbEUlRKtE_EESM_SQ_SR_mSS_SV_bEUlT_E_NS1_11comp_targetILNS1_3genE2ELNS1_11target_archE906ELNS1_3gpuE6ELNS1_3repE0EEENS1_30default_config_static_selectorELNS0_4arch9wavefront6targetE1EEEvSP_
	.p2align	8
	.type	_ZN7rocprim17ROCPRIM_400000_NS6detail17trampoline_kernelINS0_14default_configENS1_27lower_bound_config_selectorItiEEZNS1_14transform_implILb0ES3_S5_N6thrust23THRUST_200600_302600_NS6detail15normal_iteratorINS8_10device_ptrItEEEENSA_INSB_IiEEEEZNS1_13binary_searchIS3_S5_SD_SD_SF_NS1_21lower_bound_search_opENS9_16wrapped_functionINS0_4lessIvEEbEEEE10hipError_tPvRmT1_T2_T3_mmT4_T5_P12ihipStream_tbEUlRKtE_EESM_SQ_SR_mSS_SV_bEUlT_E_NS1_11comp_targetILNS1_3genE2ELNS1_11target_archE906ELNS1_3gpuE6ELNS1_3repE0EEENS1_30default_config_static_selectorELNS0_4arch9wavefront6targetE1EEEvSP_,@function
_ZN7rocprim17ROCPRIM_400000_NS6detail17trampoline_kernelINS0_14default_configENS1_27lower_bound_config_selectorItiEEZNS1_14transform_implILb0ES3_S5_N6thrust23THRUST_200600_302600_NS6detail15normal_iteratorINS8_10device_ptrItEEEENSA_INSB_IiEEEEZNS1_13binary_searchIS3_S5_SD_SD_SF_NS1_21lower_bound_search_opENS9_16wrapped_functionINS0_4lessIvEEbEEEE10hipError_tPvRmT1_T2_T3_mmT4_T5_P12ihipStream_tbEUlRKtE_EESM_SQ_SR_mSS_SV_bEUlT_E_NS1_11comp_targetILNS1_3genE2ELNS1_11target_archE906ELNS1_3gpuE6ELNS1_3repE0EEENS1_30default_config_static_selectorELNS0_4arch9wavefront6targetE1EEEvSP_: ; @_ZN7rocprim17ROCPRIM_400000_NS6detail17trampoline_kernelINS0_14default_configENS1_27lower_bound_config_selectorItiEEZNS1_14transform_implILb0ES3_S5_N6thrust23THRUST_200600_302600_NS6detail15normal_iteratorINS8_10device_ptrItEEEENSA_INSB_IiEEEEZNS1_13binary_searchIS3_S5_SD_SD_SF_NS1_21lower_bound_search_opENS9_16wrapped_functionINS0_4lessIvEEbEEEE10hipError_tPvRmT1_T2_T3_mmT4_T5_P12ihipStream_tbEUlRKtE_EESM_SQ_SR_mSS_SV_bEUlT_E_NS1_11comp_targetILNS1_3genE2ELNS1_11target_archE906ELNS1_3gpuE6ELNS1_3repE0EEENS1_30default_config_static_selectorELNS0_4arch9wavefront6targetE1EEEvSP_
; %bb.0:
	.section	.rodata,"a",@progbits
	.p2align	6, 0x0
	.amdhsa_kernel _ZN7rocprim17ROCPRIM_400000_NS6detail17trampoline_kernelINS0_14default_configENS1_27lower_bound_config_selectorItiEEZNS1_14transform_implILb0ES3_S5_N6thrust23THRUST_200600_302600_NS6detail15normal_iteratorINS8_10device_ptrItEEEENSA_INSB_IiEEEEZNS1_13binary_searchIS3_S5_SD_SD_SF_NS1_21lower_bound_search_opENS9_16wrapped_functionINS0_4lessIvEEbEEEE10hipError_tPvRmT1_T2_T3_mmT4_T5_P12ihipStream_tbEUlRKtE_EESM_SQ_SR_mSS_SV_bEUlT_E_NS1_11comp_targetILNS1_3genE2ELNS1_11target_archE906ELNS1_3gpuE6ELNS1_3repE0EEENS1_30default_config_static_selectorELNS0_4arch9wavefront6targetE1EEEvSP_
		.amdhsa_group_segment_fixed_size 0
		.amdhsa_private_segment_fixed_size 0
		.amdhsa_kernarg_size 56
		.amdhsa_user_sgpr_count 6
		.amdhsa_user_sgpr_private_segment_buffer 1
		.amdhsa_user_sgpr_dispatch_ptr 0
		.amdhsa_user_sgpr_queue_ptr 0
		.amdhsa_user_sgpr_kernarg_segment_ptr 1
		.amdhsa_user_sgpr_dispatch_id 0
		.amdhsa_user_sgpr_flat_scratch_init 0
		.amdhsa_user_sgpr_kernarg_preload_length 0
		.amdhsa_user_sgpr_kernarg_preload_offset 0
		.amdhsa_user_sgpr_private_segment_size 0
		.amdhsa_uses_dynamic_stack 0
		.amdhsa_system_sgpr_private_segment_wavefront_offset 0
		.amdhsa_system_sgpr_workgroup_id_x 1
		.amdhsa_system_sgpr_workgroup_id_y 0
		.amdhsa_system_sgpr_workgroup_id_z 0
		.amdhsa_system_sgpr_workgroup_info 0
		.amdhsa_system_vgpr_workitem_id 0
		.amdhsa_next_free_vgpr 1
		.amdhsa_next_free_sgpr 0
		.amdhsa_accum_offset 4
		.amdhsa_reserve_vcc 0
		.amdhsa_reserve_flat_scratch 0
		.amdhsa_float_round_mode_32 0
		.amdhsa_float_round_mode_16_64 0
		.amdhsa_float_denorm_mode_32 3
		.amdhsa_float_denorm_mode_16_64 3
		.amdhsa_dx10_clamp 1
		.amdhsa_ieee_mode 1
		.amdhsa_fp16_overflow 0
		.amdhsa_tg_split 0
		.amdhsa_exception_fp_ieee_invalid_op 0
		.amdhsa_exception_fp_denorm_src 0
		.amdhsa_exception_fp_ieee_div_zero 0
		.amdhsa_exception_fp_ieee_overflow 0
		.amdhsa_exception_fp_ieee_underflow 0
		.amdhsa_exception_fp_ieee_inexact 0
		.amdhsa_exception_int_div_zero 0
	.end_amdhsa_kernel
	.section	.text._ZN7rocprim17ROCPRIM_400000_NS6detail17trampoline_kernelINS0_14default_configENS1_27lower_bound_config_selectorItiEEZNS1_14transform_implILb0ES3_S5_N6thrust23THRUST_200600_302600_NS6detail15normal_iteratorINS8_10device_ptrItEEEENSA_INSB_IiEEEEZNS1_13binary_searchIS3_S5_SD_SD_SF_NS1_21lower_bound_search_opENS9_16wrapped_functionINS0_4lessIvEEbEEEE10hipError_tPvRmT1_T2_T3_mmT4_T5_P12ihipStream_tbEUlRKtE_EESM_SQ_SR_mSS_SV_bEUlT_E_NS1_11comp_targetILNS1_3genE2ELNS1_11target_archE906ELNS1_3gpuE6ELNS1_3repE0EEENS1_30default_config_static_selectorELNS0_4arch9wavefront6targetE1EEEvSP_,"axG",@progbits,_ZN7rocprim17ROCPRIM_400000_NS6detail17trampoline_kernelINS0_14default_configENS1_27lower_bound_config_selectorItiEEZNS1_14transform_implILb0ES3_S5_N6thrust23THRUST_200600_302600_NS6detail15normal_iteratorINS8_10device_ptrItEEEENSA_INSB_IiEEEEZNS1_13binary_searchIS3_S5_SD_SD_SF_NS1_21lower_bound_search_opENS9_16wrapped_functionINS0_4lessIvEEbEEEE10hipError_tPvRmT1_T2_T3_mmT4_T5_P12ihipStream_tbEUlRKtE_EESM_SQ_SR_mSS_SV_bEUlT_E_NS1_11comp_targetILNS1_3genE2ELNS1_11target_archE906ELNS1_3gpuE6ELNS1_3repE0EEENS1_30default_config_static_selectorELNS0_4arch9wavefront6targetE1EEEvSP_,comdat
.Lfunc_end295:
	.size	_ZN7rocprim17ROCPRIM_400000_NS6detail17trampoline_kernelINS0_14default_configENS1_27lower_bound_config_selectorItiEEZNS1_14transform_implILb0ES3_S5_N6thrust23THRUST_200600_302600_NS6detail15normal_iteratorINS8_10device_ptrItEEEENSA_INSB_IiEEEEZNS1_13binary_searchIS3_S5_SD_SD_SF_NS1_21lower_bound_search_opENS9_16wrapped_functionINS0_4lessIvEEbEEEE10hipError_tPvRmT1_T2_T3_mmT4_T5_P12ihipStream_tbEUlRKtE_EESM_SQ_SR_mSS_SV_bEUlT_E_NS1_11comp_targetILNS1_3genE2ELNS1_11target_archE906ELNS1_3gpuE6ELNS1_3repE0EEENS1_30default_config_static_selectorELNS0_4arch9wavefront6targetE1EEEvSP_, .Lfunc_end295-_ZN7rocprim17ROCPRIM_400000_NS6detail17trampoline_kernelINS0_14default_configENS1_27lower_bound_config_selectorItiEEZNS1_14transform_implILb0ES3_S5_N6thrust23THRUST_200600_302600_NS6detail15normal_iteratorINS8_10device_ptrItEEEENSA_INSB_IiEEEEZNS1_13binary_searchIS3_S5_SD_SD_SF_NS1_21lower_bound_search_opENS9_16wrapped_functionINS0_4lessIvEEbEEEE10hipError_tPvRmT1_T2_T3_mmT4_T5_P12ihipStream_tbEUlRKtE_EESM_SQ_SR_mSS_SV_bEUlT_E_NS1_11comp_targetILNS1_3genE2ELNS1_11target_archE906ELNS1_3gpuE6ELNS1_3repE0EEENS1_30default_config_static_selectorELNS0_4arch9wavefront6targetE1EEEvSP_
                                        ; -- End function
	.section	.AMDGPU.csdata,"",@progbits
; Kernel info:
; codeLenInByte = 0
; NumSgprs: 4
; NumVgprs: 0
; NumAgprs: 0
; TotalNumVgprs: 0
; ScratchSize: 0
; MemoryBound: 0
; FloatMode: 240
; IeeeMode: 1
; LDSByteSize: 0 bytes/workgroup (compile time only)
; SGPRBlocks: 0
; VGPRBlocks: 0
; NumSGPRsForWavesPerEU: 4
; NumVGPRsForWavesPerEU: 1
; AccumOffset: 4
; Occupancy: 8
; WaveLimiterHint : 0
; COMPUTE_PGM_RSRC2:SCRATCH_EN: 0
; COMPUTE_PGM_RSRC2:USER_SGPR: 6
; COMPUTE_PGM_RSRC2:TRAP_HANDLER: 0
; COMPUTE_PGM_RSRC2:TGID_X_EN: 1
; COMPUTE_PGM_RSRC2:TGID_Y_EN: 0
; COMPUTE_PGM_RSRC2:TGID_Z_EN: 0
; COMPUTE_PGM_RSRC2:TIDIG_COMP_CNT: 0
; COMPUTE_PGM_RSRC3_GFX90A:ACCUM_OFFSET: 0
; COMPUTE_PGM_RSRC3_GFX90A:TG_SPLIT: 0
	.section	.text._ZN7rocprim17ROCPRIM_400000_NS6detail17trampoline_kernelINS0_14default_configENS1_27lower_bound_config_selectorItiEEZNS1_14transform_implILb0ES3_S5_N6thrust23THRUST_200600_302600_NS6detail15normal_iteratorINS8_10device_ptrItEEEENSA_INSB_IiEEEEZNS1_13binary_searchIS3_S5_SD_SD_SF_NS1_21lower_bound_search_opENS9_16wrapped_functionINS0_4lessIvEEbEEEE10hipError_tPvRmT1_T2_T3_mmT4_T5_P12ihipStream_tbEUlRKtE_EESM_SQ_SR_mSS_SV_bEUlT_E_NS1_11comp_targetILNS1_3genE10ELNS1_11target_archE1201ELNS1_3gpuE5ELNS1_3repE0EEENS1_30default_config_static_selectorELNS0_4arch9wavefront6targetE1EEEvSP_,"axG",@progbits,_ZN7rocprim17ROCPRIM_400000_NS6detail17trampoline_kernelINS0_14default_configENS1_27lower_bound_config_selectorItiEEZNS1_14transform_implILb0ES3_S5_N6thrust23THRUST_200600_302600_NS6detail15normal_iteratorINS8_10device_ptrItEEEENSA_INSB_IiEEEEZNS1_13binary_searchIS3_S5_SD_SD_SF_NS1_21lower_bound_search_opENS9_16wrapped_functionINS0_4lessIvEEbEEEE10hipError_tPvRmT1_T2_T3_mmT4_T5_P12ihipStream_tbEUlRKtE_EESM_SQ_SR_mSS_SV_bEUlT_E_NS1_11comp_targetILNS1_3genE10ELNS1_11target_archE1201ELNS1_3gpuE5ELNS1_3repE0EEENS1_30default_config_static_selectorELNS0_4arch9wavefront6targetE1EEEvSP_,comdat
	.protected	_ZN7rocprim17ROCPRIM_400000_NS6detail17trampoline_kernelINS0_14default_configENS1_27lower_bound_config_selectorItiEEZNS1_14transform_implILb0ES3_S5_N6thrust23THRUST_200600_302600_NS6detail15normal_iteratorINS8_10device_ptrItEEEENSA_INSB_IiEEEEZNS1_13binary_searchIS3_S5_SD_SD_SF_NS1_21lower_bound_search_opENS9_16wrapped_functionINS0_4lessIvEEbEEEE10hipError_tPvRmT1_T2_T3_mmT4_T5_P12ihipStream_tbEUlRKtE_EESM_SQ_SR_mSS_SV_bEUlT_E_NS1_11comp_targetILNS1_3genE10ELNS1_11target_archE1201ELNS1_3gpuE5ELNS1_3repE0EEENS1_30default_config_static_selectorELNS0_4arch9wavefront6targetE1EEEvSP_ ; -- Begin function _ZN7rocprim17ROCPRIM_400000_NS6detail17trampoline_kernelINS0_14default_configENS1_27lower_bound_config_selectorItiEEZNS1_14transform_implILb0ES3_S5_N6thrust23THRUST_200600_302600_NS6detail15normal_iteratorINS8_10device_ptrItEEEENSA_INSB_IiEEEEZNS1_13binary_searchIS3_S5_SD_SD_SF_NS1_21lower_bound_search_opENS9_16wrapped_functionINS0_4lessIvEEbEEEE10hipError_tPvRmT1_T2_T3_mmT4_T5_P12ihipStream_tbEUlRKtE_EESM_SQ_SR_mSS_SV_bEUlT_E_NS1_11comp_targetILNS1_3genE10ELNS1_11target_archE1201ELNS1_3gpuE5ELNS1_3repE0EEENS1_30default_config_static_selectorELNS0_4arch9wavefront6targetE1EEEvSP_
	.globl	_ZN7rocprim17ROCPRIM_400000_NS6detail17trampoline_kernelINS0_14default_configENS1_27lower_bound_config_selectorItiEEZNS1_14transform_implILb0ES3_S5_N6thrust23THRUST_200600_302600_NS6detail15normal_iteratorINS8_10device_ptrItEEEENSA_INSB_IiEEEEZNS1_13binary_searchIS3_S5_SD_SD_SF_NS1_21lower_bound_search_opENS9_16wrapped_functionINS0_4lessIvEEbEEEE10hipError_tPvRmT1_T2_T3_mmT4_T5_P12ihipStream_tbEUlRKtE_EESM_SQ_SR_mSS_SV_bEUlT_E_NS1_11comp_targetILNS1_3genE10ELNS1_11target_archE1201ELNS1_3gpuE5ELNS1_3repE0EEENS1_30default_config_static_selectorELNS0_4arch9wavefront6targetE1EEEvSP_
	.p2align	8
	.type	_ZN7rocprim17ROCPRIM_400000_NS6detail17trampoline_kernelINS0_14default_configENS1_27lower_bound_config_selectorItiEEZNS1_14transform_implILb0ES3_S5_N6thrust23THRUST_200600_302600_NS6detail15normal_iteratorINS8_10device_ptrItEEEENSA_INSB_IiEEEEZNS1_13binary_searchIS3_S5_SD_SD_SF_NS1_21lower_bound_search_opENS9_16wrapped_functionINS0_4lessIvEEbEEEE10hipError_tPvRmT1_T2_T3_mmT4_T5_P12ihipStream_tbEUlRKtE_EESM_SQ_SR_mSS_SV_bEUlT_E_NS1_11comp_targetILNS1_3genE10ELNS1_11target_archE1201ELNS1_3gpuE5ELNS1_3repE0EEENS1_30default_config_static_selectorELNS0_4arch9wavefront6targetE1EEEvSP_,@function
_ZN7rocprim17ROCPRIM_400000_NS6detail17trampoline_kernelINS0_14default_configENS1_27lower_bound_config_selectorItiEEZNS1_14transform_implILb0ES3_S5_N6thrust23THRUST_200600_302600_NS6detail15normal_iteratorINS8_10device_ptrItEEEENSA_INSB_IiEEEEZNS1_13binary_searchIS3_S5_SD_SD_SF_NS1_21lower_bound_search_opENS9_16wrapped_functionINS0_4lessIvEEbEEEE10hipError_tPvRmT1_T2_T3_mmT4_T5_P12ihipStream_tbEUlRKtE_EESM_SQ_SR_mSS_SV_bEUlT_E_NS1_11comp_targetILNS1_3genE10ELNS1_11target_archE1201ELNS1_3gpuE5ELNS1_3repE0EEENS1_30default_config_static_selectorELNS0_4arch9wavefront6targetE1EEEvSP_: ; @_ZN7rocprim17ROCPRIM_400000_NS6detail17trampoline_kernelINS0_14default_configENS1_27lower_bound_config_selectorItiEEZNS1_14transform_implILb0ES3_S5_N6thrust23THRUST_200600_302600_NS6detail15normal_iteratorINS8_10device_ptrItEEEENSA_INSB_IiEEEEZNS1_13binary_searchIS3_S5_SD_SD_SF_NS1_21lower_bound_search_opENS9_16wrapped_functionINS0_4lessIvEEbEEEE10hipError_tPvRmT1_T2_T3_mmT4_T5_P12ihipStream_tbEUlRKtE_EESM_SQ_SR_mSS_SV_bEUlT_E_NS1_11comp_targetILNS1_3genE10ELNS1_11target_archE1201ELNS1_3gpuE5ELNS1_3repE0EEENS1_30default_config_static_selectorELNS0_4arch9wavefront6targetE1EEEvSP_
; %bb.0:
	.section	.rodata,"a",@progbits
	.p2align	6, 0x0
	.amdhsa_kernel _ZN7rocprim17ROCPRIM_400000_NS6detail17trampoline_kernelINS0_14default_configENS1_27lower_bound_config_selectorItiEEZNS1_14transform_implILb0ES3_S5_N6thrust23THRUST_200600_302600_NS6detail15normal_iteratorINS8_10device_ptrItEEEENSA_INSB_IiEEEEZNS1_13binary_searchIS3_S5_SD_SD_SF_NS1_21lower_bound_search_opENS9_16wrapped_functionINS0_4lessIvEEbEEEE10hipError_tPvRmT1_T2_T3_mmT4_T5_P12ihipStream_tbEUlRKtE_EESM_SQ_SR_mSS_SV_bEUlT_E_NS1_11comp_targetILNS1_3genE10ELNS1_11target_archE1201ELNS1_3gpuE5ELNS1_3repE0EEENS1_30default_config_static_selectorELNS0_4arch9wavefront6targetE1EEEvSP_
		.amdhsa_group_segment_fixed_size 0
		.amdhsa_private_segment_fixed_size 0
		.amdhsa_kernarg_size 56
		.amdhsa_user_sgpr_count 6
		.amdhsa_user_sgpr_private_segment_buffer 1
		.amdhsa_user_sgpr_dispatch_ptr 0
		.amdhsa_user_sgpr_queue_ptr 0
		.amdhsa_user_sgpr_kernarg_segment_ptr 1
		.amdhsa_user_sgpr_dispatch_id 0
		.amdhsa_user_sgpr_flat_scratch_init 0
		.amdhsa_user_sgpr_kernarg_preload_length 0
		.amdhsa_user_sgpr_kernarg_preload_offset 0
		.amdhsa_user_sgpr_private_segment_size 0
		.amdhsa_uses_dynamic_stack 0
		.amdhsa_system_sgpr_private_segment_wavefront_offset 0
		.amdhsa_system_sgpr_workgroup_id_x 1
		.amdhsa_system_sgpr_workgroup_id_y 0
		.amdhsa_system_sgpr_workgroup_id_z 0
		.amdhsa_system_sgpr_workgroup_info 0
		.amdhsa_system_vgpr_workitem_id 0
		.amdhsa_next_free_vgpr 1
		.amdhsa_next_free_sgpr 0
		.amdhsa_accum_offset 4
		.amdhsa_reserve_vcc 0
		.amdhsa_reserve_flat_scratch 0
		.amdhsa_float_round_mode_32 0
		.amdhsa_float_round_mode_16_64 0
		.amdhsa_float_denorm_mode_32 3
		.amdhsa_float_denorm_mode_16_64 3
		.amdhsa_dx10_clamp 1
		.amdhsa_ieee_mode 1
		.amdhsa_fp16_overflow 0
		.amdhsa_tg_split 0
		.amdhsa_exception_fp_ieee_invalid_op 0
		.amdhsa_exception_fp_denorm_src 0
		.amdhsa_exception_fp_ieee_div_zero 0
		.amdhsa_exception_fp_ieee_overflow 0
		.amdhsa_exception_fp_ieee_underflow 0
		.amdhsa_exception_fp_ieee_inexact 0
		.amdhsa_exception_int_div_zero 0
	.end_amdhsa_kernel
	.section	.text._ZN7rocprim17ROCPRIM_400000_NS6detail17trampoline_kernelINS0_14default_configENS1_27lower_bound_config_selectorItiEEZNS1_14transform_implILb0ES3_S5_N6thrust23THRUST_200600_302600_NS6detail15normal_iteratorINS8_10device_ptrItEEEENSA_INSB_IiEEEEZNS1_13binary_searchIS3_S5_SD_SD_SF_NS1_21lower_bound_search_opENS9_16wrapped_functionINS0_4lessIvEEbEEEE10hipError_tPvRmT1_T2_T3_mmT4_T5_P12ihipStream_tbEUlRKtE_EESM_SQ_SR_mSS_SV_bEUlT_E_NS1_11comp_targetILNS1_3genE10ELNS1_11target_archE1201ELNS1_3gpuE5ELNS1_3repE0EEENS1_30default_config_static_selectorELNS0_4arch9wavefront6targetE1EEEvSP_,"axG",@progbits,_ZN7rocprim17ROCPRIM_400000_NS6detail17trampoline_kernelINS0_14default_configENS1_27lower_bound_config_selectorItiEEZNS1_14transform_implILb0ES3_S5_N6thrust23THRUST_200600_302600_NS6detail15normal_iteratorINS8_10device_ptrItEEEENSA_INSB_IiEEEEZNS1_13binary_searchIS3_S5_SD_SD_SF_NS1_21lower_bound_search_opENS9_16wrapped_functionINS0_4lessIvEEbEEEE10hipError_tPvRmT1_T2_T3_mmT4_T5_P12ihipStream_tbEUlRKtE_EESM_SQ_SR_mSS_SV_bEUlT_E_NS1_11comp_targetILNS1_3genE10ELNS1_11target_archE1201ELNS1_3gpuE5ELNS1_3repE0EEENS1_30default_config_static_selectorELNS0_4arch9wavefront6targetE1EEEvSP_,comdat
.Lfunc_end296:
	.size	_ZN7rocprim17ROCPRIM_400000_NS6detail17trampoline_kernelINS0_14default_configENS1_27lower_bound_config_selectorItiEEZNS1_14transform_implILb0ES3_S5_N6thrust23THRUST_200600_302600_NS6detail15normal_iteratorINS8_10device_ptrItEEEENSA_INSB_IiEEEEZNS1_13binary_searchIS3_S5_SD_SD_SF_NS1_21lower_bound_search_opENS9_16wrapped_functionINS0_4lessIvEEbEEEE10hipError_tPvRmT1_T2_T3_mmT4_T5_P12ihipStream_tbEUlRKtE_EESM_SQ_SR_mSS_SV_bEUlT_E_NS1_11comp_targetILNS1_3genE10ELNS1_11target_archE1201ELNS1_3gpuE5ELNS1_3repE0EEENS1_30default_config_static_selectorELNS0_4arch9wavefront6targetE1EEEvSP_, .Lfunc_end296-_ZN7rocprim17ROCPRIM_400000_NS6detail17trampoline_kernelINS0_14default_configENS1_27lower_bound_config_selectorItiEEZNS1_14transform_implILb0ES3_S5_N6thrust23THRUST_200600_302600_NS6detail15normal_iteratorINS8_10device_ptrItEEEENSA_INSB_IiEEEEZNS1_13binary_searchIS3_S5_SD_SD_SF_NS1_21lower_bound_search_opENS9_16wrapped_functionINS0_4lessIvEEbEEEE10hipError_tPvRmT1_T2_T3_mmT4_T5_P12ihipStream_tbEUlRKtE_EESM_SQ_SR_mSS_SV_bEUlT_E_NS1_11comp_targetILNS1_3genE10ELNS1_11target_archE1201ELNS1_3gpuE5ELNS1_3repE0EEENS1_30default_config_static_selectorELNS0_4arch9wavefront6targetE1EEEvSP_
                                        ; -- End function
	.section	.AMDGPU.csdata,"",@progbits
; Kernel info:
; codeLenInByte = 0
; NumSgprs: 4
; NumVgprs: 0
; NumAgprs: 0
; TotalNumVgprs: 0
; ScratchSize: 0
; MemoryBound: 0
; FloatMode: 240
; IeeeMode: 1
; LDSByteSize: 0 bytes/workgroup (compile time only)
; SGPRBlocks: 0
; VGPRBlocks: 0
; NumSGPRsForWavesPerEU: 4
; NumVGPRsForWavesPerEU: 1
; AccumOffset: 4
; Occupancy: 8
; WaveLimiterHint : 0
; COMPUTE_PGM_RSRC2:SCRATCH_EN: 0
; COMPUTE_PGM_RSRC2:USER_SGPR: 6
; COMPUTE_PGM_RSRC2:TRAP_HANDLER: 0
; COMPUTE_PGM_RSRC2:TGID_X_EN: 1
; COMPUTE_PGM_RSRC2:TGID_Y_EN: 0
; COMPUTE_PGM_RSRC2:TGID_Z_EN: 0
; COMPUTE_PGM_RSRC2:TIDIG_COMP_CNT: 0
; COMPUTE_PGM_RSRC3_GFX90A:ACCUM_OFFSET: 0
; COMPUTE_PGM_RSRC3_GFX90A:TG_SPLIT: 0
	.section	.text._ZN7rocprim17ROCPRIM_400000_NS6detail17trampoline_kernelINS0_14default_configENS1_27lower_bound_config_selectorItiEEZNS1_14transform_implILb0ES3_S5_N6thrust23THRUST_200600_302600_NS6detail15normal_iteratorINS8_10device_ptrItEEEENSA_INSB_IiEEEEZNS1_13binary_searchIS3_S5_SD_SD_SF_NS1_21lower_bound_search_opENS9_16wrapped_functionINS0_4lessIvEEbEEEE10hipError_tPvRmT1_T2_T3_mmT4_T5_P12ihipStream_tbEUlRKtE_EESM_SQ_SR_mSS_SV_bEUlT_E_NS1_11comp_targetILNS1_3genE10ELNS1_11target_archE1200ELNS1_3gpuE4ELNS1_3repE0EEENS1_30default_config_static_selectorELNS0_4arch9wavefront6targetE1EEEvSP_,"axG",@progbits,_ZN7rocprim17ROCPRIM_400000_NS6detail17trampoline_kernelINS0_14default_configENS1_27lower_bound_config_selectorItiEEZNS1_14transform_implILb0ES3_S5_N6thrust23THRUST_200600_302600_NS6detail15normal_iteratorINS8_10device_ptrItEEEENSA_INSB_IiEEEEZNS1_13binary_searchIS3_S5_SD_SD_SF_NS1_21lower_bound_search_opENS9_16wrapped_functionINS0_4lessIvEEbEEEE10hipError_tPvRmT1_T2_T3_mmT4_T5_P12ihipStream_tbEUlRKtE_EESM_SQ_SR_mSS_SV_bEUlT_E_NS1_11comp_targetILNS1_3genE10ELNS1_11target_archE1200ELNS1_3gpuE4ELNS1_3repE0EEENS1_30default_config_static_selectorELNS0_4arch9wavefront6targetE1EEEvSP_,comdat
	.protected	_ZN7rocprim17ROCPRIM_400000_NS6detail17trampoline_kernelINS0_14default_configENS1_27lower_bound_config_selectorItiEEZNS1_14transform_implILb0ES3_S5_N6thrust23THRUST_200600_302600_NS6detail15normal_iteratorINS8_10device_ptrItEEEENSA_INSB_IiEEEEZNS1_13binary_searchIS3_S5_SD_SD_SF_NS1_21lower_bound_search_opENS9_16wrapped_functionINS0_4lessIvEEbEEEE10hipError_tPvRmT1_T2_T3_mmT4_T5_P12ihipStream_tbEUlRKtE_EESM_SQ_SR_mSS_SV_bEUlT_E_NS1_11comp_targetILNS1_3genE10ELNS1_11target_archE1200ELNS1_3gpuE4ELNS1_3repE0EEENS1_30default_config_static_selectorELNS0_4arch9wavefront6targetE1EEEvSP_ ; -- Begin function _ZN7rocprim17ROCPRIM_400000_NS6detail17trampoline_kernelINS0_14default_configENS1_27lower_bound_config_selectorItiEEZNS1_14transform_implILb0ES3_S5_N6thrust23THRUST_200600_302600_NS6detail15normal_iteratorINS8_10device_ptrItEEEENSA_INSB_IiEEEEZNS1_13binary_searchIS3_S5_SD_SD_SF_NS1_21lower_bound_search_opENS9_16wrapped_functionINS0_4lessIvEEbEEEE10hipError_tPvRmT1_T2_T3_mmT4_T5_P12ihipStream_tbEUlRKtE_EESM_SQ_SR_mSS_SV_bEUlT_E_NS1_11comp_targetILNS1_3genE10ELNS1_11target_archE1200ELNS1_3gpuE4ELNS1_3repE0EEENS1_30default_config_static_selectorELNS0_4arch9wavefront6targetE1EEEvSP_
	.globl	_ZN7rocprim17ROCPRIM_400000_NS6detail17trampoline_kernelINS0_14default_configENS1_27lower_bound_config_selectorItiEEZNS1_14transform_implILb0ES3_S5_N6thrust23THRUST_200600_302600_NS6detail15normal_iteratorINS8_10device_ptrItEEEENSA_INSB_IiEEEEZNS1_13binary_searchIS3_S5_SD_SD_SF_NS1_21lower_bound_search_opENS9_16wrapped_functionINS0_4lessIvEEbEEEE10hipError_tPvRmT1_T2_T3_mmT4_T5_P12ihipStream_tbEUlRKtE_EESM_SQ_SR_mSS_SV_bEUlT_E_NS1_11comp_targetILNS1_3genE10ELNS1_11target_archE1200ELNS1_3gpuE4ELNS1_3repE0EEENS1_30default_config_static_selectorELNS0_4arch9wavefront6targetE1EEEvSP_
	.p2align	8
	.type	_ZN7rocprim17ROCPRIM_400000_NS6detail17trampoline_kernelINS0_14default_configENS1_27lower_bound_config_selectorItiEEZNS1_14transform_implILb0ES3_S5_N6thrust23THRUST_200600_302600_NS6detail15normal_iteratorINS8_10device_ptrItEEEENSA_INSB_IiEEEEZNS1_13binary_searchIS3_S5_SD_SD_SF_NS1_21lower_bound_search_opENS9_16wrapped_functionINS0_4lessIvEEbEEEE10hipError_tPvRmT1_T2_T3_mmT4_T5_P12ihipStream_tbEUlRKtE_EESM_SQ_SR_mSS_SV_bEUlT_E_NS1_11comp_targetILNS1_3genE10ELNS1_11target_archE1200ELNS1_3gpuE4ELNS1_3repE0EEENS1_30default_config_static_selectorELNS0_4arch9wavefront6targetE1EEEvSP_,@function
_ZN7rocprim17ROCPRIM_400000_NS6detail17trampoline_kernelINS0_14default_configENS1_27lower_bound_config_selectorItiEEZNS1_14transform_implILb0ES3_S5_N6thrust23THRUST_200600_302600_NS6detail15normal_iteratorINS8_10device_ptrItEEEENSA_INSB_IiEEEEZNS1_13binary_searchIS3_S5_SD_SD_SF_NS1_21lower_bound_search_opENS9_16wrapped_functionINS0_4lessIvEEbEEEE10hipError_tPvRmT1_T2_T3_mmT4_T5_P12ihipStream_tbEUlRKtE_EESM_SQ_SR_mSS_SV_bEUlT_E_NS1_11comp_targetILNS1_3genE10ELNS1_11target_archE1200ELNS1_3gpuE4ELNS1_3repE0EEENS1_30default_config_static_selectorELNS0_4arch9wavefront6targetE1EEEvSP_: ; @_ZN7rocprim17ROCPRIM_400000_NS6detail17trampoline_kernelINS0_14default_configENS1_27lower_bound_config_selectorItiEEZNS1_14transform_implILb0ES3_S5_N6thrust23THRUST_200600_302600_NS6detail15normal_iteratorINS8_10device_ptrItEEEENSA_INSB_IiEEEEZNS1_13binary_searchIS3_S5_SD_SD_SF_NS1_21lower_bound_search_opENS9_16wrapped_functionINS0_4lessIvEEbEEEE10hipError_tPvRmT1_T2_T3_mmT4_T5_P12ihipStream_tbEUlRKtE_EESM_SQ_SR_mSS_SV_bEUlT_E_NS1_11comp_targetILNS1_3genE10ELNS1_11target_archE1200ELNS1_3gpuE4ELNS1_3repE0EEENS1_30default_config_static_selectorELNS0_4arch9wavefront6targetE1EEEvSP_
; %bb.0:
	.section	.rodata,"a",@progbits
	.p2align	6, 0x0
	.amdhsa_kernel _ZN7rocprim17ROCPRIM_400000_NS6detail17trampoline_kernelINS0_14default_configENS1_27lower_bound_config_selectorItiEEZNS1_14transform_implILb0ES3_S5_N6thrust23THRUST_200600_302600_NS6detail15normal_iteratorINS8_10device_ptrItEEEENSA_INSB_IiEEEEZNS1_13binary_searchIS3_S5_SD_SD_SF_NS1_21lower_bound_search_opENS9_16wrapped_functionINS0_4lessIvEEbEEEE10hipError_tPvRmT1_T2_T3_mmT4_T5_P12ihipStream_tbEUlRKtE_EESM_SQ_SR_mSS_SV_bEUlT_E_NS1_11comp_targetILNS1_3genE10ELNS1_11target_archE1200ELNS1_3gpuE4ELNS1_3repE0EEENS1_30default_config_static_selectorELNS0_4arch9wavefront6targetE1EEEvSP_
		.amdhsa_group_segment_fixed_size 0
		.amdhsa_private_segment_fixed_size 0
		.amdhsa_kernarg_size 56
		.amdhsa_user_sgpr_count 6
		.amdhsa_user_sgpr_private_segment_buffer 1
		.amdhsa_user_sgpr_dispatch_ptr 0
		.amdhsa_user_sgpr_queue_ptr 0
		.amdhsa_user_sgpr_kernarg_segment_ptr 1
		.amdhsa_user_sgpr_dispatch_id 0
		.amdhsa_user_sgpr_flat_scratch_init 0
		.amdhsa_user_sgpr_kernarg_preload_length 0
		.amdhsa_user_sgpr_kernarg_preload_offset 0
		.amdhsa_user_sgpr_private_segment_size 0
		.amdhsa_uses_dynamic_stack 0
		.amdhsa_system_sgpr_private_segment_wavefront_offset 0
		.amdhsa_system_sgpr_workgroup_id_x 1
		.amdhsa_system_sgpr_workgroup_id_y 0
		.amdhsa_system_sgpr_workgroup_id_z 0
		.amdhsa_system_sgpr_workgroup_info 0
		.amdhsa_system_vgpr_workitem_id 0
		.amdhsa_next_free_vgpr 1
		.amdhsa_next_free_sgpr 0
		.amdhsa_accum_offset 4
		.amdhsa_reserve_vcc 0
		.amdhsa_reserve_flat_scratch 0
		.amdhsa_float_round_mode_32 0
		.amdhsa_float_round_mode_16_64 0
		.amdhsa_float_denorm_mode_32 3
		.amdhsa_float_denorm_mode_16_64 3
		.amdhsa_dx10_clamp 1
		.amdhsa_ieee_mode 1
		.amdhsa_fp16_overflow 0
		.amdhsa_tg_split 0
		.amdhsa_exception_fp_ieee_invalid_op 0
		.amdhsa_exception_fp_denorm_src 0
		.amdhsa_exception_fp_ieee_div_zero 0
		.amdhsa_exception_fp_ieee_overflow 0
		.amdhsa_exception_fp_ieee_underflow 0
		.amdhsa_exception_fp_ieee_inexact 0
		.amdhsa_exception_int_div_zero 0
	.end_amdhsa_kernel
	.section	.text._ZN7rocprim17ROCPRIM_400000_NS6detail17trampoline_kernelINS0_14default_configENS1_27lower_bound_config_selectorItiEEZNS1_14transform_implILb0ES3_S5_N6thrust23THRUST_200600_302600_NS6detail15normal_iteratorINS8_10device_ptrItEEEENSA_INSB_IiEEEEZNS1_13binary_searchIS3_S5_SD_SD_SF_NS1_21lower_bound_search_opENS9_16wrapped_functionINS0_4lessIvEEbEEEE10hipError_tPvRmT1_T2_T3_mmT4_T5_P12ihipStream_tbEUlRKtE_EESM_SQ_SR_mSS_SV_bEUlT_E_NS1_11comp_targetILNS1_3genE10ELNS1_11target_archE1200ELNS1_3gpuE4ELNS1_3repE0EEENS1_30default_config_static_selectorELNS0_4arch9wavefront6targetE1EEEvSP_,"axG",@progbits,_ZN7rocprim17ROCPRIM_400000_NS6detail17trampoline_kernelINS0_14default_configENS1_27lower_bound_config_selectorItiEEZNS1_14transform_implILb0ES3_S5_N6thrust23THRUST_200600_302600_NS6detail15normal_iteratorINS8_10device_ptrItEEEENSA_INSB_IiEEEEZNS1_13binary_searchIS3_S5_SD_SD_SF_NS1_21lower_bound_search_opENS9_16wrapped_functionINS0_4lessIvEEbEEEE10hipError_tPvRmT1_T2_T3_mmT4_T5_P12ihipStream_tbEUlRKtE_EESM_SQ_SR_mSS_SV_bEUlT_E_NS1_11comp_targetILNS1_3genE10ELNS1_11target_archE1200ELNS1_3gpuE4ELNS1_3repE0EEENS1_30default_config_static_selectorELNS0_4arch9wavefront6targetE1EEEvSP_,comdat
.Lfunc_end297:
	.size	_ZN7rocprim17ROCPRIM_400000_NS6detail17trampoline_kernelINS0_14default_configENS1_27lower_bound_config_selectorItiEEZNS1_14transform_implILb0ES3_S5_N6thrust23THRUST_200600_302600_NS6detail15normal_iteratorINS8_10device_ptrItEEEENSA_INSB_IiEEEEZNS1_13binary_searchIS3_S5_SD_SD_SF_NS1_21lower_bound_search_opENS9_16wrapped_functionINS0_4lessIvEEbEEEE10hipError_tPvRmT1_T2_T3_mmT4_T5_P12ihipStream_tbEUlRKtE_EESM_SQ_SR_mSS_SV_bEUlT_E_NS1_11comp_targetILNS1_3genE10ELNS1_11target_archE1200ELNS1_3gpuE4ELNS1_3repE0EEENS1_30default_config_static_selectorELNS0_4arch9wavefront6targetE1EEEvSP_, .Lfunc_end297-_ZN7rocprim17ROCPRIM_400000_NS6detail17trampoline_kernelINS0_14default_configENS1_27lower_bound_config_selectorItiEEZNS1_14transform_implILb0ES3_S5_N6thrust23THRUST_200600_302600_NS6detail15normal_iteratorINS8_10device_ptrItEEEENSA_INSB_IiEEEEZNS1_13binary_searchIS3_S5_SD_SD_SF_NS1_21lower_bound_search_opENS9_16wrapped_functionINS0_4lessIvEEbEEEE10hipError_tPvRmT1_T2_T3_mmT4_T5_P12ihipStream_tbEUlRKtE_EESM_SQ_SR_mSS_SV_bEUlT_E_NS1_11comp_targetILNS1_3genE10ELNS1_11target_archE1200ELNS1_3gpuE4ELNS1_3repE0EEENS1_30default_config_static_selectorELNS0_4arch9wavefront6targetE1EEEvSP_
                                        ; -- End function
	.section	.AMDGPU.csdata,"",@progbits
; Kernel info:
; codeLenInByte = 0
; NumSgprs: 4
; NumVgprs: 0
; NumAgprs: 0
; TotalNumVgprs: 0
; ScratchSize: 0
; MemoryBound: 0
; FloatMode: 240
; IeeeMode: 1
; LDSByteSize: 0 bytes/workgroup (compile time only)
; SGPRBlocks: 0
; VGPRBlocks: 0
; NumSGPRsForWavesPerEU: 4
; NumVGPRsForWavesPerEU: 1
; AccumOffset: 4
; Occupancy: 8
; WaveLimiterHint : 0
; COMPUTE_PGM_RSRC2:SCRATCH_EN: 0
; COMPUTE_PGM_RSRC2:USER_SGPR: 6
; COMPUTE_PGM_RSRC2:TRAP_HANDLER: 0
; COMPUTE_PGM_RSRC2:TGID_X_EN: 1
; COMPUTE_PGM_RSRC2:TGID_Y_EN: 0
; COMPUTE_PGM_RSRC2:TGID_Z_EN: 0
; COMPUTE_PGM_RSRC2:TIDIG_COMP_CNT: 0
; COMPUTE_PGM_RSRC3_GFX90A:ACCUM_OFFSET: 0
; COMPUTE_PGM_RSRC3_GFX90A:TG_SPLIT: 0
	.section	.text._ZN7rocprim17ROCPRIM_400000_NS6detail17trampoline_kernelINS0_14default_configENS1_27lower_bound_config_selectorItiEEZNS1_14transform_implILb0ES3_S5_N6thrust23THRUST_200600_302600_NS6detail15normal_iteratorINS8_10device_ptrItEEEENSA_INSB_IiEEEEZNS1_13binary_searchIS3_S5_SD_SD_SF_NS1_21lower_bound_search_opENS9_16wrapped_functionINS0_4lessIvEEbEEEE10hipError_tPvRmT1_T2_T3_mmT4_T5_P12ihipStream_tbEUlRKtE_EESM_SQ_SR_mSS_SV_bEUlT_E_NS1_11comp_targetILNS1_3genE9ELNS1_11target_archE1100ELNS1_3gpuE3ELNS1_3repE0EEENS1_30default_config_static_selectorELNS0_4arch9wavefront6targetE1EEEvSP_,"axG",@progbits,_ZN7rocprim17ROCPRIM_400000_NS6detail17trampoline_kernelINS0_14default_configENS1_27lower_bound_config_selectorItiEEZNS1_14transform_implILb0ES3_S5_N6thrust23THRUST_200600_302600_NS6detail15normal_iteratorINS8_10device_ptrItEEEENSA_INSB_IiEEEEZNS1_13binary_searchIS3_S5_SD_SD_SF_NS1_21lower_bound_search_opENS9_16wrapped_functionINS0_4lessIvEEbEEEE10hipError_tPvRmT1_T2_T3_mmT4_T5_P12ihipStream_tbEUlRKtE_EESM_SQ_SR_mSS_SV_bEUlT_E_NS1_11comp_targetILNS1_3genE9ELNS1_11target_archE1100ELNS1_3gpuE3ELNS1_3repE0EEENS1_30default_config_static_selectorELNS0_4arch9wavefront6targetE1EEEvSP_,comdat
	.protected	_ZN7rocprim17ROCPRIM_400000_NS6detail17trampoline_kernelINS0_14default_configENS1_27lower_bound_config_selectorItiEEZNS1_14transform_implILb0ES3_S5_N6thrust23THRUST_200600_302600_NS6detail15normal_iteratorINS8_10device_ptrItEEEENSA_INSB_IiEEEEZNS1_13binary_searchIS3_S5_SD_SD_SF_NS1_21lower_bound_search_opENS9_16wrapped_functionINS0_4lessIvEEbEEEE10hipError_tPvRmT1_T2_T3_mmT4_T5_P12ihipStream_tbEUlRKtE_EESM_SQ_SR_mSS_SV_bEUlT_E_NS1_11comp_targetILNS1_3genE9ELNS1_11target_archE1100ELNS1_3gpuE3ELNS1_3repE0EEENS1_30default_config_static_selectorELNS0_4arch9wavefront6targetE1EEEvSP_ ; -- Begin function _ZN7rocprim17ROCPRIM_400000_NS6detail17trampoline_kernelINS0_14default_configENS1_27lower_bound_config_selectorItiEEZNS1_14transform_implILb0ES3_S5_N6thrust23THRUST_200600_302600_NS6detail15normal_iteratorINS8_10device_ptrItEEEENSA_INSB_IiEEEEZNS1_13binary_searchIS3_S5_SD_SD_SF_NS1_21lower_bound_search_opENS9_16wrapped_functionINS0_4lessIvEEbEEEE10hipError_tPvRmT1_T2_T3_mmT4_T5_P12ihipStream_tbEUlRKtE_EESM_SQ_SR_mSS_SV_bEUlT_E_NS1_11comp_targetILNS1_3genE9ELNS1_11target_archE1100ELNS1_3gpuE3ELNS1_3repE0EEENS1_30default_config_static_selectorELNS0_4arch9wavefront6targetE1EEEvSP_
	.globl	_ZN7rocprim17ROCPRIM_400000_NS6detail17trampoline_kernelINS0_14default_configENS1_27lower_bound_config_selectorItiEEZNS1_14transform_implILb0ES3_S5_N6thrust23THRUST_200600_302600_NS6detail15normal_iteratorINS8_10device_ptrItEEEENSA_INSB_IiEEEEZNS1_13binary_searchIS3_S5_SD_SD_SF_NS1_21lower_bound_search_opENS9_16wrapped_functionINS0_4lessIvEEbEEEE10hipError_tPvRmT1_T2_T3_mmT4_T5_P12ihipStream_tbEUlRKtE_EESM_SQ_SR_mSS_SV_bEUlT_E_NS1_11comp_targetILNS1_3genE9ELNS1_11target_archE1100ELNS1_3gpuE3ELNS1_3repE0EEENS1_30default_config_static_selectorELNS0_4arch9wavefront6targetE1EEEvSP_
	.p2align	8
	.type	_ZN7rocprim17ROCPRIM_400000_NS6detail17trampoline_kernelINS0_14default_configENS1_27lower_bound_config_selectorItiEEZNS1_14transform_implILb0ES3_S5_N6thrust23THRUST_200600_302600_NS6detail15normal_iteratorINS8_10device_ptrItEEEENSA_INSB_IiEEEEZNS1_13binary_searchIS3_S5_SD_SD_SF_NS1_21lower_bound_search_opENS9_16wrapped_functionINS0_4lessIvEEbEEEE10hipError_tPvRmT1_T2_T3_mmT4_T5_P12ihipStream_tbEUlRKtE_EESM_SQ_SR_mSS_SV_bEUlT_E_NS1_11comp_targetILNS1_3genE9ELNS1_11target_archE1100ELNS1_3gpuE3ELNS1_3repE0EEENS1_30default_config_static_selectorELNS0_4arch9wavefront6targetE1EEEvSP_,@function
_ZN7rocprim17ROCPRIM_400000_NS6detail17trampoline_kernelINS0_14default_configENS1_27lower_bound_config_selectorItiEEZNS1_14transform_implILb0ES3_S5_N6thrust23THRUST_200600_302600_NS6detail15normal_iteratorINS8_10device_ptrItEEEENSA_INSB_IiEEEEZNS1_13binary_searchIS3_S5_SD_SD_SF_NS1_21lower_bound_search_opENS9_16wrapped_functionINS0_4lessIvEEbEEEE10hipError_tPvRmT1_T2_T3_mmT4_T5_P12ihipStream_tbEUlRKtE_EESM_SQ_SR_mSS_SV_bEUlT_E_NS1_11comp_targetILNS1_3genE9ELNS1_11target_archE1100ELNS1_3gpuE3ELNS1_3repE0EEENS1_30default_config_static_selectorELNS0_4arch9wavefront6targetE1EEEvSP_: ; @_ZN7rocprim17ROCPRIM_400000_NS6detail17trampoline_kernelINS0_14default_configENS1_27lower_bound_config_selectorItiEEZNS1_14transform_implILb0ES3_S5_N6thrust23THRUST_200600_302600_NS6detail15normal_iteratorINS8_10device_ptrItEEEENSA_INSB_IiEEEEZNS1_13binary_searchIS3_S5_SD_SD_SF_NS1_21lower_bound_search_opENS9_16wrapped_functionINS0_4lessIvEEbEEEE10hipError_tPvRmT1_T2_T3_mmT4_T5_P12ihipStream_tbEUlRKtE_EESM_SQ_SR_mSS_SV_bEUlT_E_NS1_11comp_targetILNS1_3genE9ELNS1_11target_archE1100ELNS1_3gpuE3ELNS1_3repE0EEENS1_30default_config_static_selectorELNS0_4arch9wavefront6targetE1EEEvSP_
; %bb.0:
	.section	.rodata,"a",@progbits
	.p2align	6, 0x0
	.amdhsa_kernel _ZN7rocprim17ROCPRIM_400000_NS6detail17trampoline_kernelINS0_14default_configENS1_27lower_bound_config_selectorItiEEZNS1_14transform_implILb0ES3_S5_N6thrust23THRUST_200600_302600_NS6detail15normal_iteratorINS8_10device_ptrItEEEENSA_INSB_IiEEEEZNS1_13binary_searchIS3_S5_SD_SD_SF_NS1_21lower_bound_search_opENS9_16wrapped_functionINS0_4lessIvEEbEEEE10hipError_tPvRmT1_T2_T3_mmT4_T5_P12ihipStream_tbEUlRKtE_EESM_SQ_SR_mSS_SV_bEUlT_E_NS1_11comp_targetILNS1_3genE9ELNS1_11target_archE1100ELNS1_3gpuE3ELNS1_3repE0EEENS1_30default_config_static_selectorELNS0_4arch9wavefront6targetE1EEEvSP_
		.amdhsa_group_segment_fixed_size 0
		.amdhsa_private_segment_fixed_size 0
		.amdhsa_kernarg_size 56
		.amdhsa_user_sgpr_count 6
		.amdhsa_user_sgpr_private_segment_buffer 1
		.amdhsa_user_sgpr_dispatch_ptr 0
		.amdhsa_user_sgpr_queue_ptr 0
		.amdhsa_user_sgpr_kernarg_segment_ptr 1
		.amdhsa_user_sgpr_dispatch_id 0
		.amdhsa_user_sgpr_flat_scratch_init 0
		.amdhsa_user_sgpr_kernarg_preload_length 0
		.amdhsa_user_sgpr_kernarg_preload_offset 0
		.amdhsa_user_sgpr_private_segment_size 0
		.amdhsa_uses_dynamic_stack 0
		.amdhsa_system_sgpr_private_segment_wavefront_offset 0
		.amdhsa_system_sgpr_workgroup_id_x 1
		.amdhsa_system_sgpr_workgroup_id_y 0
		.amdhsa_system_sgpr_workgroup_id_z 0
		.amdhsa_system_sgpr_workgroup_info 0
		.amdhsa_system_vgpr_workitem_id 0
		.amdhsa_next_free_vgpr 1
		.amdhsa_next_free_sgpr 0
		.amdhsa_accum_offset 4
		.amdhsa_reserve_vcc 0
		.amdhsa_reserve_flat_scratch 0
		.amdhsa_float_round_mode_32 0
		.amdhsa_float_round_mode_16_64 0
		.amdhsa_float_denorm_mode_32 3
		.amdhsa_float_denorm_mode_16_64 3
		.amdhsa_dx10_clamp 1
		.amdhsa_ieee_mode 1
		.amdhsa_fp16_overflow 0
		.amdhsa_tg_split 0
		.amdhsa_exception_fp_ieee_invalid_op 0
		.amdhsa_exception_fp_denorm_src 0
		.amdhsa_exception_fp_ieee_div_zero 0
		.amdhsa_exception_fp_ieee_overflow 0
		.amdhsa_exception_fp_ieee_underflow 0
		.amdhsa_exception_fp_ieee_inexact 0
		.amdhsa_exception_int_div_zero 0
	.end_amdhsa_kernel
	.section	.text._ZN7rocprim17ROCPRIM_400000_NS6detail17trampoline_kernelINS0_14default_configENS1_27lower_bound_config_selectorItiEEZNS1_14transform_implILb0ES3_S5_N6thrust23THRUST_200600_302600_NS6detail15normal_iteratorINS8_10device_ptrItEEEENSA_INSB_IiEEEEZNS1_13binary_searchIS3_S5_SD_SD_SF_NS1_21lower_bound_search_opENS9_16wrapped_functionINS0_4lessIvEEbEEEE10hipError_tPvRmT1_T2_T3_mmT4_T5_P12ihipStream_tbEUlRKtE_EESM_SQ_SR_mSS_SV_bEUlT_E_NS1_11comp_targetILNS1_3genE9ELNS1_11target_archE1100ELNS1_3gpuE3ELNS1_3repE0EEENS1_30default_config_static_selectorELNS0_4arch9wavefront6targetE1EEEvSP_,"axG",@progbits,_ZN7rocprim17ROCPRIM_400000_NS6detail17trampoline_kernelINS0_14default_configENS1_27lower_bound_config_selectorItiEEZNS1_14transform_implILb0ES3_S5_N6thrust23THRUST_200600_302600_NS6detail15normal_iteratorINS8_10device_ptrItEEEENSA_INSB_IiEEEEZNS1_13binary_searchIS3_S5_SD_SD_SF_NS1_21lower_bound_search_opENS9_16wrapped_functionINS0_4lessIvEEbEEEE10hipError_tPvRmT1_T2_T3_mmT4_T5_P12ihipStream_tbEUlRKtE_EESM_SQ_SR_mSS_SV_bEUlT_E_NS1_11comp_targetILNS1_3genE9ELNS1_11target_archE1100ELNS1_3gpuE3ELNS1_3repE0EEENS1_30default_config_static_selectorELNS0_4arch9wavefront6targetE1EEEvSP_,comdat
.Lfunc_end298:
	.size	_ZN7rocprim17ROCPRIM_400000_NS6detail17trampoline_kernelINS0_14default_configENS1_27lower_bound_config_selectorItiEEZNS1_14transform_implILb0ES3_S5_N6thrust23THRUST_200600_302600_NS6detail15normal_iteratorINS8_10device_ptrItEEEENSA_INSB_IiEEEEZNS1_13binary_searchIS3_S5_SD_SD_SF_NS1_21lower_bound_search_opENS9_16wrapped_functionINS0_4lessIvEEbEEEE10hipError_tPvRmT1_T2_T3_mmT4_T5_P12ihipStream_tbEUlRKtE_EESM_SQ_SR_mSS_SV_bEUlT_E_NS1_11comp_targetILNS1_3genE9ELNS1_11target_archE1100ELNS1_3gpuE3ELNS1_3repE0EEENS1_30default_config_static_selectorELNS0_4arch9wavefront6targetE1EEEvSP_, .Lfunc_end298-_ZN7rocprim17ROCPRIM_400000_NS6detail17trampoline_kernelINS0_14default_configENS1_27lower_bound_config_selectorItiEEZNS1_14transform_implILb0ES3_S5_N6thrust23THRUST_200600_302600_NS6detail15normal_iteratorINS8_10device_ptrItEEEENSA_INSB_IiEEEEZNS1_13binary_searchIS3_S5_SD_SD_SF_NS1_21lower_bound_search_opENS9_16wrapped_functionINS0_4lessIvEEbEEEE10hipError_tPvRmT1_T2_T3_mmT4_T5_P12ihipStream_tbEUlRKtE_EESM_SQ_SR_mSS_SV_bEUlT_E_NS1_11comp_targetILNS1_3genE9ELNS1_11target_archE1100ELNS1_3gpuE3ELNS1_3repE0EEENS1_30default_config_static_selectorELNS0_4arch9wavefront6targetE1EEEvSP_
                                        ; -- End function
	.section	.AMDGPU.csdata,"",@progbits
; Kernel info:
; codeLenInByte = 0
; NumSgprs: 4
; NumVgprs: 0
; NumAgprs: 0
; TotalNumVgprs: 0
; ScratchSize: 0
; MemoryBound: 0
; FloatMode: 240
; IeeeMode: 1
; LDSByteSize: 0 bytes/workgroup (compile time only)
; SGPRBlocks: 0
; VGPRBlocks: 0
; NumSGPRsForWavesPerEU: 4
; NumVGPRsForWavesPerEU: 1
; AccumOffset: 4
; Occupancy: 8
; WaveLimiterHint : 0
; COMPUTE_PGM_RSRC2:SCRATCH_EN: 0
; COMPUTE_PGM_RSRC2:USER_SGPR: 6
; COMPUTE_PGM_RSRC2:TRAP_HANDLER: 0
; COMPUTE_PGM_RSRC2:TGID_X_EN: 1
; COMPUTE_PGM_RSRC2:TGID_Y_EN: 0
; COMPUTE_PGM_RSRC2:TGID_Z_EN: 0
; COMPUTE_PGM_RSRC2:TIDIG_COMP_CNT: 0
; COMPUTE_PGM_RSRC3_GFX90A:ACCUM_OFFSET: 0
; COMPUTE_PGM_RSRC3_GFX90A:TG_SPLIT: 0
	.section	.text._ZN7rocprim17ROCPRIM_400000_NS6detail17trampoline_kernelINS0_14default_configENS1_27lower_bound_config_selectorItiEEZNS1_14transform_implILb0ES3_S5_N6thrust23THRUST_200600_302600_NS6detail15normal_iteratorINS8_10device_ptrItEEEENSA_INSB_IiEEEEZNS1_13binary_searchIS3_S5_SD_SD_SF_NS1_21lower_bound_search_opENS9_16wrapped_functionINS0_4lessIvEEbEEEE10hipError_tPvRmT1_T2_T3_mmT4_T5_P12ihipStream_tbEUlRKtE_EESM_SQ_SR_mSS_SV_bEUlT_E_NS1_11comp_targetILNS1_3genE8ELNS1_11target_archE1030ELNS1_3gpuE2ELNS1_3repE0EEENS1_30default_config_static_selectorELNS0_4arch9wavefront6targetE1EEEvSP_,"axG",@progbits,_ZN7rocprim17ROCPRIM_400000_NS6detail17trampoline_kernelINS0_14default_configENS1_27lower_bound_config_selectorItiEEZNS1_14transform_implILb0ES3_S5_N6thrust23THRUST_200600_302600_NS6detail15normal_iteratorINS8_10device_ptrItEEEENSA_INSB_IiEEEEZNS1_13binary_searchIS3_S5_SD_SD_SF_NS1_21lower_bound_search_opENS9_16wrapped_functionINS0_4lessIvEEbEEEE10hipError_tPvRmT1_T2_T3_mmT4_T5_P12ihipStream_tbEUlRKtE_EESM_SQ_SR_mSS_SV_bEUlT_E_NS1_11comp_targetILNS1_3genE8ELNS1_11target_archE1030ELNS1_3gpuE2ELNS1_3repE0EEENS1_30default_config_static_selectorELNS0_4arch9wavefront6targetE1EEEvSP_,comdat
	.protected	_ZN7rocprim17ROCPRIM_400000_NS6detail17trampoline_kernelINS0_14default_configENS1_27lower_bound_config_selectorItiEEZNS1_14transform_implILb0ES3_S5_N6thrust23THRUST_200600_302600_NS6detail15normal_iteratorINS8_10device_ptrItEEEENSA_INSB_IiEEEEZNS1_13binary_searchIS3_S5_SD_SD_SF_NS1_21lower_bound_search_opENS9_16wrapped_functionINS0_4lessIvEEbEEEE10hipError_tPvRmT1_T2_T3_mmT4_T5_P12ihipStream_tbEUlRKtE_EESM_SQ_SR_mSS_SV_bEUlT_E_NS1_11comp_targetILNS1_3genE8ELNS1_11target_archE1030ELNS1_3gpuE2ELNS1_3repE0EEENS1_30default_config_static_selectorELNS0_4arch9wavefront6targetE1EEEvSP_ ; -- Begin function _ZN7rocprim17ROCPRIM_400000_NS6detail17trampoline_kernelINS0_14default_configENS1_27lower_bound_config_selectorItiEEZNS1_14transform_implILb0ES3_S5_N6thrust23THRUST_200600_302600_NS6detail15normal_iteratorINS8_10device_ptrItEEEENSA_INSB_IiEEEEZNS1_13binary_searchIS3_S5_SD_SD_SF_NS1_21lower_bound_search_opENS9_16wrapped_functionINS0_4lessIvEEbEEEE10hipError_tPvRmT1_T2_T3_mmT4_T5_P12ihipStream_tbEUlRKtE_EESM_SQ_SR_mSS_SV_bEUlT_E_NS1_11comp_targetILNS1_3genE8ELNS1_11target_archE1030ELNS1_3gpuE2ELNS1_3repE0EEENS1_30default_config_static_selectorELNS0_4arch9wavefront6targetE1EEEvSP_
	.globl	_ZN7rocprim17ROCPRIM_400000_NS6detail17trampoline_kernelINS0_14default_configENS1_27lower_bound_config_selectorItiEEZNS1_14transform_implILb0ES3_S5_N6thrust23THRUST_200600_302600_NS6detail15normal_iteratorINS8_10device_ptrItEEEENSA_INSB_IiEEEEZNS1_13binary_searchIS3_S5_SD_SD_SF_NS1_21lower_bound_search_opENS9_16wrapped_functionINS0_4lessIvEEbEEEE10hipError_tPvRmT1_T2_T3_mmT4_T5_P12ihipStream_tbEUlRKtE_EESM_SQ_SR_mSS_SV_bEUlT_E_NS1_11comp_targetILNS1_3genE8ELNS1_11target_archE1030ELNS1_3gpuE2ELNS1_3repE0EEENS1_30default_config_static_selectorELNS0_4arch9wavefront6targetE1EEEvSP_
	.p2align	8
	.type	_ZN7rocprim17ROCPRIM_400000_NS6detail17trampoline_kernelINS0_14default_configENS1_27lower_bound_config_selectorItiEEZNS1_14transform_implILb0ES3_S5_N6thrust23THRUST_200600_302600_NS6detail15normal_iteratorINS8_10device_ptrItEEEENSA_INSB_IiEEEEZNS1_13binary_searchIS3_S5_SD_SD_SF_NS1_21lower_bound_search_opENS9_16wrapped_functionINS0_4lessIvEEbEEEE10hipError_tPvRmT1_T2_T3_mmT4_T5_P12ihipStream_tbEUlRKtE_EESM_SQ_SR_mSS_SV_bEUlT_E_NS1_11comp_targetILNS1_3genE8ELNS1_11target_archE1030ELNS1_3gpuE2ELNS1_3repE0EEENS1_30default_config_static_selectorELNS0_4arch9wavefront6targetE1EEEvSP_,@function
_ZN7rocprim17ROCPRIM_400000_NS6detail17trampoline_kernelINS0_14default_configENS1_27lower_bound_config_selectorItiEEZNS1_14transform_implILb0ES3_S5_N6thrust23THRUST_200600_302600_NS6detail15normal_iteratorINS8_10device_ptrItEEEENSA_INSB_IiEEEEZNS1_13binary_searchIS3_S5_SD_SD_SF_NS1_21lower_bound_search_opENS9_16wrapped_functionINS0_4lessIvEEbEEEE10hipError_tPvRmT1_T2_T3_mmT4_T5_P12ihipStream_tbEUlRKtE_EESM_SQ_SR_mSS_SV_bEUlT_E_NS1_11comp_targetILNS1_3genE8ELNS1_11target_archE1030ELNS1_3gpuE2ELNS1_3repE0EEENS1_30default_config_static_selectorELNS0_4arch9wavefront6targetE1EEEvSP_: ; @_ZN7rocprim17ROCPRIM_400000_NS6detail17trampoline_kernelINS0_14default_configENS1_27lower_bound_config_selectorItiEEZNS1_14transform_implILb0ES3_S5_N6thrust23THRUST_200600_302600_NS6detail15normal_iteratorINS8_10device_ptrItEEEENSA_INSB_IiEEEEZNS1_13binary_searchIS3_S5_SD_SD_SF_NS1_21lower_bound_search_opENS9_16wrapped_functionINS0_4lessIvEEbEEEE10hipError_tPvRmT1_T2_T3_mmT4_T5_P12ihipStream_tbEUlRKtE_EESM_SQ_SR_mSS_SV_bEUlT_E_NS1_11comp_targetILNS1_3genE8ELNS1_11target_archE1030ELNS1_3gpuE2ELNS1_3repE0EEENS1_30default_config_static_selectorELNS0_4arch9wavefront6targetE1EEEvSP_
; %bb.0:
	.section	.rodata,"a",@progbits
	.p2align	6, 0x0
	.amdhsa_kernel _ZN7rocprim17ROCPRIM_400000_NS6detail17trampoline_kernelINS0_14default_configENS1_27lower_bound_config_selectorItiEEZNS1_14transform_implILb0ES3_S5_N6thrust23THRUST_200600_302600_NS6detail15normal_iteratorINS8_10device_ptrItEEEENSA_INSB_IiEEEEZNS1_13binary_searchIS3_S5_SD_SD_SF_NS1_21lower_bound_search_opENS9_16wrapped_functionINS0_4lessIvEEbEEEE10hipError_tPvRmT1_T2_T3_mmT4_T5_P12ihipStream_tbEUlRKtE_EESM_SQ_SR_mSS_SV_bEUlT_E_NS1_11comp_targetILNS1_3genE8ELNS1_11target_archE1030ELNS1_3gpuE2ELNS1_3repE0EEENS1_30default_config_static_selectorELNS0_4arch9wavefront6targetE1EEEvSP_
		.amdhsa_group_segment_fixed_size 0
		.amdhsa_private_segment_fixed_size 0
		.amdhsa_kernarg_size 56
		.amdhsa_user_sgpr_count 6
		.amdhsa_user_sgpr_private_segment_buffer 1
		.amdhsa_user_sgpr_dispatch_ptr 0
		.amdhsa_user_sgpr_queue_ptr 0
		.amdhsa_user_sgpr_kernarg_segment_ptr 1
		.amdhsa_user_sgpr_dispatch_id 0
		.amdhsa_user_sgpr_flat_scratch_init 0
		.amdhsa_user_sgpr_kernarg_preload_length 0
		.amdhsa_user_sgpr_kernarg_preload_offset 0
		.amdhsa_user_sgpr_private_segment_size 0
		.amdhsa_uses_dynamic_stack 0
		.amdhsa_system_sgpr_private_segment_wavefront_offset 0
		.amdhsa_system_sgpr_workgroup_id_x 1
		.amdhsa_system_sgpr_workgroup_id_y 0
		.amdhsa_system_sgpr_workgroup_id_z 0
		.amdhsa_system_sgpr_workgroup_info 0
		.amdhsa_system_vgpr_workitem_id 0
		.amdhsa_next_free_vgpr 1
		.amdhsa_next_free_sgpr 0
		.amdhsa_accum_offset 4
		.amdhsa_reserve_vcc 0
		.amdhsa_reserve_flat_scratch 0
		.amdhsa_float_round_mode_32 0
		.amdhsa_float_round_mode_16_64 0
		.amdhsa_float_denorm_mode_32 3
		.amdhsa_float_denorm_mode_16_64 3
		.amdhsa_dx10_clamp 1
		.amdhsa_ieee_mode 1
		.amdhsa_fp16_overflow 0
		.amdhsa_tg_split 0
		.amdhsa_exception_fp_ieee_invalid_op 0
		.amdhsa_exception_fp_denorm_src 0
		.amdhsa_exception_fp_ieee_div_zero 0
		.amdhsa_exception_fp_ieee_overflow 0
		.amdhsa_exception_fp_ieee_underflow 0
		.amdhsa_exception_fp_ieee_inexact 0
		.amdhsa_exception_int_div_zero 0
	.end_amdhsa_kernel
	.section	.text._ZN7rocprim17ROCPRIM_400000_NS6detail17trampoline_kernelINS0_14default_configENS1_27lower_bound_config_selectorItiEEZNS1_14transform_implILb0ES3_S5_N6thrust23THRUST_200600_302600_NS6detail15normal_iteratorINS8_10device_ptrItEEEENSA_INSB_IiEEEEZNS1_13binary_searchIS3_S5_SD_SD_SF_NS1_21lower_bound_search_opENS9_16wrapped_functionINS0_4lessIvEEbEEEE10hipError_tPvRmT1_T2_T3_mmT4_T5_P12ihipStream_tbEUlRKtE_EESM_SQ_SR_mSS_SV_bEUlT_E_NS1_11comp_targetILNS1_3genE8ELNS1_11target_archE1030ELNS1_3gpuE2ELNS1_3repE0EEENS1_30default_config_static_selectorELNS0_4arch9wavefront6targetE1EEEvSP_,"axG",@progbits,_ZN7rocprim17ROCPRIM_400000_NS6detail17trampoline_kernelINS0_14default_configENS1_27lower_bound_config_selectorItiEEZNS1_14transform_implILb0ES3_S5_N6thrust23THRUST_200600_302600_NS6detail15normal_iteratorINS8_10device_ptrItEEEENSA_INSB_IiEEEEZNS1_13binary_searchIS3_S5_SD_SD_SF_NS1_21lower_bound_search_opENS9_16wrapped_functionINS0_4lessIvEEbEEEE10hipError_tPvRmT1_T2_T3_mmT4_T5_P12ihipStream_tbEUlRKtE_EESM_SQ_SR_mSS_SV_bEUlT_E_NS1_11comp_targetILNS1_3genE8ELNS1_11target_archE1030ELNS1_3gpuE2ELNS1_3repE0EEENS1_30default_config_static_selectorELNS0_4arch9wavefront6targetE1EEEvSP_,comdat
.Lfunc_end299:
	.size	_ZN7rocprim17ROCPRIM_400000_NS6detail17trampoline_kernelINS0_14default_configENS1_27lower_bound_config_selectorItiEEZNS1_14transform_implILb0ES3_S5_N6thrust23THRUST_200600_302600_NS6detail15normal_iteratorINS8_10device_ptrItEEEENSA_INSB_IiEEEEZNS1_13binary_searchIS3_S5_SD_SD_SF_NS1_21lower_bound_search_opENS9_16wrapped_functionINS0_4lessIvEEbEEEE10hipError_tPvRmT1_T2_T3_mmT4_T5_P12ihipStream_tbEUlRKtE_EESM_SQ_SR_mSS_SV_bEUlT_E_NS1_11comp_targetILNS1_3genE8ELNS1_11target_archE1030ELNS1_3gpuE2ELNS1_3repE0EEENS1_30default_config_static_selectorELNS0_4arch9wavefront6targetE1EEEvSP_, .Lfunc_end299-_ZN7rocprim17ROCPRIM_400000_NS6detail17trampoline_kernelINS0_14default_configENS1_27lower_bound_config_selectorItiEEZNS1_14transform_implILb0ES3_S5_N6thrust23THRUST_200600_302600_NS6detail15normal_iteratorINS8_10device_ptrItEEEENSA_INSB_IiEEEEZNS1_13binary_searchIS3_S5_SD_SD_SF_NS1_21lower_bound_search_opENS9_16wrapped_functionINS0_4lessIvEEbEEEE10hipError_tPvRmT1_T2_T3_mmT4_T5_P12ihipStream_tbEUlRKtE_EESM_SQ_SR_mSS_SV_bEUlT_E_NS1_11comp_targetILNS1_3genE8ELNS1_11target_archE1030ELNS1_3gpuE2ELNS1_3repE0EEENS1_30default_config_static_selectorELNS0_4arch9wavefront6targetE1EEEvSP_
                                        ; -- End function
	.section	.AMDGPU.csdata,"",@progbits
; Kernel info:
; codeLenInByte = 0
; NumSgprs: 4
; NumVgprs: 0
; NumAgprs: 0
; TotalNumVgprs: 0
; ScratchSize: 0
; MemoryBound: 0
; FloatMode: 240
; IeeeMode: 1
; LDSByteSize: 0 bytes/workgroup (compile time only)
; SGPRBlocks: 0
; VGPRBlocks: 0
; NumSGPRsForWavesPerEU: 4
; NumVGPRsForWavesPerEU: 1
; AccumOffset: 4
; Occupancy: 8
; WaveLimiterHint : 0
; COMPUTE_PGM_RSRC2:SCRATCH_EN: 0
; COMPUTE_PGM_RSRC2:USER_SGPR: 6
; COMPUTE_PGM_RSRC2:TRAP_HANDLER: 0
; COMPUTE_PGM_RSRC2:TGID_X_EN: 1
; COMPUTE_PGM_RSRC2:TGID_Y_EN: 0
; COMPUTE_PGM_RSRC2:TGID_Z_EN: 0
; COMPUTE_PGM_RSRC2:TIDIG_COMP_CNT: 0
; COMPUTE_PGM_RSRC3_GFX90A:ACCUM_OFFSET: 0
; COMPUTE_PGM_RSRC3_GFX90A:TG_SPLIT: 0
	.section	.text._ZN6thrust23THRUST_200600_302600_NS11hip_rocprim14__parallel_for6kernelILj256ENS1_10__tabulate7functorINS0_6detail15normal_iteratorINS0_10device_ptrIxEEEENS0_6system6detail7generic6detail22compute_sequence_valueIxvEElEElLj1EEEvT0_T1_SJ_,"axG",@progbits,_ZN6thrust23THRUST_200600_302600_NS11hip_rocprim14__parallel_for6kernelILj256ENS1_10__tabulate7functorINS0_6detail15normal_iteratorINS0_10device_ptrIxEEEENS0_6system6detail7generic6detail22compute_sequence_valueIxvEElEElLj1EEEvT0_T1_SJ_,comdat
	.protected	_ZN6thrust23THRUST_200600_302600_NS11hip_rocprim14__parallel_for6kernelILj256ENS1_10__tabulate7functorINS0_6detail15normal_iteratorINS0_10device_ptrIxEEEENS0_6system6detail7generic6detail22compute_sequence_valueIxvEElEElLj1EEEvT0_T1_SJ_ ; -- Begin function _ZN6thrust23THRUST_200600_302600_NS11hip_rocprim14__parallel_for6kernelILj256ENS1_10__tabulate7functorINS0_6detail15normal_iteratorINS0_10device_ptrIxEEEENS0_6system6detail7generic6detail22compute_sequence_valueIxvEElEElLj1EEEvT0_T1_SJ_
	.globl	_ZN6thrust23THRUST_200600_302600_NS11hip_rocprim14__parallel_for6kernelILj256ENS1_10__tabulate7functorINS0_6detail15normal_iteratorINS0_10device_ptrIxEEEENS0_6system6detail7generic6detail22compute_sequence_valueIxvEElEElLj1EEEvT0_T1_SJ_
	.p2align	8
	.type	_ZN6thrust23THRUST_200600_302600_NS11hip_rocprim14__parallel_for6kernelILj256ENS1_10__tabulate7functorINS0_6detail15normal_iteratorINS0_10device_ptrIxEEEENS0_6system6detail7generic6detail22compute_sequence_valueIxvEElEElLj1EEEvT0_T1_SJ_,@function
_ZN6thrust23THRUST_200600_302600_NS11hip_rocprim14__parallel_for6kernelILj256ENS1_10__tabulate7functorINS0_6detail15normal_iteratorINS0_10device_ptrIxEEEENS0_6system6detail7generic6detail22compute_sequence_valueIxvEElEElLj1EEEvT0_T1_SJ_: ; @_ZN6thrust23THRUST_200600_302600_NS11hip_rocprim14__parallel_for6kernelILj256ENS1_10__tabulate7functorINS0_6detail15normal_iteratorINS0_10device_ptrIxEEEENS0_6system6detail7generic6detail22compute_sequence_valueIxvEElEElLj1EEEvT0_T1_SJ_
; %bb.0:
	s_load_dwordx4 s[8:11], s[4:5], 0x18
	s_lshl_b32 s0, s6, 8
	v_mov_b32_e32 v2, 0x100
	v_mov_b32_e32 v3, 0
	s_waitcnt lgkmcnt(0)
	s_add_u32 s0, s0, s10
	s_addc_u32 s1, 0, s11
	s_sub_u32 s2, s8, s0
	s_subb_u32 s3, s9, s1
	v_cmp_lt_i64_e32 vcc, s[2:3], v[2:3]
	s_and_b64 s[6:7], vcc, exec
	s_cselect_b32 s6, s2, 0x100
	s_cmpk_eq_i32 s6, 0x100
	s_cselect_b64 s[2:3], -1, 0
	v_cmp_gt_u32_e32 vcc, s6, v0
	s_or_b64 s[2:3], s[2:3], vcc
	s_and_saveexec_b64 s[6:7], s[2:3]
	s_cbranch_execz .LBB300_2
; %bb.1:
	s_load_dwordx4 s[8:11], s[4:5], 0x0
	s_load_dwordx2 s[2:3], s[4:5], 0x10
	v_mov_b32_e32 v1, s1
	v_add_co_u32_e32 v0, vcc, s0, v0
	s_waitcnt lgkmcnt(0)
	v_mov_b32_e32 v2, s10
	v_mov_b32_e32 v3, s11
	v_addc_co_u32_e32 v1, vcc, 0, v1, vcc
	v_mad_u64_u32 v[2:3], s[0:1], s2, v0, v[2:3]
	v_mul_lo_u32 v4, s2, v1
	v_mul_lo_u32 v5, s3, v0
	v_lshlrev_b64 v[0:1], 3, v[0:1]
	v_add3_u32 v3, v5, v3, v4
	v_mov_b32_e32 v4, s9
	v_add_co_u32_e32 v0, vcc, s8, v0
	v_addc_co_u32_e32 v1, vcc, v4, v1, vcc
	flat_store_dwordx2 v[0:1], v[2:3]
.LBB300_2:
	s_endpgm
	.section	.rodata,"a",@progbits
	.p2align	6, 0x0
	.amdhsa_kernel _ZN6thrust23THRUST_200600_302600_NS11hip_rocprim14__parallel_for6kernelILj256ENS1_10__tabulate7functorINS0_6detail15normal_iteratorINS0_10device_ptrIxEEEENS0_6system6detail7generic6detail22compute_sequence_valueIxvEElEElLj1EEEvT0_T1_SJ_
		.amdhsa_group_segment_fixed_size 0
		.amdhsa_private_segment_fixed_size 0
		.amdhsa_kernarg_size 40
		.amdhsa_user_sgpr_count 6
		.amdhsa_user_sgpr_private_segment_buffer 1
		.amdhsa_user_sgpr_dispatch_ptr 0
		.amdhsa_user_sgpr_queue_ptr 0
		.amdhsa_user_sgpr_kernarg_segment_ptr 1
		.amdhsa_user_sgpr_dispatch_id 0
		.amdhsa_user_sgpr_flat_scratch_init 0
		.amdhsa_user_sgpr_kernarg_preload_length 0
		.amdhsa_user_sgpr_kernarg_preload_offset 0
		.amdhsa_user_sgpr_private_segment_size 0
		.amdhsa_uses_dynamic_stack 0
		.amdhsa_system_sgpr_private_segment_wavefront_offset 0
		.amdhsa_system_sgpr_workgroup_id_x 1
		.amdhsa_system_sgpr_workgroup_id_y 0
		.amdhsa_system_sgpr_workgroup_id_z 0
		.amdhsa_system_sgpr_workgroup_info 0
		.amdhsa_system_vgpr_workitem_id 0
		.amdhsa_next_free_vgpr 6
		.amdhsa_next_free_sgpr 12
		.amdhsa_accum_offset 8
		.amdhsa_reserve_vcc 1
		.amdhsa_reserve_flat_scratch 0
		.amdhsa_float_round_mode_32 0
		.amdhsa_float_round_mode_16_64 0
		.amdhsa_float_denorm_mode_32 3
		.amdhsa_float_denorm_mode_16_64 3
		.amdhsa_dx10_clamp 1
		.amdhsa_ieee_mode 1
		.amdhsa_fp16_overflow 0
		.amdhsa_tg_split 0
		.amdhsa_exception_fp_ieee_invalid_op 0
		.amdhsa_exception_fp_denorm_src 0
		.amdhsa_exception_fp_ieee_div_zero 0
		.amdhsa_exception_fp_ieee_overflow 0
		.amdhsa_exception_fp_ieee_underflow 0
		.amdhsa_exception_fp_ieee_inexact 0
		.amdhsa_exception_int_div_zero 0
	.end_amdhsa_kernel
	.section	.text._ZN6thrust23THRUST_200600_302600_NS11hip_rocprim14__parallel_for6kernelILj256ENS1_10__tabulate7functorINS0_6detail15normal_iteratorINS0_10device_ptrIxEEEENS0_6system6detail7generic6detail22compute_sequence_valueIxvEElEElLj1EEEvT0_T1_SJ_,"axG",@progbits,_ZN6thrust23THRUST_200600_302600_NS11hip_rocprim14__parallel_for6kernelILj256ENS1_10__tabulate7functorINS0_6detail15normal_iteratorINS0_10device_ptrIxEEEENS0_6system6detail7generic6detail22compute_sequence_valueIxvEElEElLj1EEEvT0_T1_SJ_,comdat
.Lfunc_end300:
	.size	_ZN6thrust23THRUST_200600_302600_NS11hip_rocprim14__parallel_for6kernelILj256ENS1_10__tabulate7functorINS0_6detail15normal_iteratorINS0_10device_ptrIxEEEENS0_6system6detail7generic6detail22compute_sequence_valueIxvEElEElLj1EEEvT0_T1_SJ_, .Lfunc_end300-_ZN6thrust23THRUST_200600_302600_NS11hip_rocprim14__parallel_for6kernelILj256ENS1_10__tabulate7functorINS0_6detail15normal_iteratorINS0_10device_ptrIxEEEENS0_6system6detail7generic6detail22compute_sequence_valueIxvEElEElLj1EEEvT0_T1_SJ_
                                        ; -- End function
	.section	.AMDGPU.csdata,"",@progbits
; Kernel info:
; codeLenInByte = 188
; NumSgprs: 16
; NumVgprs: 6
; NumAgprs: 0
; TotalNumVgprs: 6
; ScratchSize: 0
; MemoryBound: 0
; FloatMode: 240
; IeeeMode: 1
; LDSByteSize: 0 bytes/workgroup (compile time only)
; SGPRBlocks: 1
; VGPRBlocks: 0
; NumSGPRsForWavesPerEU: 16
; NumVGPRsForWavesPerEU: 6
; AccumOffset: 8
; Occupancy: 8
; WaveLimiterHint : 0
; COMPUTE_PGM_RSRC2:SCRATCH_EN: 0
; COMPUTE_PGM_RSRC2:USER_SGPR: 6
; COMPUTE_PGM_RSRC2:TRAP_HANDLER: 0
; COMPUTE_PGM_RSRC2:TGID_X_EN: 1
; COMPUTE_PGM_RSRC2:TGID_Y_EN: 0
; COMPUTE_PGM_RSRC2:TGID_Z_EN: 0
; COMPUTE_PGM_RSRC2:TIDIG_COMP_CNT: 0
; COMPUTE_PGM_RSRC3_GFX90A:ACCUM_OFFSET: 1
; COMPUTE_PGM_RSRC3_GFX90A:TG_SPLIT: 0
	.section	.text._ZN7rocprim17ROCPRIM_400000_NS6detail17trampoline_kernelINS0_14default_configENS1_27lower_bound_config_selectorIxiEEZNS1_14transform_implILb0ES3_S5_N6thrust23THRUST_200600_302600_NS6detail15normal_iteratorINS8_10device_ptrIxEEEENSA_INSB_IiEEEEZNS1_13binary_searchIS3_S5_SD_SD_SF_NS1_21lower_bound_search_opENS9_16wrapped_functionINS0_4lessIvEEbEEEE10hipError_tPvRmT1_T2_T3_mmT4_T5_P12ihipStream_tbEUlRKxE_EESM_SQ_SR_mSS_SV_bEUlT_E_NS1_11comp_targetILNS1_3genE0ELNS1_11target_archE4294967295ELNS1_3gpuE0ELNS1_3repE0EEENS1_30default_config_static_selectorELNS0_4arch9wavefront6targetE1EEEvSP_,"axG",@progbits,_ZN7rocprim17ROCPRIM_400000_NS6detail17trampoline_kernelINS0_14default_configENS1_27lower_bound_config_selectorIxiEEZNS1_14transform_implILb0ES3_S5_N6thrust23THRUST_200600_302600_NS6detail15normal_iteratorINS8_10device_ptrIxEEEENSA_INSB_IiEEEEZNS1_13binary_searchIS3_S5_SD_SD_SF_NS1_21lower_bound_search_opENS9_16wrapped_functionINS0_4lessIvEEbEEEE10hipError_tPvRmT1_T2_T3_mmT4_T5_P12ihipStream_tbEUlRKxE_EESM_SQ_SR_mSS_SV_bEUlT_E_NS1_11comp_targetILNS1_3genE0ELNS1_11target_archE4294967295ELNS1_3gpuE0ELNS1_3repE0EEENS1_30default_config_static_selectorELNS0_4arch9wavefront6targetE1EEEvSP_,comdat
	.protected	_ZN7rocprim17ROCPRIM_400000_NS6detail17trampoline_kernelINS0_14default_configENS1_27lower_bound_config_selectorIxiEEZNS1_14transform_implILb0ES3_S5_N6thrust23THRUST_200600_302600_NS6detail15normal_iteratorINS8_10device_ptrIxEEEENSA_INSB_IiEEEEZNS1_13binary_searchIS3_S5_SD_SD_SF_NS1_21lower_bound_search_opENS9_16wrapped_functionINS0_4lessIvEEbEEEE10hipError_tPvRmT1_T2_T3_mmT4_T5_P12ihipStream_tbEUlRKxE_EESM_SQ_SR_mSS_SV_bEUlT_E_NS1_11comp_targetILNS1_3genE0ELNS1_11target_archE4294967295ELNS1_3gpuE0ELNS1_3repE0EEENS1_30default_config_static_selectorELNS0_4arch9wavefront6targetE1EEEvSP_ ; -- Begin function _ZN7rocprim17ROCPRIM_400000_NS6detail17trampoline_kernelINS0_14default_configENS1_27lower_bound_config_selectorIxiEEZNS1_14transform_implILb0ES3_S5_N6thrust23THRUST_200600_302600_NS6detail15normal_iteratorINS8_10device_ptrIxEEEENSA_INSB_IiEEEEZNS1_13binary_searchIS3_S5_SD_SD_SF_NS1_21lower_bound_search_opENS9_16wrapped_functionINS0_4lessIvEEbEEEE10hipError_tPvRmT1_T2_T3_mmT4_T5_P12ihipStream_tbEUlRKxE_EESM_SQ_SR_mSS_SV_bEUlT_E_NS1_11comp_targetILNS1_3genE0ELNS1_11target_archE4294967295ELNS1_3gpuE0ELNS1_3repE0EEENS1_30default_config_static_selectorELNS0_4arch9wavefront6targetE1EEEvSP_
	.globl	_ZN7rocprim17ROCPRIM_400000_NS6detail17trampoline_kernelINS0_14default_configENS1_27lower_bound_config_selectorIxiEEZNS1_14transform_implILb0ES3_S5_N6thrust23THRUST_200600_302600_NS6detail15normal_iteratorINS8_10device_ptrIxEEEENSA_INSB_IiEEEEZNS1_13binary_searchIS3_S5_SD_SD_SF_NS1_21lower_bound_search_opENS9_16wrapped_functionINS0_4lessIvEEbEEEE10hipError_tPvRmT1_T2_T3_mmT4_T5_P12ihipStream_tbEUlRKxE_EESM_SQ_SR_mSS_SV_bEUlT_E_NS1_11comp_targetILNS1_3genE0ELNS1_11target_archE4294967295ELNS1_3gpuE0ELNS1_3repE0EEENS1_30default_config_static_selectorELNS0_4arch9wavefront6targetE1EEEvSP_
	.p2align	8
	.type	_ZN7rocprim17ROCPRIM_400000_NS6detail17trampoline_kernelINS0_14default_configENS1_27lower_bound_config_selectorIxiEEZNS1_14transform_implILb0ES3_S5_N6thrust23THRUST_200600_302600_NS6detail15normal_iteratorINS8_10device_ptrIxEEEENSA_INSB_IiEEEEZNS1_13binary_searchIS3_S5_SD_SD_SF_NS1_21lower_bound_search_opENS9_16wrapped_functionINS0_4lessIvEEbEEEE10hipError_tPvRmT1_T2_T3_mmT4_T5_P12ihipStream_tbEUlRKxE_EESM_SQ_SR_mSS_SV_bEUlT_E_NS1_11comp_targetILNS1_3genE0ELNS1_11target_archE4294967295ELNS1_3gpuE0ELNS1_3repE0EEENS1_30default_config_static_selectorELNS0_4arch9wavefront6targetE1EEEvSP_,@function
_ZN7rocprim17ROCPRIM_400000_NS6detail17trampoline_kernelINS0_14default_configENS1_27lower_bound_config_selectorIxiEEZNS1_14transform_implILb0ES3_S5_N6thrust23THRUST_200600_302600_NS6detail15normal_iteratorINS8_10device_ptrIxEEEENSA_INSB_IiEEEEZNS1_13binary_searchIS3_S5_SD_SD_SF_NS1_21lower_bound_search_opENS9_16wrapped_functionINS0_4lessIvEEbEEEE10hipError_tPvRmT1_T2_T3_mmT4_T5_P12ihipStream_tbEUlRKxE_EESM_SQ_SR_mSS_SV_bEUlT_E_NS1_11comp_targetILNS1_3genE0ELNS1_11target_archE4294967295ELNS1_3gpuE0ELNS1_3repE0EEENS1_30default_config_static_selectorELNS0_4arch9wavefront6targetE1EEEvSP_: ; @_ZN7rocprim17ROCPRIM_400000_NS6detail17trampoline_kernelINS0_14default_configENS1_27lower_bound_config_selectorIxiEEZNS1_14transform_implILb0ES3_S5_N6thrust23THRUST_200600_302600_NS6detail15normal_iteratorINS8_10device_ptrIxEEEENSA_INSB_IiEEEEZNS1_13binary_searchIS3_S5_SD_SD_SF_NS1_21lower_bound_search_opENS9_16wrapped_functionINS0_4lessIvEEbEEEE10hipError_tPvRmT1_T2_T3_mmT4_T5_P12ihipStream_tbEUlRKxE_EESM_SQ_SR_mSS_SV_bEUlT_E_NS1_11comp_targetILNS1_3genE0ELNS1_11target_archE4294967295ELNS1_3gpuE0ELNS1_3repE0EEENS1_30default_config_static_selectorELNS0_4arch9wavefront6targetE1EEEvSP_
; %bb.0:
	.section	.rodata,"a",@progbits
	.p2align	6, 0x0
	.amdhsa_kernel _ZN7rocprim17ROCPRIM_400000_NS6detail17trampoline_kernelINS0_14default_configENS1_27lower_bound_config_selectorIxiEEZNS1_14transform_implILb0ES3_S5_N6thrust23THRUST_200600_302600_NS6detail15normal_iteratorINS8_10device_ptrIxEEEENSA_INSB_IiEEEEZNS1_13binary_searchIS3_S5_SD_SD_SF_NS1_21lower_bound_search_opENS9_16wrapped_functionINS0_4lessIvEEbEEEE10hipError_tPvRmT1_T2_T3_mmT4_T5_P12ihipStream_tbEUlRKxE_EESM_SQ_SR_mSS_SV_bEUlT_E_NS1_11comp_targetILNS1_3genE0ELNS1_11target_archE4294967295ELNS1_3gpuE0ELNS1_3repE0EEENS1_30default_config_static_selectorELNS0_4arch9wavefront6targetE1EEEvSP_
		.amdhsa_group_segment_fixed_size 0
		.amdhsa_private_segment_fixed_size 0
		.amdhsa_kernarg_size 56
		.amdhsa_user_sgpr_count 6
		.amdhsa_user_sgpr_private_segment_buffer 1
		.amdhsa_user_sgpr_dispatch_ptr 0
		.amdhsa_user_sgpr_queue_ptr 0
		.amdhsa_user_sgpr_kernarg_segment_ptr 1
		.amdhsa_user_sgpr_dispatch_id 0
		.amdhsa_user_sgpr_flat_scratch_init 0
		.amdhsa_user_sgpr_kernarg_preload_length 0
		.amdhsa_user_sgpr_kernarg_preload_offset 0
		.amdhsa_user_sgpr_private_segment_size 0
		.amdhsa_uses_dynamic_stack 0
		.amdhsa_system_sgpr_private_segment_wavefront_offset 0
		.amdhsa_system_sgpr_workgroup_id_x 1
		.amdhsa_system_sgpr_workgroup_id_y 0
		.amdhsa_system_sgpr_workgroup_id_z 0
		.amdhsa_system_sgpr_workgroup_info 0
		.amdhsa_system_vgpr_workitem_id 0
		.amdhsa_next_free_vgpr 1
		.amdhsa_next_free_sgpr 0
		.amdhsa_accum_offset 4
		.amdhsa_reserve_vcc 0
		.amdhsa_reserve_flat_scratch 0
		.amdhsa_float_round_mode_32 0
		.amdhsa_float_round_mode_16_64 0
		.amdhsa_float_denorm_mode_32 3
		.amdhsa_float_denorm_mode_16_64 3
		.amdhsa_dx10_clamp 1
		.amdhsa_ieee_mode 1
		.amdhsa_fp16_overflow 0
		.amdhsa_tg_split 0
		.amdhsa_exception_fp_ieee_invalid_op 0
		.amdhsa_exception_fp_denorm_src 0
		.amdhsa_exception_fp_ieee_div_zero 0
		.amdhsa_exception_fp_ieee_overflow 0
		.amdhsa_exception_fp_ieee_underflow 0
		.amdhsa_exception_fp_ieee_inexact 0
		.amdhsa_exception_int_div_zero 0
	.end_amdhsa_kernel
	.section	.text._ZN7rocprim17ROCPRIM_400000_NS6detail17trampoline_kernelINS0_14default_configENS1_27lower_bound_config_selectorIxiEEZNS1_14transform_implILb0ES3_S5_N6thrust23THRUST_200600_302600_NS6detail15normal_iteratorINS8_10device_ptrIxEEEENSA_INSB_IiEEEEZNS1_13binary_searchIS3_S5_SD_SD_SF_NS1_21lower_bound_search_opENS9_16wrapped_functionINS0_4lessIvEEbEEEE10hipError_tPvRmT1_T2_T3_mmT4_T5_P12ihipStream_tbEUlRKxE_EESM_SQ_SR_mSS_SV_bEUlT_E_NS1_11comp_targetILNS1_3genE0ELNS1_11target_archE4294967295ELNS1_3gpuE0ELNS1_3repE0EEENS1_30default_config_static_selectorELNS0_4arch9wavefront6targetE1EEEvSP_,"axG",@progbits,_ZN7rocprim17ROCPRIM_400000_NS6detail17trampoline_kernelINS0_14default_configENS1_27lower_bound_config_selectorIxiEEZNS1_14transform_implILb0ES3_S5_N6thrust23THRUST_200600_302600_NS6detail15normal_iteratorINS8_10device_ptrIxEEEENSA_INSB_IiEEEEZNS1_13binary_searchIS3_S5_SD_SD_SF_NS1_21lower_bound_search_opENS9_16wrapped_functionINS0_4lessIvEEbEEEE10hipError_tPvRmT1_T2_T3_mmT4_T5_P12ihipStream_tbEUlRKxE_EESM_SQ_SR_mSS_SV_bEUlT_E_NS1_11comp_targetILNS1_3genE0ELNS1_11target_archE4294967295ELNS1_3gpuE0ELNS1_3repE0EEENS1_30default_config_static_selectorELNS0_4arch9wavefront6targetE1EEEvSP_,comdat
.Lfunc_end301:
	.size	_ZN7rocprim17ROCPRIM_400000_NS6detail17trampoline_kernelINS0_14default_configENS1_27lower_bound_config_selectorIxiEEZNS1_14transform_implILb0ES3_S5_N6thrust23THRUST_200600_302600_NS6detail15normal_iteratorINS8_10device_ptrIxEEEENSA_INSB_IiEEEEZNS1_13binary_searchIS3_S5_SD_SD_SF_NS1_21lower_bound_search_opENS9_16wrapped_functionINS0_4lessIvEEbEEEE10hipError_tPvRmT1_T2_T3_mmT4_T5_P12ihipStream_tbEUlRKxE_EESM_SQ_SR_mSS_SV_bEUlT_E_NS1_11comp_targetILNS1_3genE0ELNS1_11target_archE4294967295ELNS1_3gpuE0ELNS1_3repE0EEENS1_30default_config_static_selectorELNS0_4arch9wavefront6targetE1EEEvSP_, .Lfunc_end301-_ZN7rocprim17ROCPRIM_400000_NS6detail17trampoline_kernelINS0_14default_configENS1_27lower_bound_config_selectorIxiEEZNS1_14transform_implILb0ES3_S5_N6thrust23THRUST_200600_302600_NS6detail15normal_iteratorINS8_10device_ptrIxEEEENSA_INSB_IiEEEEZNS1_13binary_searchIS3_S5_SD_SD_SF_NS1_21lower_bound_search_opENS9_16wrapped_functionINS0_4lessIvEEbEEEE10hipError_tPvRmT1_T2_T3_mmT4_T5_P12ihipStream_tbEUlRKxE_EESM_SQ_SR_mSS_SV_bEUlT_E_NS1_11comp_targetILNS1_3genE0ELNS1_11target_archE4294967295ELNS1_3gpuE0ELNS1_3repE0EEENS1_30default_config_static_selectorELNS0_4arch9wavefront6targetE1EEEvSP_
                                        ; -- End function
	.section	.AMDGPU.csdata,"",@progbits
; Kernel info:
; codeLenInByte = 0
; NumSgprs: 4
; NumVgprs: 0
; NumAgprs: 0
; TotalNumVgprs: 0
; ScratchSize: 0
; MemoryBound: 0
; FloatMode: 240
; IeeeMode: 1
; LDSByteSize: 0 bytes/workgroup (compile time only)
; SGPRBlocks: 0
; VGPRBlocks: 0
; NumSGPRsForWavesPerEU: 4
; NumVGPRsForWavesPerEU: 1
; AccumOffset: 4
; Occupancy: 8
; WaveLimiterHint : 0
; COMPUTE_PGM_RSRC2:SCRATCH_EN: 0
; COMPUTE_PGM_RSRC2:USER_SGPR: 6
; COMPUTE_PGM_RSRC2:TRAP_HANDLER: 0
; COMPUTE_PGM_RSRC2:TGID_X_EN: 1
; COMPUTE_PGM_RSRC2:TGID_Y_EN: 0
; COMPUTE_PGM_RSRC2:TGID_Z_EN: 0
; COMPUTE_PGM_RSRC2:TIDIG_COMP_CNT: 0
; COMPUTE_PGM_RSRC3_GFX90A:ACCUM_OFFSET: 0
; COMPUTE_PGM_RSRC3_GFX90A:TG_SPLIT: 0
	.section	.text._ZN7rocprim17ROCPRIM_400000_NS6detail17trampoline_kernelINS0_14default_configENS1_27lower_bound_config_selectorIxiEEZNS1_14transform_implILb0ES3_S5_N6thrust23THRUST_200600_302600_NS6detail15normal_iteratorINS8_10device_ptrIxEEEENSA_INSB_IiEEEEZNS1_13binary_searchIS3_S5_SD_SD_SF_NS1_21lower_bound_search_opENS9_16wrapped_functionINS0_4lessIvEEbEEEE10hipError_tPvRmT1_T2_T3_mmT4_T5_P12ihipStream_tbEUlRKxE_EESM_SQ_SR_mSS_SV_bEUlT_E_NS1_11comp_targetILNS1_3genE5ELNS1_11target_archE942ELNS1_3gpuE9ELNS1_3repE0EEENS1_30default_config_static_selectorELNS0_4arch9wavefront6targetE1EEEvSP_,"axG",@progbits,_ZN7rocprim17ROCPRIM_400000_NS6detail17trampoline_kernelINS0_14default_configENS1_27lower_bound_config_selectorIxiEEZNS1_14transform_implILb0ES3_S5_N6thrust23THRUST_200600_302600_NS6detail15normal_iteratorINS8_10device_ptrIxEEEENSA_INSB_IiEEEEZNS1_13binary_searchIS3_S5_SD_SD_SF_NS1_21lower_bound_search_opENS9_16wrapped_functionINS0_4lessIvEEbEEEE10hipError_tPvRmT1_T2_T3_mmT4_T5_P12ihipStream_tbEUlRKxE_EESM_SQ_SR_mSS_SV_bEUlT_E_NS1_11comp_targetILNS1_3genE5ELNS1_11target_archE942ELNS1_3gpuE9ELNS1_3repE0EEENS1_30default_config_static_selectorELNS0_4arch9wavefront6targetE1EEEvSP_,comdat
	.protected	_ZN7rocprim17ROCPRIM_400000_NS6detail17trampoline_kernelINS0_14default_configENS1_27lower_bound_config_selectorIxiEEZNS1_14transform_implILb0ES3_S5_N6thrust23THRUST_200600_302600_NS6detail15normal_iteratorINS8_10device_ptrIxEEEENSA_INSB_IiEEEEZNS1_13binary_searchIS3_S5_SD_SD_SF_NS1_21lower_bound_search_opENS9_16wrapped_functionINS0_4lessIvEEbEEEE10hipError_tPvRmT1_T2_T3_mmT4_T5_P12ihipStream_tbEUlRKxE_EESM_SQ_SR_mSS_SV_bEUlT_E_NS1_11comp_targetILNS1_3genE5ELNS1_11target_archE942ELNS1_3gpuE9ELNS1_3repE0EEENS1_30default_config_static_selectorELNS0_4arch9wavefront6targetE1EEEvSP_ ; -- Begin function _ZN7rocprim17ROCPRIM_400000_NS6detail17trampoline_kernelINS0_14default_configENS1_27lower_bound_config_selectorIxiEEZNS1_14transform_implILb0ES3_S5_N6thrust23THRUST_200600_302600_NS6detail15normal_iteratorINS8_10device_ptrIxEEEENSA_INSB_IiEEEEZNS1_13binary_searchIS3_S5_SD_SD_SF_NS1_21lower_bound_search_opENS9_16wrapped_functionINS0_4lessIvEEbEEEE10hipError_tPvRmT1_T2_T3_mmT4_T5_P12ihipStream_tbEUlRKxE_EESM_SQ_SR_mSS_SV_bEUlT_E_NS1_11comp_targetILNS1_3genE5ELNS1_11target_archE942ELNS1_3gpuE9ELNS1_3repE0EEENS1_30default_config_static_selectorELNS0_4arch9wavefront6targetE1EEEvSP_
	.globl	_ZN7rocprim17ROCPRIM_400000_NS6detail17trampoline_kernelINS0_14default_configENS1_27lower_bound_config_selectorIxiEEZNS1_14transform_implILb0ES3_S5_N6thrust23THRUST_200600_302600_NS6detail15normal_iteratorINS8_10device_ptrIxEEEENSA_INSB_IiEEEEZNS1_13binary_searchIS3_S5_SD_SD_SF_NS1_21lower_bound_search_opENS9_16wrapped_functionINS0_4lessIvEEbEEEE10hipError_tPvRmT1_T2_T3_mmT4_T5_P12ihipStream_tbEUlRKxE_EESM_SQ_SR_mSS_SV_bEUlT_E_NS1_11comp_targetILNS1_3genE5ELNS1_11target_archE942ELNS1_3gpuE9ELNS1_3repE0EEENS1_30default_config_static_selectorELNS0_4arch9wavefront6targetE1EEEvSP_
	.p2align	8
	.type	_ZN7rocprim17ROCPRIM_400000_NS6detail17trampoline_kernelINS0_14default_configENS1_27lower_bound_config_selectorIxiEEZNS1_14transform_implILb0ES3_S5_N6thrust23THRUST_200600_302600_NS6detail15normal_iteratorINS8_10device_ptrIxEEEENSA_INSB_IiEEEEZNS1_13binary_searchIS3_S5_SD_SD_SF_NS1_21lower_bound_search_opENS9_16wrapped_functionINS0_4lessIvEEbEEEE10hipError_tPvRmT1_T2_T3_mmT4_T5_P12ihipStream_tbEUlRKxE_EESM_SQ_SR_mSS_SV_bEUlT_E_NS1_11comp_targetILNS1_3genE5ELNS1_11target_archE942ELNS1_3gpuE9ELNS1_3repE0EEENS1_30default_config_static_selectorELNS0_4arch9wavefront6targetE1EEEvSP_,@function
_ZN7rocprim17ROCPRIM_400000_NS6detail17trampoline_kernelINS0_14default_configENS1_27lower_bound_config_selectorIxiEEZNS1_14transform_implILb0ES3_S5_N6thrust23THRUST_200600_302600_NS6detail15normal_iteratorINS8_10device_ptrIxEEEENSA_INSB_IiEEEEZNS1_13binary_searchIS3_S5_SD_SD_SF_NS1_21lower_bound_search_opENS9_16wrapped_functionINS0_4lessIvEEbEEEE10hipError_tPvRmT1_T2_T3_mmT4_T5_P12ihipStream_tbEUlRKxE_EESM_SQ_SR_mSS_SV_bEUlT_E_NS1_11comp_targetILNS1_3genE5ELNS1_11target_archE942ELNS1_3gpuE9ELNS1_3repE0EEENS1_30default_config_static_selectorELNS0_4arch9wavefront6targetE1EEEvSP_: ; @_ZN7rocprim17ROCPRIM_400000_NS6detail17trampoline_kernelINS0_14default_configENS1_27lower_bound_config_selectorIxiEEZNS1_14transform_implILb0ES3_S5_N6thrust23THRUST_200600_302600_NS6detail15normal_iteratorINS8_10device_ptrIxEEEENSA_INSB_IiEEEEZNS1_13binary_searchIS3_S5_SD_SD_SF_NS1_21lower_bound_search_opENS9_16wrapped_functionINS0_4lessIvEEbEEEE10hipError_tPvRmT1_T2_T3_mmT4_T5_P12ihipStream_tbEUlRKxE_EESM_SQ_SR_mSS_SV_bEUlT_E_NS1_11comp_targetILNS1_3genE5ELNS1_11target_archE942ELNS1_3gpuE9ELNS1_3repE0EEENS1_30default_config_static_selectorELNS0_4arch9wavefront6targetE1EEEvSP_
; %bb.0:
	.section	.rodata,"a",@progbits
	.p2align	6, 0x0
	.amdhsa_kernel _ZN7rocprim17ROCPRIM_400000_NS6detail17trampoline_kernelINS0_14default_configENS1_27lower_bound_config_selectorIxiEEZNS1_14transform_implILb0ES3_S5_N6thrust23THRUST_200600_302600_NS6detail15normal_iteratorINS8_10device_ptrIxEEEENSA_INSB_IiEEEEZNS1_13binary_searchIS3_S5_SD_SD_SF_NS1_21lower_bound_search_opENS9_16wrapped_functionINS0_4lessIvEEbEEEE10hipError_tPvRmT1_T2_T3_mmT4_T5_P12ihipStream_tbEUlRKxE_EESM_SQ_SR_mSS_SV_bEUlT_E_NS1_11comp_targetILNS1_3genE5ELNS1_11target_archE942ELNS1_3gpuE9ELNS1_3repE0EEENS1_30default_config_static_selectorELNS0_4arch9wavefront6targetE1EEEvSP_
		.amdhsa_group_segment_fixed_size 0
		.amdhsa_private_segment_fixed_size 0
		.amdhsa_kernarg_size 56
		.amdhsa_user_sgpr_count 6
		.amdhsa_user_sgpr_private_segment_buffer 1
		.amdhsa_user_sgpr_dispatch_ptr 0
		.amdhsa_user_sgpr_queue_ptr 0
		.amdhsa_user_sgpr_kernarg_segment_ptr 1
		.amdhsa_user_sgpr_dispatch_id 0
		.amdhsa_user_sgpr_flat_scratch_init 0
		.amdhsa_user_sgpr_kernarg_preload_length 0
		.amdhsa_user_sgpr_kernarg_preload_offset 0
		.amdhsa_user_sgpr_private_segment_size 0
		.amdhsa_uses_dynamic_stack 0
		.amdhsa_system_sgpr_private_segment_wavefront_offset 0
		.amdhsa_system_sgpr_workgroup_id_x 1
		.amdhsa_system_sgpr_workgroup_id_y 0
		.amdhsa_system_sgpr_workgroup_id_z 0
		.amdhsa_system_sgpr_workgroup_info 0
		.amdhsa_system_vgpr_workitem_id 0
		.amdhsa_next_free_vgpr 1
		.amdhsa_next_free_sgpr 0
		.amdhsa_accum_offset 4
		.amdhsa_reserve_vcc 0
		.amdhsa_reserve_flat_scratch 0
		.amdhsa_float_round_mode_32 0
		.amdhsa_float_round_mode_16_64 0
		.amdhsa_float_denorm_mode_32 3
		.amdhsa_float_denorm_mode_16_64 3
		.amdhsa_dx10_clamp 1
		.amdhsa_ieee_mode 1
		.amdhsa_fp16_overflow 0
		.amdhsa_tg_split 0
		.amdhsa_exception_fp_ieee_invalid_op 0
		.amdhsa_exception_fp_denorm_src 0
		.amdhsa_exception_fp_ieee_div_zero 0
		.amdhsa_exception_fp_ieee_overflow 0
		.amdhsa_exception_fp_ieee_underflow 0
		.amdhsa_exception_fp_ieee_inexact 0
		.amdhsa_exception_int_div_zero 0
	.end_amdhsa_kernel
	.section	.text._ZN7rocprim17ROCPRIM_400000_NS6detail17trampoline_kernelINS0_14default_configENS1_27lower_bound_config_selectorIxiEEZNS1_14transform_implILb0ES3_S5_N6thrust23THRUST_200600_302600_NS6detail15normal_iteratorINS8_10device_ptrIxEEEENSA_INSB_IiEEEEZNS1_13binary_searchIS3_S5_SD_SD_SF_NS1_21lower_bound_search_opENS9_16wrapped_functionINS0_4lessIvEEbEEEE10hipError_tPvRmT1_T2_T3_mmT4_T5_P12ihipStream_tbEUlRKxE_EESM_SQ_SR_mSS_SV_bEUlT_E_NS1_11comp_targetILNS1_3genE5ELNS1_11target_archE942ELNS1_3gpuE9ELNS1_3repE0EEENS1_30default_config_static_selectorELNS0_4arch9wavefront6targetE1EEEvSP_,"axG",@progbits,_ZN7rocprim17ROCPRIM_400000_NS6detail17trampoline_kernelINS0_14default_configENS1_27lower_bound_config_selectorIxiEEZNS1_14transform_implILb0ES3_S5_N6thrust23THRUST_200600_302600_NS6detail15normal_iteratorINS8_10device_ptrIxEEEENSA_INSB_IiEEEEZNS1_13binary_searchIS3_S5_SD_SD_SF_NS1_21lower_bound_search_opENS9_16wrapped_functionINS0_4lessIvEEbEEEE10hipError_tPvRmT1_T2_T3_mmT4_T5_P12ihipStream_tbEUlRKxE_EESM_SQ_SR_mSS_SV_bEUlT_E_NS1_11comp_targetILNS1_3genE5ELNS1_11target_archE942ELNS1_3gpuE9ELNS1_3repE0EEENS1_30default_config_static_selectorELNS0_4arch9wavefront6targetE1EEEvSP_,comdat
.Lfunc_end302:
	.size	_ZN7rocprim17ROCPRIM_400000_NS6detail17trampoline_kernelINS0_14default_configENS1_27lower_bound_config_selectorIxiEEZNS1_14transform_implILb0ES3_S5_N6thrust23THRUST_200600_302600_NS6detail15normal_iteratorINS8_10device_ptrIxEEEENSA_INSB_IiEEEEZNS1_13binary_searchIS3_S5_SD_SD_SF_NS1_21lower_bound_search_opENS9_16wrapped_functionINS0_4lessIvEEbEEEE10hipError_tPvRmT1_T2_T3_mmT4_T5_P12ihipStream_tbEUlRKxE_EESM_SQ_SR_mSS_SV_bEUlT_E_NS1_11comp_targetILNS1_3genE5ELNS1_11target_archE942ELNS1_3gpuE9ELNS1_3repE0EEENS1_30default_config_static_selectorELNS0_4arch9wavefront6targetE1EEEvSP_, .Lfunc_end302-_ZN7rocprim17ROCPRIM_400000_NS6detail17trampoline_kernelINS0_14default_configENS1_27lower_bound_config_selectorIxiEEZNS1_14transform_implILb0ES3_S5_N6thrust23THRUST_200600_302600_NS6detail15normal_iteratorINS8_10device_ptrIxEEEENSA_INSB_IiEEEEZNS1_13binary_searchIS3_S5_SD_SD_SF_NS1_21lower_bound_search_opENS9_16wrapped_functionINS0_4lessIvEEbEEEE10hipError_tPvRmT1_T2_T3_mmT4_T5_P12ihipStream_tbEUlRKxE_EESM_SQ_SR_mSS_SV_bEUlT_E_NS1_11comp_targetILNS1_3genE5ELNS1_11target_archE942ELNS1_3gpuE9ELNS1_3repE0EEENS1_30default_config_static_selectorELNS0_4arch9wavefront6targetE1EEEvSP_
                                        ; -- End function
	.section	.AMDGPU.csdata,"",@progbits
; Kernel info:
; codeLenInByte = 0
; NumSgprs: 4
; NumVgprs: 0
; NumAgprs: 0
; TotalNumVgprs: 0
; ScratchSize: 0
; MemoryBound: 0
; FloatMode: 240
; IeeeMode: 1
; LDSByteSize: 0 bytes/workgroup (compile time only)
; SGPRBlocks: 0
; VGPRBlocks: 0
; NumSGPRsForWavesPerEU: 4
; NumVGPRsForWavesPerEU: 1
; AccumOffset: 4
; Occupancy: 8
; WaveLimiterHint : 0
; COMPUTE_PGM_RSRC2:SCRATCH_EN: 0
; COMPUTE_PGM_RSRC2:USER_SGPR: 6
; COMPUTE_PGM_RSRC2:TRAP_HANDLER: 0
; COMPUTE_PGM_RSRC2:TGID_X_EN: 1
; COMPUTE_PGM_RSRC2:TGID_Y_EN: 0
; COMPUTE_PGM_RSRC2:TGID_Z_EN: 0
; COMPUTE_PGM_RSRC2:TIDIG_COMP_CNT: 0
; COMPUTE_PGM_RSRC3_GFX90A:ACCUM_OFFSET: 0
; COMPUTE_PGM_RSRC3_GFX90A:TG_SPLIT: 0
	.section	.text._ZN7rocprim17ROCPRIM_400000_NS6detail17trampoline_kernelINS0_14default_configENS1_27lower_bound_config_selectorIxiEEZNS1_14transform_implILb0ES3_S5_N6thrust23THRUST_200600_302600_NS6detail15normal_iteratorINS8_10device_ptrIxEEEENSA_INSB_IiEEEEZNS1_13binary_searchIS3_S5_SD_SD_SF_NS1_21lower_bound_search_opENS9_16wrapped_functionINS0_4lessIvEEbEEEE10hipError_tPvRmT1_T2_T3_mmT4_T5_P12ihipStream_tbEUlRKxE_EESM_SQ_SR_mSS_SV_bEUlT_E_NS1_11comp_targetILNS1_3genE4ELNS1_11target_archE910ELNS1_3gpuE8ELNS1_3repE0EEENS1_30default_config_static_selectorELNS0_4arch9wavefront6targetE1EEEvSP_,"axG",@progbits,_ZN7rocprim17ROCPRIM_400000_NS6detail17trampoline_kernelINS0_14default_configENS1_27lower_bound_config_selectorIxiEEZNS1_14transform_implILb0ES3_S5_N6thrust23THRUST_200600_302600_NS6detail15normal_iteratorINS8_10device_ptrIxEEEENSA_INSB_IiEEEEZNS1_13binary_searchIS3_S5_SD_SD_SF_NS1_21lower_bound_search_opENS9_16wrapped_functionINS0_4lessIvEEbEEEE10hipError_tPvRmT1_T2_T3_mmT4_T5_P12ihipStream_tbEUlRKxE_EESM_SQ_SR_mSS_SV_bEUlT_E_NS1_11comp_targetILNS1_3genE4ELNS1_11target_archE910ELNS1_3gpuE8ELNS1_3repE0EEENS1_30default_config_static_selectorELNS0_4arch9wavefront6targetE1EEEvSP_,comdat
	.protected	_ZN7rocprim17ROCPRIM_400000_NS6detail17trampoline_kernelINS0_14default_configENS1_27lower_bound_config_selectorIxiEEZNS1_14transform_implILb0ES3_S5_N6thrust23THRUST_200600_302600_NS6detail15normal_iteratorINS8_10device_ptrIxEEEENSA_INSB_IiEEEEZNS1_13binary_searchIS3_S5_SD_SD_SF_NS1_21lower_bound_search_opENS9_16wrapped_functionINS0_4lessIvEEbEEEE10hipError_tPvRmT1_T2_T3_mmT4_T5_P12ihipStream_tbEUlRKxE_EESM_SQ_SR_mSS_SV_bEUlT_E_NS1_11comp_targetILNS1_3genE4ELNS1_11target_archE910ELNS1_3gpuE8ELNS1_3repE0EEENS1_30default_config_static_selectorELNS0_4arch9wavefront6targetE1EEEvSP_ ; -- Begin function _ZN7rocprim17ROCPRIM_400000_NS6detail17trampoline_kernelINS0_14default_configENS1_27lower_bound_config_selectorIxiEEZNS1_14transform_implILb0ES3_S5_N6thrust23THRUST_200600_302600_NS6detail15normal_iteratorINS8_10device_ptrIxEEEENSA_INSB_IiEEEEZNS1_13binary_searchIS3_S5_SD_SD_SF_NS1_21lower_bound_search_opENS9_16wrapped_functionINS0_4lessIvEEbEEEE10hipError_tPvRmT1_T2_T3_mmT4_T5_P12ihipStream_tbEUlRKxE_EESM_SQ_SR_mSS_SV_bEUlT_E_NS1_11comp_targetILNS1_3genE4ELNS1_11target_archE910ELNS1_3gpuE8ELNS1_3repE0EEENS1_30default_config_static_selectorELNS0_4arch9wavefront6targetE1EEEvSP_
	.globl	_ZN7rocprim17ROCPRIM_400000_NS6detail17trampoline_kernelINS0_14default_configENS1_27lower_bound_config_selectorIxiEEZNS1_14transform_implILb0ES3_S5_N6thrust23THRUST_200600_302600_NS6detail15normal_iteratorINS8_10device_ptrIxEEEENSA_INSB_IiEEEEZNS1_13binary_searchIS3_S5_SD_SD_SF_NS1_21lower_bound_search_opENS9_16wrapped_functionINS0_4lessIvEEbEEEE10hipError_tPvRmT1_T2_T3_mmT4_T5_P12ihipStream_tbEUlRKxE_EESM_SQ_SR_mSS_SV_bEUlT_E_NS1_11comp_targetILNS1_3genE4ELNS1_11target_archE910ELNS1_3gpuE8ELNS1_3repE0EEENS1_30default_config_static_selectorELNS0_4arch9wavefront6targetE1EEEvSP_
	.p2align	8
	.type	_ZN7rocprim17ROCPRIM_400000_NS6detail17trampoline_kernelINS0_14default_configENS1_27lower_bound_config_selectorIxiEEZNS1_14transform_implILb0ES3_S5_N6thrust23THRUST_200600_302600_NS6detail15normal_iteratorINS8_10device_ptrIxEEEENSA_INSB_IiEEEEZNS1_13binary_searchIS3_S5_SD_SD_SF_NS1_21lower_bound_search_opENS9_16wrapped_functionINS0_4lessIvEEbEEEE10hipError_tPvRmT1_T2_T3_mmT4_T5_P12ihipStream_tbEUlRKxE_EESM_SQ_SR_mSS_SV_bEUlT_E_NS1_11comp_targetILNS1_3genE4ELNS1_11target_archE910ELNS1_3gpuE8ELNS1_3repE0EEENS1_30default_config_static_selectorELNS0_4arch9wavefront6targetE1EEEvSP_,@function
_ZN7rocprim17ROCPRIM_400000_NS6detail17trampoline_kernelINS0_14default_configENS1_27lower_bound_config_selectorIxiEEZNS1_14transform_implILb0ES3_S5_N6thrust23THRUST_200600_302600_NS6detail15normal_iteratorINS8_10device_ptrIxEEEENSA_INSB_IiEEEEZNS1_13binary_searchIS3_S5_SD_SD_SF_NS1_21lower_bound_search_opENS9_16wrapped_functionINS0_4lessIvEEbEEEE10hipError_tPvRmT1_T2_T3_mmT4_T5_P12ihipStream_tbEUlRKxE_EESM_SQ_SR_mSS_SV_bEUlT_E_NS1_11comp_targetILNS1_3genE4ELNS1_11target_archE910ELNS1_3gpuE8ELNS1_3repE0EEENS1_30default_config_static_selectorELNS0_4arch9wavefront6targetE1EEEvSP_: ; @_ZN7rocprim17ROCPRIM_400000_NS6detail17trampoline_kernelINS0_14default_configENS1_27lower_bound_config_selectorIxiEEZNS1_14transform_implILb0ES3_S5_N6thrust23THRUST_200600_302600_NS6detail15normal_iteratorINS8_10device_ptrIxEEEENSA_INSB_IiEEEEZNS1_13binary_searchIS3_S5_SD_SD_SF_NS1_21lower_bound_search_opENS9_16wrapped_functionINS0_4lessIvEEbEEEE10hipError_tPvRmT1_T2_T3_mmT4_T5_P12ihipStream_tbEUlRKxE_EESM_SQ_SR_mSS_SV_bEUlT_E_NS1_11comp_targetILNS1_3genE4ELNS1_11target_archE910ELNS1_3gpuE8ELNS1_3repE0EEENS1_30default_config_static_selectorELNS0_4arch9wavefront6targetE1EEEvSP_
; %bb.0:
	s_load_dwordx4 s[16:19], s[4:5], 0x0
	s_load_dwordx4 s[0:3], s[4:5], 0x18
	s_load_dwordx2 s[10:11], s[4:5], 0x28
	s_load_dword s15, s[4:5], 0x38
	s_waitcnt lgkmcnt(0)
	s_lshl_b64 s[8:9], s[18:19], 3
	s_add_u32 s7, s16, s8
	s_addc_u32 s14, s17, s9
	s_lshl_b64 s[8:9], s[18:19], 2
	s_add_u32 s12, s0, s8
	s_addc_u32 s13, s1, s9
	s_lshl_b32 s8, s6, 6
	s_add_i32 s15, s15, -1
	s_mov_b32 s9, 0
	s_cmp_lg_u32 s6, s15
	s_mov_b64 s[0:1], -1
	s_cbranch_scc0 .LBB303_6
; %bb.1:
	v_mov_b32_e32 v2, 0
	s_cmp_eq_u64 s[10:11], 0
	s_mov_b64 s[0:1], 0
	s_cbranch_scc1 .LBB303_5
; %bb.2:
	s_lshl_b64 s[16:17], s[8:9], 3
	s_add_u32 s6, s7, s16
	s_addc_u32 s15, s14, s17
	v_lshlrev_b32_e32 v1, 3, v0
	v_mov_b32_e32 v3, s15
	v_add_co_u32_e32 v2, vcc, s6, v1
	v_addc_co_u32_e32 v3, vcc, 0, v3, vcc
	flat_load_dwordx2 v[4:5], v[2:3]
	v_pk_mov_b32 v[2:3], 0, 0
	v_pk_mov_b32 v[6:7], s[10:11], s[10:11] op_sel:[0,1]
	v_mov_b32_e32 v1, s3
.LBB303_3:                              ; =>This Inner Loop Header: Depth=1
	v_sub_co_u32_e32 v8, vcc, v6, v2
	v_subb_co_u32_e32 v9, vcc, v7, v3, vcc
	v_lshrrev_b64 v[10:11], 1, v[8:9]
	v_add_co_u32_e32 v10, vcc, v10, v2
	v_lshrrev_b64 v[8:9], 6, v[8:9]
	v_addc_co_u32_e32 v11, vcc, v11, v3, vcc
	v_add_co_u32_e32 v8, vcc, v10, v8
	v_addc_co_u32_e32 v9, vcc, v11, v9, vcc
	v_lshlrev_b64 v[10:11], 3, v[8:9]
	v_add_co_u32_e32 v10, vcc, s2, v10
	v_addc_co_u32_e32 v11, vcc, v1, v11, vcc
	global_load_dwordx2 v[10:11], v[10:11], off
	v_add_co_u32_e32 v12, vcc, 1, v8
	v_addc_co_u32_e32 v13, vcc, 0, v9, vcc
	s_waitcnt vmcnt(0) lgkmcnt(0)
	v_cmp_lt_i64_e32 vcc, v[10:11], v[4:5]
	v_cndmask_b32_e32 v7, v9, v7, vcc
	v_cndmask_b32_e32 v6, v8, v6, vcc
	;; [unrolled: 1-line block ×4, first 2 shown]
	v_cmp_ge_u64_e32 vcc, v[2:3], v[6:7]
	s_or_b64 s[0:1], vcc, s[0:1]
	s_andn2_b64 exec, exec, s[0:1]
	s_cbranch_execnz .LBB303_3
; %bb.4:
	s_or_b64 exec, exec, s[0:1]
.LBB303_5:
	s_lshl_b64 s[0:1], s[8:9], 2
	s_add_u32 s0, s12, s0
	s_addc_u32 s1, s13, s1
	v_lshlrev_b32_e32 v1, 2, v0
	v_mov_b32_e32 v3, s1
	v_add_co_u32_e32 v4, vcc, s0, v1
	v_addc_co_u32_e32 v5, vcc, 0, v3, vcc
	s_mov_b64 s[0:1], 0
	flat_store_dword v[4:5], v2
.LBB303_6:
	s_and_b64 vcc, exec, s[0:1]
	s_cbranch_vccz .LBB303_11
; %bb.7:
	s_load_dword s0, s[4:5], 0x10
                                        ; implicit-def: $vgpr4_vgpr5
	s_waitcnt lgkmcnt(0)
	s_sub_i32 s0, s0, s8
	v_cmp_gt_u32_e32 vcc, s0, v0
	s_and_saveexec_b64 s[4:5], vcc
	s_cbranch_execnz .LBB303_12
; %bb.8:
	s_or_b64 exec, exec, s[4:5]
                                        ; implicit-def: $vgpr2
	s_and_saveexec_b64 s[4:5], vcc
	s_cbranch_execnz .LBB303_13
.LBB303_9:
	s_or_b64 exec, exec, s[4:5]
	s_and_saveexec_b64 s[0:1], vcc
	s_cbranch_execz .LBB303_11
.LBB303_10:
	s_lshl_b64 s[0:1], s[8:9], 2
	s_add_u32 s0, s12, s0
	s_addc_u32 s1, s13, s1
	v_lshlrev_b32_e32 v0, 2, v0
	v_mov_b32_e32 v1, s1
	v_add_co_u32_e32 v0, vcc, s0, v0
	v_addc_co_u32_e32 v1, vcc, 0, v1, vcc
	flat_store_dword v[0:1], v2
.LBB303_11:
	s_endpgm
.LBB303_12:
	s_lshl_b64 s[0:1], s[8:9], 3
	s_add_u32 s0, s7, s0
	s_addc_u32 s1, s14, s1
	v_lshlrev_b32_e32 v1, 3, v0
	v_mov_b32_e32 v3, s1
	v_add_co_u32_e64 v2, s[0:1], s0, v1
	v_addc_co_u32_e64 v3, s[0:1], 0, v3, s[0:1]
	flat_load_dwordx2 v[4:5], v[2:3]
	s_or_b64 exec, exec, s[4:5]
                                        ; implicit-def: $vgpr2
	s_and_saveexec_b64 s[4:5], vcc
	s_cbranch_execz .LBB303_9
.LBB303_13:
	s_cmp_eq_u64 s[10:11], 0
	s_mov_b64 s[6:7], 0
	s_cbranch_scc1 .LBB303_17
; %bb.14:
	v_pk_mov_b32 v[2:3], 0, 0
	v_pk_mov_b32 v[6:7], s[10:11], s[10:11] op_sel:[0,1]
	v_mov_b32_e32 v1, s3
.LBB303_15:                             ; =>This Inner Loop Header: Depth=1
	v_sub_co_u32_e64 v8, s[0:1], v6, v2
	v_subb_co_u32_e64 v9, s[0:1], v7, v3, s[0:1]
	v_lshrrev_b64 v[10:11], 1, v[8:9]
	v_add_co_u32_e64 v10, s[0:1], v10, v2
	v_lshrrev_b64 v[8:9], 6, v[8:9]
	v_addc_co_u32_e64 v11, s[0:1], v11, v3, s[0:1]
	v_add_co_u32_e64 v8, s[0:1], v10, v8
	v_addc_co_u32_e64 v9, s[0:1], v11, v9, s[0:1]
	v_lshlrev_b64 v[10:11], 3, v[8:9]
	v_add_co_u32_e64 v10, s[0:1], s2, v10
	v_addc_co_u32_e64 v11, s[0:1], v1, v11, s[0:1]
	global_load_dwordx2 v[10:11], v[10:11], off
	v_add_co_u32_e64 v12, s[0:1], 1, v8
	v_addc_co_u32_e64 v13, s[0:1], 0, v9, s[0:1]
	s_waitcnt vmcnt(0) lgkmcnt(0)
	v_cmp_lt_i64_e64 s[0:1], v[10:11], v[4:5]
	v_cndmask_b32_e64 v7, v9, v7, s[0:1]
	v_cndmask_b32_e64 v6, v8, v6, s[0:1]
	;; [unrolled: 1-line block ×4, first 2 shown]
	v_cmp_ge_u64_e64 s[0:1], v[2:3], v[6:7]
	s_or_b64 s[6:7], s[0:1], s[6:7]
	s_andn2_b64 exec, exec, s[6:7]
	s_cbranch_execnz .LBB303_15
; %bb.16:
	s_or_b64 exec, exec, s[6:7]
	s_or_b64 exec, exec, s[4:5]
	s_and_saveexec_b64 s[0:1], vcc
	s_cbranch_execnz .LBB303_10
	s_branch .LBB303_11
.LBB303_17:
	v_mov_b32_e32 v2, 0
	s_or_b64 exec, exec, s[4:5]
	s_and_saveexec_b64 s[0:1], vcc
	s_cbranch_execnz .LBB303_10
	s_branch .LBB303_11
	.section	.rodata,"a",@progbits
	.p2align	6, 0x0
	.amdhsa_kernel _ZN7rocprim17ROCPRIM_400000_NS6detail17trampoline_kernelINS0_14default_configENS1_27lower_bound_config_selectorIxiEEZNS1_14transform_implILb0ES3_S5_N6thrust23THRUST_200600_302600_NS6detail15normal_iteratorINS8_10device_ptrIxEEEENSA_INSB_IiEEEEZNS1_13binary_searchIS3_S5_SD_SD_SF_NS1_21lower_bound_search_opENS9_16wrapped_functionINS0_4lessIvEEbEEEE10hipError_tPvRmT1_T2_T3_mmT4_T5_P12ihipStream_tbEUlRKxE_EESM_SQ_SR_mSS_SV_bEUlT_E_NS1_11comp_targetILNS1_3genE4ELNS1_11target_archE910ELNS1_3gpuE8ELNS1_3repE0EEENS1_30default_config_static_selectorELNS0_4arch9wavefront6targetE1EEEvSP_
		.amdhsa_group_segment_fixed_size 0
		.amdhsa_private_segment_fixed_size 0
		.amdhsa_kernarg_size 312
		.amdhsa_user_sgpr_count 6
		.amdhsa_user_sgpr_private_segment_buffer 1
		.amdhsa_user_sgpr_dispatch_ptr 0
		.amdhsa_user_sgpr_queue_ptr 0
		.amdhsa_user_sgpr_kernarg_segment_ptr 1
		.amdhsa_user_sgpr_dispatch_id 0
		.amdhsa_user_sgpr_flat_scratch_init 0
		.amdhsa_user_sgpr_kernarg_preload_length 0
		.amdhsa_user_sgpr_kernarg_preload_offset 0
		.amdhsa_user_sgpr_private_segment_size 0
		.amdhsa_uses_dynamic_stack 0
		.amdhsa_system_sgpr_private_segment_wavefront_offset 0
		.amdhsa_system_sgpr_workgroup_id_x 1
		.amdhsa_system_sgpr_workgroup_id_y 0
		.amdhsa_system_sgpr_workgroup_id_z 0
		.amdhsa_system_sgpr_workgroup_info 0
		.amdhsa_system_vgpr_workitem_id 0
		.amdhsa_next_free_vgpr 14
		.amdhsa_next_free_sgpr 20
		.amdhsa_accum_offset 16
		.amdhsa_reserve_vcc 1
		.amdhsa_reserve_flat_scratch 0
		.amdhsa_float_round_mode_32 0
		.amdhsa_float_round_mode_16_64 0
		.amdhsa_float_denorm_mode_32 3
		.amdhsa_float_denorm_mode_16_64 3
		.amdhsa_dx10_clamp 1
		.amdhsa_ieee_mode 1
		.amdhsa_fp16_overflow 0
		.amdhsa_tg_split 0
		.amdhsa_exception_fp_ieee_invalid_op 0
		.amdhsa_exception_fp_denorm_src 0
		.amdhsa_exception_fp_ieee_div_zero 0
		.amdhsa_exception_fp_ieee_overflow 0
		.amdhsa_exception_fp_ieee_underflow 0
		.amdhsa_exception_fp_ieee_inexact 0
		.amdhsa_exception_int_div_zero 0
	.end_amdhsa_kernel
	.section	.text._ZN7rocprim17ROCPRIM_400000_NS6detail17trampoline_kernelINS0_14default_configENS1_27lower_bound_config_selectorIxiEEZNS1_14transform_implILb0ES3_S5_N6thrust23THRUST_200600_302600_NS6detail15normal_iteratorINS8_10device_ptrIxEEEENSA_INSB_IiEEEEZNS1_13binary_searchIS3_S5_SD_SD_SF_NS1_21lower_bound_search_opENS9_16wrapped_functionINS0_4lessIvEEbEEEE10hipError_tPvRmT1_T2_T3_mmT4_T5_P12ihipStream_tbEUlRKxE_EESM_SQ_SR_mSS_SV_bEUlT_E_NS1_11comp_targetILNS1_3genE4ELNS1_11target_archE910ELNS1_3gpuE8ELNS1_3repE0EEENS1_30default_config_static_selectorELNS0_4arch9wavefront6targetE1EEEvSP_,"axG",@progbits,_ZN7rocprim17ROCPRIM_400000_NS6detail17trampoline_kernelINS0_14default_configENS1_27lower_bound_config_selectorIxiEEZNS1_14transform_implILb0ES3_S5_N6thrust23THRUST_200600_302600_NS6detail15normal_iteratorINS8_10device_ptrIxEEEENSA_INSB_IiEEEEZNS1_13binary_searchIS3_S5_SD_SD_SF_NS1_21lower_bound_search_opENS9_16wrapped_functionINS0_4lessIvEEbEEEE10hipError_tPvRmT1_T2_T3_mmT4_T5_P12ihipStream_tbEUlRKxE_EESM_SQ_SR_mSS_SV_bEUlT_E_NS1_11comp_targetILNS1_3genE4ELNS1_11target_archE910ELNS1_3gpuE8ELNS1_3repE0EEENS1_30default_config_static_selectorELNS0_4arch9wavefront6targetE1EEEvSP_,comdat
.Lfunc_end303:
	.size	_ZN7rocprim17ROCPRIM_400000_NS6detail17trampoline_kernelINS0_14default_configENS1_27lower_bound_config_selectorIxiEEZNS1_14transform_implILb0ES3_S5_N6thrust23THRUST_200600_302600_NS6detail15normal_iteratorINS8_10device_ptrIxEEEENSA_INSB_IiEEEEZNS1_13binary_searchIS3_S5_SD_SD_SF_NS1_21lower_bound_search_opENS9_16wrapped_functionINS0_4lessIvEEbEEEE10hipError_tPvRmT1_T2_T3_mmT4_T5_P12ihipStream_tbEUlRKxE_EESM_SQ_SR_mSS_SV_bEUlT_E_NS1_11comp_targetILNS1_3genE4ELNS1_11target_archE910ELNS1_3gpuE8ELNS1_3repE0EEENS1_30default_config_static_selectorELNS0_4arch9wavefront6targetE1EEEvSP_, .Lfunc_end303-_ZN7rocprim17ROCPRIM_400000_NS6detail17trampoline_kernelINS0_14default_configENS1_27lower_bound_config_selectorIxiEEZNS1_14transform_implILb0ES3_S5_N6thrust23THRUST_200600_302600_NS6detail15normal_iteratorINS8_10device_ptrIxEEEENSA_INSB_IiEEEEZNS1_13binary_searchIS3_S5_SD_SD_SF_NS1_21lower_bound_search_opENS9_16wrapped_functionINS0_4lessIvEEbEEEE10hipError_tPvRmT1_T2_T3_mmT4_T5_P12ihipStream_tbEUlRKxE_EESM_SQ_SR_mSS_SV_bEUlT_E_NS1_11comp_targetILNS1_3genE4ELNS1_11target_archE910ELNS1_3gpuE8ELNS1_3repE0EEENS1_30default_config_static_selectorELNS0_4arch9wavefront6targetE1EEEvSP_
                                        ; -- End function
	.section	.AMDGPU.csdata,"",@progbits
; Kernel info:
; codeLenInByte = 716
; NumSgprs: 24
; NumVgprs: 14
; NumAgprs: 0
; TotalNumVgprs: 14
; ScratchSize: 0
; MemoryBound: 0
; FloatMode: 240
; IeeeMode: 1
; LDSByteSize: 0 bytes/workgroup (compile time only)
; SGPRBlocks: 2
; VGPRBlocks: 1
; NumSGPRsForWavesPerEU: 24
; NumVGPRsForWavesPerEU: 14
; AccumOffset: 16
; Occupancy: 8
; WaveLimiterHint : 0
; COMPUTE_PGM_RSRC2:SCRATCH_EN: 0
; COMPUTE_PGM_RSRC2:USER_SGPR: 6
; COMPUTE_PGM_RSRC2:TRAP_HANDLER: 0
; COMPUTE_PGM_RSRC2:TGID_X_EN: 1
; COMPUTE_PGM_RSRC2:TGID_Y_EN: 0
; COMPUTE_PGM_RSRC2:TGID_Z_EN: 0
; COMPUTE_PGM_RSRC2:TIDIG_COMP_CNT: 0
; COMPUTE_PGM_RSRC3_GFX90A:ACCUM_OFFSET: 3
; COMPUTE_PGM_RSRC3_GFX90A:TG_SPLIT: 0
	.section	.text._ZN7rocprim17ROCPRIM_400000_NS6detail17trampoline_kernelINS0_14default_configENS1_27lower_bound_config_selectorIxiEEZNS1_14transform_implILb0ES3_S5_N6thrust23THRUST_200600_302600_NS6detail15normal_iteratorINS8_10device_ptrIxEEEENSA_INSB_IiEEEEZNS1_13binary_searchIS3_S5_SD_SD_SF_NS1_21lower_bound_search_opENS9_16wrapped_functionINS0_4lessIvEEbEEEE10hipError_tPvRmT1_T2_T3_mmT4_T5_P12ihipStream_tbEUlRKxE_EESM_SQ_SR_mSS_SV_bEUlT_E_NS1_11comp_targetILNS1_3genE3ELNS1_11target_archE908ELNS1_3gpuE7ELNS1_3repE0EEENS1_30default_config_static_selectorELNS0_4arch9wavefront6targetE1EEEvSP_,"axG",@progbits,_ZN7rocprim17ROCPRIM_400000_NS6detail17trampoline_kernelINS0_14default_configENS1_27lower_bound_config_selectorIxiEEZNS1_14transform_implILb0ES3_S5_N6thrust23THRUST_200600_302600_NS6detail15normal_iteratorINS8_10device_ptrIxEEEENSA_INSB_IiEEEEZNS1_13binary_searchIS3_S5_SD_SD_SF_NS1_21lower_bound_search_opENS9_16wrapped_functionINS0_4lessIvEEbEEEE10hipError_tPvRmT1_T2_T3_mmT4_T5_P12ihipStream_tbEUlRKxE_EESM_SQ_SR_mSS_SV_bEUlT_E_NS1_11comp_targetILNS1_3genE3ELNS1_11target_archE908ELNS1_3gpuE7ELNS1_3repE0EEENS1_30default_config_static_selectorELNS0_4arch9wavefront6targetE1EEEvSP_,comdat
	.protected	_ZN7rocprim17ROCPRIM_400000_NS6detail17trampoline_kernelINS0_14default_configENS1_27lower_bound_config_selectorIxiEEZNS1_14transform_implILb0ES3_S5_N6thrust23THRUST_200600_302600_NS6detail15normal_iteratorINS8_10device_ptrIxEEEENSA_INSB_IiEEEEZNS1_13binary_searchIS3_S5_SD_SD_SF_NS1_21lower_bound_search_opENS9_16wrapped_functionINS0_4lessIvEEbEEEE10hipError_tPvRmT1_T2_T3_mmT4_T5_P12ihipStream_tbEUlRKxE_EESM_SQ_SR_mSS_SV_bEUlT_E_NS1_11comp_targetILNS1_3genE3ELNS1_11target_archE908ELNS1_3gpuE7ELNS1_3repE0EEENS1_30default_config_static_selectorELNS0_4arch9wavefront6targetE1EEEvSP_ ; -- Begin function _ZN7rocprim17ROCPRIM_400000_NS6detail17trampoline_kernelINS0_14default_configENS1_27lower_bound_config_selectorIxiEEZNS1_14transform_implILb0ES3_S5_N6thrust23THRUST_200600_302600_NS6detail15normal_iteratorINS8_10device_ptrIxEEEENSA_INSB_IiEEEEZNS1_13binary_searchIS3_S5_SD_SD_SF_NS1_21lower_bound_search_opENS9_16wrapped_functionINS0_4lessIvEEbEEEE10hipError_tPvRmT1_T2_T3_mmT4_T5_P12ihipStream_tbEUlRKxE_EESM_SQ_SR_mSS_SV_bEUlT_E_NS1_11comp_targetILNS1_3genE3ELNS1_11target_archE908ELNS1_3gpuE7ELNS1_3repE0EEENS1_30default_config_static_selectorELNS0_4arch9wavefront6targetE1EEEvSP_
	.globl	_ZN7rocprim17ROCPRIM_400000_NS6detail17trampoline_kernelINS0_14default_configENS1_27lower_bound_config_selectorIxiEEZNS1_14transform_implILb0ES3_S5_N6thrust23THRUST_200600_302600_NS6detail15normal_iteratorINS8_10device_ptrIxEEEENSA_INSB_IiEEEEZNS1_13binary_searchIS3_S5_SD_SD_SF_NS1_21lower_bound_search_opENS9_16wrapped_functionINS0_4lessIvEEbEEEE10hipError_tPvRmT1_T2_T3_mmT4_T5_P12ihipStream_tbEUlRKxE_EESM_SQ_SR_mSS_SV_bEUlT_E_NS1_11comp_targetILNS1_3genE3ELNS1_11target_archE908ELNS1_3gpuE7ELNS1_3repE0EEENS1_30default_config_static_selectorELNS0_4arch9wavefront6targetE1EEEvSP_
	.p2align	8
	.type	_ZN7rocprim17ROCPRIM_400000_NS6detail17trampoline_kernelINS0_14default_configENS1_27lower_bound_config_selectorIxiEEZNS1_14transform_implILb0ES3_S5_N6thrust23THRUST_200600_302600_NS6detail15normal_iteratorINS8_10device_ptrIxEEEENSA_INSB_IiEEEEZNS1_13binary_searchIS3_S5_SD_SD_SF_NS1_21lower_bound_search_opENS9_16wrapped_functionINS0_4lessIvEEbEEEE10hipError_tPvRmT1_T2_T3_mmT4_T5_P12ihipStream_tbEUlRKxE_EESM_SQ_SR_mSS_SV_bEUlT_E_NS1_11comp_targetILNS1_3genE3ELNS1_11target_archE908ELNS1_3gpuE7ELNS1_3repE0EEENS1_30default_config_static_selectorELNS0_4arch9wavefront6targetE1EEEvSP_,@function
_ZN7rocprim17ROCPRIM_400000_NS6detail17trampoline_kernelINS0_14default_configENS1_27lower_bound_config_selectorIxiEEZNS1_14transform_implILb0ES3_S5_N6thrust23THRUST_200600_302600_NS6detail15normal_iteratorINS8_10device_ptrIxEEEENSA_INSB_IiEEEEZNS1_13binary_searchIS3_S5_SD_SD_SF_NS1_21lower_bound_search_opENS9_16wrapped_functionINS0_4lessIvEEbEEEE10hipError_tPvRmT1_T2_T3_mmT4_T5_P12ihipStream_tbEUlRKxE_EESM_SQ_SR_mSS_SV_bEUlT_E_NS1_11comp_targetILNS1_3genE3ELNS1_11target_archE908ELNS1_3gpuE7ELNS1_3repE0EEENS1_30default_config_static_selectorELNS0_4arch9wavefront6targetE1EEEvSP_: ; @_ZN7rocprim17ROCPRIM_400000_NS6detail17trampoline_kernelINS0_14default_configENS1_27lower_bound_config_selectorIxiEEZNS1_14transform_implILb0ES3_S5_N6thrust23THRUST_200600_302600_NS6detail15normal_iteratorINS8_10device_ptrIxEEEENSA_INSB_IiEEEEZNS1_13binary_searchIS3_S5_SD_SD_SF_NS1_21lower_bound_search_opENS9_16wrapped_functionINS0_4lessIvEEbEEEE10hipError_tPvRmT1_T2_T3_mmT4_T5_P12ihipStream_tbEUlRKxE_EESM_SQ_SR_mSS_SV_bEUlT_E_NS1_11comp_targetILNS1_3genE3ELNS1_11target_archE908ELNS1_3gpuE7ELNS1_3repE0EEENS1_30default_config_static_selectorELNS0_4arch9wavefront6targetE1EEEvSP_
; %bb.0:
	.section	.rodata,"a",@progbits
	.p2align	6, 0x0
	.amdhsa_kernel _ZN7rocprim17ROCPRIM_400000_NS6detail17trampoline_kernelINS0_14default_configENS1_27lower_bound_config_selectorIxiEEZNS1_14transform_implILb0ES3_S5_N6thrust23THRUST_200600_302600_NS6detail15normal_iteratorINS8_10device_ptrIxEEEENSA_INSB_IiEEEEZNS1_13binary_searchIS3_S5_SD_SD_SF_NS1_21lower_bound_search_opENS9_16wrapped_functionINS0_4lessIvEEbEEEE10hipError_tPvRmT1_T2_T3_mmT4_T5_P12ihipStream_tbEUlRKxE_EESM_SQ_SR_mSS_SV_bEUlT_E_NS1_11comp_targetILNS1_3genE3ELNS1_11target_archE908ELNS1_3gpuE7ELNS1_3repE0EEENS1_30default_config_static_selectorELNS0_4arch9wavefront6targetE1EEEvSP_
		.amdhsa_group_segment_fixed_size 0
		.amdhsa_private_segment_fixed_size 0
		.amdhsa_kernarg_size 56
		.amdhsa_user_sgpr_count 6
		.amdhsa_user_sgpr_private_segment_buffer 1
		.amdhsa_user_sgpr_dispatch_ptr 0
		.amdhsa_user_sgpr_queue_ptr 0
		.amdhsa_user_sgpr_kernarg_segment_ptr 1
		.amdhsa_user_sgpr_dispatch_id 0
		.amdhsa_user_sgpr_flat_scratch_init 0
		.amdhsa_user_sgpr_kernarg_preload_length 0
		.amdhsa_user_sgpr_kernarg_preload_offset 0
		.amdhsa_user_sgpr_private_segment_size 0
		.amdhsa_uses_dynamic_stack 0
		.amdhsa_system_sgpr_private_segment_wavefront_offset 0
		.amdhsa_system_sgpr_workgroup_id_x 1
		.amdhsa_system_sgpr_workgroup_id_y 0
		.amdhsa_system_sgpr_workgroup_id_z 0
		.amdhsa_system_sgpr_workgroup_info 0
		.amdhsa_system_vgpr_workitem_id 0
		.amdhsa_next_free_vgpr 1
		.amdhsa_next_free_sgpr 0
		.amdhsa_accum_offset 4
		.amdhsa_reserve_vcc 0
		.amdhsa_reserve_flat_scratch 0
		.amdhsa_float_round_mode_32 0
		.amdhsa_float_round_mode_16_64 0
		.amdhsa_float_denorm_mode_32 3
		.amdhsa_float_denorm_mode_16_64 3
		.amdhsa_dx10_clamp 1
		.amdhsa_ieee_mode 1
		.amdhsa_fp16_overflow 0
		.amdhsa_tg_split 0
		.amdhsa_exception_fp_ieee_invalid_op 0
		.amdhsa_exception_fp_denorm_src 0
		.amdhsa_exception_fp_ieee_div_zero 0
		.amdhsa_exception_fp_ieee_overflow 0
		.amdhsa_exception_fp_ieee_underflow 0
		.amdhsa_exception_fp_ieee_inexact 0
		.amdhsa_exception_int_div_zero 0
	.end_amdhsa_kernel
	.section	.text._ZN7rocprim17ROCPRIM_400000_NS6detail17trampoline_kernelINS0_14default_configENS1_27lower_bound_config_selectorIxiEEZNS1_14transform_implILb0ES3_S5_N6thrust23THRUST_200600_302600_NS6detail15normal_iteratorINS8_10device_ptrIxEEEENSA_INSB_IiEEEEZNS1_13binary_searchIS3_S5_SD_SD_SF_NS1_21lower_bound_search_opENS9_16wrapped_functionINS0_4lessIvEEbEEEE10hipError_tPvRmT1_T2_T3_mmT4_T5_P12ihipStream_tbEUlRKxE_EESM_SQ_SR_mSS_SV_bEUlT_E_NS1_11comp_targetILNS1_3genE3ELNS1_11target_archE908ELNS1_3gpuE7ELNS1_3repE0EEENS1_30default_config_static_selectorELNS0_4arch9wavefront6targetE1EEEvSP_,"axG",@progbits,_ZN7rocprim17ROCPRIM_400000_NS6detail17trampoline_kernelINS0_14default_configENS1_27lower_bound_config_selectorIxiEEZNS1_14transform_implILb0ES3_S5_N6thrust23THRUST_200600_302600_NS6detail15normal_iteratorINS8_10device_ptrIxEEEENSA_INSB_IiEEEEZNS1_13binary_searchIS3_S5_SD_SD_SF_NS1_21lower_bound_search_opENS9_16wrapped_functionINS0_4lessIvEEbEEEE10hipError_tPvRmT1_T2_T3_mmT4_T5_P12ihipStream_tbEUlRKxE_EESM_SQ_SR_mSS_SV_bEUlT_E_NS1_11comp_targetILNS1_3genE3ELNS1_11target_archE908ELNS1_3gpuE7ELNS1_3repE0EEENS1_30default_config_static_selectorELNS0_4arch9wavefront6targetE1EEEvSP_,comdat
.Lfunc_end304:
	.size	_ZN7rocprim17ROCPRIM_400000_NS6detail17trampoline_kernelINS0_14default_configENS1_27lower_bound_config_selectorIxiEEZNS1_14transform_implILb0ES3_S5_N6thrust23THRUST_200600_302600_NS6detail15normal_iteratorINS8_10device_ptrIxEEEENSA_INSB_IiEEEEZNS1_13binary_searchIS3_S5_SD_SD_SF_NS1_21lower_bound_search_opENS9_16wrapped_functionINS0_4lessIvEEbEEEE10hipError_tPvRmT1_T2_T3_mmT4_T5_P12ihipStream_tbEUlRKxE_EESM_SQ_SR_mSS_SV_bEUlT_E_NS1_11comp_targetILNS1_3genE3ELNS1_11target_archE908ELNS1_3gpuE7ELNS1_3repE0EEENS1_30default_config_static_selectorELNS0_4arch9wavefront6targetE1EEEvSP_, .Lfunc_end304-_ZN7rocprim17ROCPRIM_400000_NS6detail17trampoline_kernelINS0_14default_configENS1_27lower_bound_config_selectorIxiEEZNS1_14transform_implILb0ES3_S5_N6thrust23THRUST_200600_302600_NS6detail15normal_iteratorINS8_10device_ptrIxEEEENSA_INSB_IiEEEEZNS1_13binary_searchIS3_S5_SD_SD_SF_NS1_21lower_bound_search_opENS9_16wrapped_functionINS0_4lessIvEEbEEEE10hipError_tPvRmT1_T2_T3_mmT4_T5_P12ihipStream_tbEUlRKxE_EESM_SQ_SR_mSS_SV_bEUlT_E_NS1_11comp_targetILNS1_3genE3ELNS1_11target_archE908ELNS1_3gpuE7ELNS1_3repE0EEENS1_30default_config_static_selectorELNS0_4arch9wavefront6targetE1EEEvSP_
                                        ; -- End function
	.section	.AMDGPU.csdata,"",@progbits
; Kernel info:
; codeLenInByte = 0
; NumSgprs: 4
; NumVgprs: 0
; NumAgprs: 0
; TotalNumVgprs: 0
; ScratchSize: 0
; MemoryBound: 0
; FloatMode: 240
; IeeeMode: 1
; LDSByteSize: 0 bytes/workgroup (compile time only)
; SGPRBlocks: 0
; VGPRBlocks: 0
; NumSGPRsForWavesPerEU: 4
; NumVGPRsForWavesPerEU: 1
; AccumOffset: 4
; Occupancy: 8
; WaveLimiterHint : 0
; COMPUTE_PGM_RSRC2:SCRATCH_EN: 0
; COMPUTE_PGM_RSRC2:USER_SGPR: 6
; COMPUTE_PGM_RSRC2:TRAP_HANDLER: 0
; COMPUTE_PGM_RSRC2:TGID_X_EN: 1
; COMPUTE_PGM_RSRC2:TGID_Y_EN: 0
; COMPUTE_PGM_RSRC2:TGID_Z_EN: 0
; COMPUTE_PGM_RSRC2:TIDIG_COMP_CNT: 0
; COMPUTE_PGM_RSRC3_GFX90A:ACCUM_OFFSET: 0
; COMPUTE_PGM_RSRC3_GFX90A:TG_SPLIT: 0
	.section	.text._ZN7rocprim17ROCPRIM_400000_NS6detail17trampoline_kernelINS0_14default_configENS1_27lower_bound_config_selectorIxiEEZNS1_14transform_implILb0ES3_S5_N6thrust23THRUST_200600_302600_NS6detail15normal_iteratorINS8_10device_ptrIxEEEENSA_INSB_IiEEEEZNS1_13binary_searchIS3_S5_SD_SD_SF_NS1_21lower_bound_search_opENS9_16wrapped_functionINS0_4lessIvEEbEEEE10hipError_tPvRmT1_T2_T3_mmT4_T5_P12ihipStream_tbEUlRKxE_EESM_SQ_SR_mSS_SV_bEUlT_E_NS1_11comp_targetILNS1_3genE2ELNS1_11target_archE906ELNS1_3gpuE6ELNS1_3repE0EEENS1_30default_config_static_selectorELNS0_4arch9wavefront6targetE1EEEvSP_,"axG",@progbits,_ZN7rocprim17ROCPRIM_400000_NS6detail17trampoline_kernelINS0_14default_configENS1_27lower_bound_config_selectorIxiEEZNS1_14transform_implILb0ES3_S5_N6thrust23THRUST_200600_302600_NS6detail15normal_iteratorINS8_10device_ptrIxEEEENSA_INSB_IiEEEEZNS1_13binary_searchIS3_S5_SD_SD_SF_NS1_21lower_bound_search_opENS9_16wrapped_functionINS0_4lessIvEEbEEEE10hipError_tPvRmT1_T2_T3_mmT4_T5_P12ihipStream_tbEUlRKxE_EESM_SQ_SR_mSS_SV_bEUlT_E_NS1_11comp_targetILNS1_3genE2ELNS1_11target_archE906ELNS1_3gpuE6ELNS1_3repE0EEENS1_30default_config_static_selectorELNS0_4arch9wavefront6targetE1EEEvSP_,comdat
	.protected	_ZN7rocprim17ROCPRIM_400000_NS6detail17trampoline_kernelINS0_14default_configENS1_27lower_bound_config_selectorIxiEEZNS1_14transform_implILb0ES3_S5_N6thrust23THRUST_200600_302600_NS6detail15normal_iteratorINS8_10device_ptrIxEEEENSA_INSB_IiEEEEZNS1_13binary_searchIS3_S5_SD_SD_SF_NS1_21lower_bound_search_opENS9_16wrapped_functionINS0_4lessIvEEbEEEE10hipError_tPvRmT1_T2_T3_mmT4_T5_P12ihipStream_tbEUlRKxE_EESM_SQ_SR_mSS_SV_bEUlT_E_NS1_11comp_targetILNS1_3genE2ELNS1_11target_archE906ELNS1_3gpuE6ELNS1_3repE0EEENS1_30default_config_static_selectorELNS0_4arch9wavefront6targetE1EEEvSP_ ; -- Begin function _ZN7rocprim17ROCPRIM_400000_NS6detail17trampoline_kernelINS0_14default_configENS1_27lower_bound_config_selectorIxiEEZNS1_14transform_implILb0ES3_S5_N6thrust23THRUST_200600_302600_NS6detail15normal_iteratorINS8_10device_ptrIxEEEENSA_INSB_IiEEEEZNS1_13binary_searchIS3_S5_SD_SD_SF_NS1_21lower_bound_search_opENS9_16wrapped_functionINS0_4lessIvEEbEEEE10hipError_tPvRmT1_T2_T3_mmT4_T5_P12ihipStream_tbEUlRKxE_EESM_SQ_SR_mSS_SV_bEUlT_E_NS1_11comp_targetILNS1_3genE2ELNS1_11target_archE906ELNS1_3gpuE6ELNS1_3repE0EEENS1_30default_config_static_selectorELNS0_4arch9wavefront6targetE1EEEvSP_
	.globl	_ZN7rocprim17ROCPRIM_400000_NS6detail17trampoline_kernelINS0_14default_configENS1_27lower_bound_config_selectorIxiEEZNS1_14transform_implILb0ES3_S5_N6thrust23THRUST_200600_302600_NS6detail15normal_iteratorINS8_10device_ptrIxEEEENSA_INSB_IiEEEEZNS1_13binary_searchIS3_S5_SD_SD_SF_NS1_21lower_bound_search_opENS9_16wrapped_functionINS0_4lessIvEEbEEEE10hipError_tPvRmT1_T2_T3_mmT4_T5_P12ihipStream_tbEUlRKxE_EESM_SQ_SR_mSS_SV_bEUlT_E_NS1_11comp_targetILNS1_3genE2ELNS1_11target_archE906ELNS1_3gpuE6ELNS1_3repE0EEENS1_30default_config_static_selectorELNS0_4arch9wavefront6targetE1EEEvSP_
	.p2align	8
	.type	_ZN7rocprim17ROCPRIM_400000_NS6detail17trampoline_kernelINS0_14default_configENS1_27lower_bound_config_selectorIxiEEZNS1_14transform_implILb0ES3_S5_N6thrust23THRUST_200600_302600_NS6detail15normal_iteratorINS8_10device_ptrIxEEEENSA_INSB_IiEEEEZNS1_13binary_searchIS3_S5_SD_SD_SF_NS1_21lower_bound_search_opENS9_16wrapped_functionINS0_4lessIvEEbEEEE10hipError_tPvRmT1_T2_T3_mmT4_T5_P12ihipStream_tbEUlRKxE_EESM_SQ_SR_mSS_SV_bEUlT_E_NS1_11comp_targetILNS1_3genE2ELNS1_11target_archE906ELNS1_3gpuE6ELNS1_3repE0EEENS1_30default_config_static_selectorELNS0_4arch9wavefront6targetE1EEEvSP_,@function
_ZN7rocprim17ROCPRIM_400000_NS6detail17trampoline_kernelINS0_14default_configENS1_27lower_bound_config_selectorIxiEEZNS1_14transform_implILb0ES3_S5_N6thrust23THRUST_200600_302600_NS6detail15normal_iteratorINS8_10device_ptrIxEEEENSA_INSB_IiEEEEZNS1_13binary_searchIS3_S5_SD_SD_SF_NS1_21lower_bound_search_opENS9_16wrapped_functionINS0_4lessIvEEbEEEE10hipError_tPvRmT1_T2_T3_mmT4_T5_P12ihipStream_tbEUlRKxE_EESM_SQ_SR_mSS_SV_bEUlT_E_NS1_11comp_targetILNS1_3genE2ELNS1_11target_archE906ELNS1_3gpuE6ELNS1_3repE0EEENS1_30default_config_static_selectorELNS0_4arch9wavefront6targetE1EEEvSP_: ; @_ZN7rocprim17ROCPRIM_400000_NS6detail17trampoline_kernelINS0_14default_configENS1_27lower_bound_config_selectorIxiEEZNS1_14transform_implILb0ES3_S5_N6thrust23THRUST_200600_302600_NS6detail15normal_iteratorINS8_10device_ptrIxEEEENSA_INSB_IiEEEEZNS1_13binary_searchIS3_S5_SD_SD_SF_NS1_21lower_bound_search_opENS9_16wrapped_functionINS0_4lessIvEEbEEEE10hipError_tPvRmT1_T2_T3_mmT4_T5_P12ihipStream_tbEUlRKxE_EESM_SQ_SR_mSS_SV_bEUlT_E_NS1_11comp_targetILNS1_3genE2ELNS1_11target_archE906ELNS1_3gpuE6ELNS1_3repE0EEENS1_30default_config_static_selectorELNS0_4arch9wavefront6targetE1EEEvSP_
; %bb.0:
	.section	.rodata,"a",@progbits
	.p2align	6, 0x0
	.amdhsa_kernel _ZN7rocprim17ROCPRIM_400000_NS6detail17trampoline_kernelINS0_14default_configENS1_27lower_bound_config_selectorIxiEEZNS1_14transform_implILb0ES3_S5_N6thrust23THRUST_200600_302600_NS6detail15normal_iteratorINS8_10device_ptrIxEEEENSA_INSB_IiEEEEZNS1_13binary_searchIS3_S5_SD_SD_SF_NS1_21lower_bound_search_opENS9_16wrapped_functionINS0_4lessIvEEbEEEE10hipError_tPvRmT1_T2_T3_mmT4_T5_P12ihipStream_tbEUlRKxE_EESM_SQ_SR_mSS_SV_bEUlT_E_NS1_11comp_targetILNS1_3genE2ELNS1_11target_archE906ELNS1_3gpuE6ELNS1_3repE0EEENS1_30default_config_static_selectorELNS0_4arch9wavefront6targetE1EEEvSP_
		.amdhsa_group_segment_fixed_size 0
		.amdhsa_private_segment_fixed_size 0
		.amdhsa_kernarg_size 56
		.amdhsa_user_sgpr_count 6
		.amdhsa_user_sgpr_private_segment_buffer 1
		.amdhsa_user_sgpr_dispatch_ptr 0
		.amdhsa_user_sgpr_queue_ptr 0
		.amdhsa_user_sgpr_kernarg_segment_ptr 1
		.amdhsa_user_sgpr_dispatch_id 0
		.amdhsa_user_sgpr_flat_scratch_init 0
		.amdhsa_user_sgpr_kernarg_preload_length 0
		.amdhsa_user_sgpr_kernarg_preload_offset 0
		.amdhsa_user_sgpr_private_segment_size 0
		.amdhsa_uses_dynamic_stack 0
		.amdhsa_system_sgpr_private_segment_wavefront_offset 0
		.amdhsa_system_sgpr_workgroup_id_x 1
		.amdhsa_system_sgpr_workgroup_id_y 0
		.amdhsa_system_sgpr_workgroup_id_z 0
		.amdhsa_system_sgpr_workgroup_info 0
		.amdhsa_system_vgpr_workitem_id 0
		.amdhsa_next_free_vgpr 1
		.amdhsa_next_free_sgpr 0
		.amdhsa_accum_offset 4
		.amdhsa_reserve_vcc 0
		.amdhsa_reserve_flat_scratch 0
		.amdhsa_float_round_mode_32 0
		.amdhsa_float_round_mode_16_64 0
		.amdhsa_float_denorm_mode_32 3
		.amdhsa_float_denorm_mode_16_64 3
		.amdhsa_dx10_clamp 1
		.amdhsa_ieee_mode 1
		.amdhsa_fp16_overflow 0
		.amdhsa_tg_split 0
		.amdhsa_exception_fp_ieee_invalid_op 0
		.amdhsa_exception_fp_denorm_src 0
		.amdhsa_exception_fp_ieee_div_zero 0
		.amdhsa_exception_fp_ieee_overflow 0
		.amdhsa_exception_fp_ieee_underflow 0
		.amdhsa_exception_fp_ieee_inexact 0
		.amdhsa_exception_int_div_zero 0
	.end_amdhsa_kernel
	.section	.text._ZN7rocprim17ROCPRIM_400000_NS6detail17trampoline_kernelINS0_14default_configENS1_27lower_bound_config_selectorIxiEEZNS1_14transform_implILb0ES3_S5_N6thrust23THRUST_200600_302600_NS6detail15normal_iteratorINS8_10device_ptrIxEEEENSA_INSB_IiEEEEZNS1_13binary_searchIS3_S5_SD_SD_SF_NS1_21lower_bound_search_opENS9_16wrapped_functionINS0_4lessIvEEbEEEE10hipError_tPvRmT1_T2_T3_mmT4_T5_P12ihipStream_tbEUlRKxE_EESM_SQ_SR_mSS_SV_bEUlT_E_NS1_11comp_targetILNS1_3genE2ELNS1_11target_archE906ELNS1_3gpuE6ELNS1_3repE0EEENS1_30default_config_static_selectorELNS0_4arch9wavefront6targetE1EEEvSP_,"axG",@progbits,_ZN7rocprim17ROCPRIM_400000_NS6detail17trampoline_kernelINS0_14default_configENS1_27lower_bound_config_selectorIxiEEZNS1_14transform_implILb0ES3_S5_N6thrust23THRUST_200600_302600_NS6detail15normal_iteratorINS8_10device_ptrIxEEEENSA_INSB_IiEEEEZNS1_13binary_searchIS3_S5_SD_SD_SF_NS1_21lower_bound_search_opENS9_16wrapped_functionINS0_4lessIvEEbEEEE10hipError_tPvRmT1_T2_T3_mmT4_T5_P12ihipStream_tbEUlRKxE_EESM_SQ_SR_mSS_SV_bEUlT_E_NS1_11comp_targetILNS1_3genE2ELNS1_11target_archE906ELNS1_3gpuE6ELNS1_3repE0EEENS1_30default_config_static_selectorELNS0_4arch9wavefront6targetE1EEEvSP_,comdat
.Lfunc_end305:
	.size	_ZN7rocprim17ROCPRIM_400000_NS6detail17trampoline_kernelINS0_14default_configENS1_27lower_bound_config_selectorIxiEEZNS1_14transform_implILb0ES3_S5_N6thrust23THRUST_200600_302600_NS6detail15normal_iteratorINS8_10device_ptrIxEEEENSA_INSB_IiEEEEZNS1_13binary_searchIS3_S5_SD_SD_SF_NS1_21lower_bound_search_opENS9_16wrapped_functionINS0_4lessIvEEbEEEE10hipError_tPvRmT1_T2_T3_mmT4_T5_P12ihipStream_tbEUlRKxE_EESM_SQ_SR_mSS_SV_bEUlT_E_NS1_11comp_targetILNS1_3genE2ELNS1_11target_archE906ELNS1_3gpuE6ELNS1_3repE0EEENS1_30default_config_static_selectorELNS0_4arch9wavefront6targetE1EEEvSP_, .Lfunc_end305-_ZN7rocprim17ROCPRIM_400000_NS6detail17trampoline_kernelINS0_14default_configENS1_27lower_bound_config_selectorIxiEEZNS1_14transform_implILb0ES3_S5_N6thrust23THRUST_200600_302600_NS6detail15normal_iteratorINS8_10device_ptrIxEEEENSA_INSB_IiEEEEZNS1_13binary_searchIS3_S5_SD_SD_SF_NS1_21lower_bound_search_opENS9_16wrapped_functionINS0_4lessIvEEbEEEE10hipError_tPvRmT1_T2_T3_mmT4_T5_P12ihipStream_tbEUlRKxE_EESM_SQ_SR_mSS_SV_bEUlT_E_NS1_11comp_targetILNS1_3genE2ELNS1_11target_archE906ELNS1_3gpuE6ELNS1_3repE0EEENS1_30default_config_static_selectorELNS0_4arch9wavefront6targetE1EEEvSP_
                                        ; -- End function
	.section	.AMDGPU.csdata,"",@progbits
; Kernel info:
; codeLenInByte = 0
; NumSgprs: 4
; NumVgprs: 0
; NumAgprs: 0
; TotalNumVgprs: 0
; ScratchSize: 0
; MemoryBound: 0
; FloatMode: 240
; IeeeMode: 1
; LDSByteSize: 0 bytes/workgroup (compile time only)
; SGPRBlocks: 0
; VGPRBlocks: 0
; NumSGPRsForWavesPerEU: 4
; NumVGPRsForWavesPerEU: 1
; AccumOffset: 4
; Occupancy: 8
; WaveLimiterHint : 0
; COMPUTE_PGM_RSRC2:SCRATCH_EN: 0
; COMPUTE_PGM_RSRC2:USER_SGPR: 6
; COMPUTE_PGM_RSRC2:TRAP_HANDLER: 0
; COMPUTE_PGM_RSRC2:TGID_X_EN: 1
; COMPUTE_PGM_RSRC2:TGID_Y_EN: 0
; COMPUTE_PGM_RSRC2:TGID_Z_EN: 0
; COMPUTE_PGM_RSRC2:TIDIG_COMP_CNT: 0
; COMPUTE_PGM_RSRC3_GFX90A:ACCUM_OFFSET: 0
; COMPUTE_PGM_RSRC3_GFX90A:TG_SPLIT: 0
	.section	.text._ZN7rocprim17ROCPRIM_400000_NS6detail17trampoline_kernelINS0_14default_configENS1_27lower_bound_config_selectorIxiEEZNS1_14transform_implILb0ES3_S5_N6thrust23THRUST_200600_302600_NS6detail15normal_iteratorINS8_10device_ptrIxEEEENSA_INSB_IiEEEEZNS1_13binary_searchIS3_S5_SD_SD_SF_NS1_21lower_bound_search_opENS9_16wrapped_functionINS0_4lessIvEEbEEEE10hipError_tPvRmT1_T2_T3_mmT4_T5_P12ihipStream_tbEUlRKxE_EESM_SQ_SR_mSS_SV_bEUlT_E_NS1_11comp_targetILNS1_3genE10ELNS1_11target_archE1201ELNS1_3gpuE5ELNS1_3repE0EEENS1_30default_config_static_selectorELNS0_4arch9wavefront6targetE1EEEvSP_,"axG",@progbits,_ZN7rocprim17ROCPRIM_400000_NS6detail17trampoline_kernelINS0_14default_configENS1_27lower_bound_config_selectorIxiEEZNS1_14transform_implILb0ES3_S5_N6thrust23THRUST_200600_302600_NS6detail15normal_iteratorINS8_10device_ptrIxEEEENSA_INSB_IiEEEEZNS1_13binary_searchIS3_S5_SD_SD_SF_NS1_21lower_bound_search_opENS9_16wrapped_functionINS0_4lessIvEEbEEEE10hipError_tPvRmT1_T2_T3_mmT4_T5_P12ihipStream_tbEUlRKxE_EESM_SQ_SR_mSS_SV_bEUlT_E_NS1_11comp_targetILNS1_3genE10ELNS1_11target_archE1201ELNS1_3gpuE5ELNS1_3repE0EEENS1_30default_config_static_selectorELNS0_4arch9wavefront6targetE1EEEvSP_,comdat
	.protected	_ZN7rocprim17ROCPRIM_400000_NS6detail17trampoline_kernelINS0_14default_configENS1_27lower_bound_config_selectorIxiEEZNS1_14transform_implILb0ES3_S5_N6thrust23THRUST_200600_302600_NS6detail15normal_iteratorINS8_10device_ptrIxEEEENSA_INSB_IiEEEEZNS1_13binary_searchIS3_S5_SD_SD_SF_NS1_21lower_bound_search_opENS9_16wrapped_functionINS0_4lessIvEEbEEEE10hipError_tPvRmT1_T2_T3_mmT4_T5_P12ihipStream_tbEUlRKxE_EESM_SQ_SR_mSS_SV_bEUlT_E_NS1_11comp_targetILNS1_3genE10ELNS1_11target_archE1201ELNS1_3gpuE5ELNS1_3repE0EEENS1_30default_config_static_selectorELNS0_4arch9wavefront6targetE1EEEvSP_ ; -- Begin function _ZN7rocprim17ROCPRIM_400000_NS6detail17trampoline_kernelINS0_14default_configENS1_27lower_bound_config_selectorIxiEEZNS1_14transform_implILb0ES3_S5_N6thrust23THRUST_200600_302600_NS6detail15normal_iteratorINS8_10device_ptrIxEEEENSA_INSB_IiEEEEZNS1_13binary_searchIS3_S5_SD_SD_SF_NS1_21lower_bound_search_opENS9_16wrapped_functionINS0_4lessIvEEbEEEE10hipError_tPvRmT1_T2_T3_mmT4_T5_P12ihipStream_tbEUlRKxE_EESM_SQ_SR_mSS_SV_bEUlT_E_NS1_11comp_targetILNS1_3genE10ELNS1_11target_archE1201ELNS1_3gpuE5ELNS1_3repE0EEENS1_30default_config_static_selectorELNS0_4arch9wavefront6targetE1EEEvSP_
	.globl	_ZN7rocprim17ROCPRIM_400000_NS6detail17trampoline_kernelINS0_14default_configENS1_27lower_bound_config_selectorIxiEEZNS1_14transform_implILb0ES3_S5_N6thrust23THRUST_200600_302600_NS6detail15normal_iteratorINS8_10device_ptrIxEEEENSA_INSB_IiEEEEZNS1_13binary_searchIS3_S5_SD_SD_SF_NS1_21lower_bound_search_opENS9_16wrapped_functionINS0_4lessIvEEbEEEE10hipError_tPvRmT1_T2_T3_mmT4_T5_P12ihipStream_tbEUlRKxE_EESM_SQ_SR_mSS_SV_bEUlT_E_NS1_11comp_targetILNS1_3genE10ELNS1_11target_archE1201ELNS1_3gpuE5ELNS1_3repE0EEENS1_30default_config_static_selectorELNS0_4arch9wavefront6targetE1EEEvSP_
	.p2align	8
	.type	_ZN7rocprim17ROCPRIM_400000_NS6detail17trampoline_kernelINS0_14default_configENS1_27lower_bound_config_selectorIxiEEZNS1_14transform_implILb0ES3_S5_N6thrust23THRUST_200600_302600_NS6detail15normal_iteratorINS8_10device_ptrIxEEEENSA_INSB_IiEEEEZNS1_13binary_searchIS3_S5_SD_SD_SF_NS1_21lower_bound_search_opENS9_16wrapped_functionINS0_4lessIvEEbEEEE10hipError_tPvRmT1_T2_T3_mmT4_T5_P12ihipStream_tbEUlRKxE_EESM_SQ_SR_mSS_SV_bEUlT_E_NS1_11comp_targetILNS1_3genE10ELNS1_11target_archE1201ELNS1_3gpuE5ELNS1_3repE0EEENS1_30default_config_static_selectorELNS0_4arch9wavefront6targetE1EEEvSP_,@function
_ZN7rocprim17ROCPRIM_400000_NS6detail17trampoline_kernelINS0_14default_configENS1_27lower_bound_config_selectorIxiEEZNS1_14transform_implILb0ES3_S5_N6thrust23THRUST_200600_302600_NS6detail15normal_iteratorINS8_10device_ptrIxEEEENSA_INSB_IiEEEEZNS1_13binary_searchIS3_S5_SD_SD_SF_NS1_21lower_bound_search_opENS9_16wrapped_functionINS0_4lessIvEEbEEEE10hipError_tPvRmT1_T2_T3_mmT4_T5_P12ihipStream_tbEUlRKxE_EESM_SQ_SR_mSS_SV_bEUlT_E_NS1_11comp_targetILNS1_3genE10ELNS1_11target_archE1201ELNS1_3gpuE5ELNS1_3repE0EEENS1_30default_config_static_selectorELNS0_4arch9wavefront6targetE1EEEvSP_: ; @_ZN7rocprim17ROCPRIM_400000_NS6detail17trampoline_kernelINS0_14default_configENS1_27lower_bound_config_selectorIxiEEZNS1_14transform_implILb0ES3_S5_N6thrust23THRUST_200600_302600_NS6detail15normal_iteratorINS8_10device_ptrIxEEEENSA_INSB_IiEEEEZNS1_13binary_searchIS3_S5_SD_SD_SF_NS1_21lower_bound_search_opENS9_16wrapped_functionINS0_4lessIvEEbEEEE10hipError_tPvRmT1_T2_T3_mmT4_T5_P12ihipStream_tbEUlRKxE_EESM_SQ_SR_mSS_SV_bEUlT_E_NS1_11comp_targetILNS1_3genE10ELNS1_11target_archE1201ELNS1_3gpuE5ELNS1_3repE0EEENS1_30default_config_static_selectorELNS0_4arch9wavefront6targetE1EEEvSP_
; %bb.0:
	.section	.rodata,"a",@progbits
	.p2align	6, 0x0
	.amdhsa_kernel _ZN7rocprim17ROCPRIM_400000_NS6detail17trampoline_kernelINS0_14default_configENS1_27lower_bound_config_selectorIxiEEZNS1_14transform_implILb0ES3_S5_N6thrust23THRUST_200600_302600_NS6detail15normal_iteratorINS8_10device_ptrIxEEEENSA_INSB_IiEEEEZNS1_13binary_searchIS3_S5_SD_SD_SF_NS1_21lower_bound_search_opENS9_16wrapped_functionINS0_4lessIvEEbEEEE10hipError_tPvRmT1_T2_T3_mmT4_T5_P12ihipStream_tbEUlRKxE_EESM_SQ_SR_mSS_SV_bEUlT_E_NS1_11comp_targetILNS1_3genE10ELNS1_11target_archE1201ELNS1_3gpuE5ELNS1_3repE0EEENS1_30default_config_static_selectorELNS0_4arch9wavefront6targetE1EEEvSP_
		.amdhsa_group_segment_fixed_size 0
		.amdhsa_private_segment_fixed_size 0
		.amdhsa_kernarg_size 56
		.amdhsa_user_sgpr_count 6
		.amdhsa_user_sgpr_private_segment_buffer 1
		.amdhsa_user_sgpr_dispatch_ptr 0
		.amdhsa_user_sgpr_queue_ptr 0
		.amdhsa_user_sgpr_kernarg_segment_ptr 1
		.amdhsa_user_sgpr_dispatch_id 0
		.amdhsa_user_sgpr_flat_scratch_init 0
		.amdhsa_user_sgpr_kernarg_preload_length 0
		.amdhsa_user_sgpr_kernarg_preload_offset 0
		.amdhsa_user_sgpr_private_segment_size 0
		.amdhsa_uses_dynamic_stack 0
		.amdhsa_system_sgpr_private_segment_wavefront_offset 0
		.amdhsa_system_sgpr_workgroup_id_x 1
		.amdhsa_system_sgpr_workgroup_id_y 0
		.amdhsa_system_sgpr_workgroup_id_z 0
		.amdhsa_system_sgpr_workgroup_info 0
		.amdhsa_system_vgpr_workitem_id 0
		.amdhsa_next_free_vgpr 1
		.amdhsa_next_free_sgpr 0
		.amdhsa_accum_offset 4
		.amdhsa_reserve_vcc 0
		.amdhsa_reserve_flat_scratch 0
		.amdhsa_float_round_mode_32 0
		.amdhsa_float_round_mode_16_64 0
		.amdhsa_float_denorm_mode_32 3
		.amdhsa_float_denorm_mode_16_64 3
		.amdhsa_dx10_clamp 1
		.amdhsa_ieee_mode 1
		.amdhsa_fp16_overflow 0
		.amdhsa_tg_split 0
		.amdhsa_exception_fp_ieee_invalid_op 0
		.amdhsa_exception_fp_denorm_src 0
		.amdhsa_exception_fp_ieee_div_zero 0
		.amdhsa_exception_fp_ieee_overflow 0
		.amdhsa_exception_fp_ieee_underflow 0
		.amdhsa_exception_fp_ieee_inexact 0
		.amdhsa_exception_int_div_zero 0
	.end_amdhsa_kernel
	.section	.text._ZN7rocprim17ROCPRIM_400000_NS6detail17trampoline_kernelINS0_14default_configENS1_27lower_bound_config_selectorIxiEEZNS1_14transform_implILb0ES3_S5_N6thrust23THRUST_200600_302600_NS6detail15normal_iteratorINS8_10device_ptrIxEEEENSA_INSB_IiEEEEZNS1_13binary_searchIS3_S5_SD_SD_SF_NS1_21lower_bound_search_opENS9_16wrapped_functionINS0_4lessIvEEbEEEE10hipError_tPvRmT1_T2_T3_mmT4_T5_P12ihipStream_tbEUlRKxE_EESM_SQ_SR_mSS_SV_bEUlT_E_NS1_11comp_targetILNS1_3genE10ELNS1_11target_archE1201ELNS1_3gpuE5ELNS1_3repE0EEENS1_30default_config_static_selectorELNS0_4arch9wavefront6targetE1EEEvSP_,"axG",@progbits,_ZN7rocprim17ROCPRIM_400000_NS6detail17trampoline_kernelINS0_14default_configENS1_27lower_bound_config_selectorIxiEEZNS1_14transform_implILb0ES3_S5_N6thrust23THRUST_200600_302600_NS6detail15normal_iteratorINS8_10device_ptrIxEEEENSA_INSB_IiEEEEZNS1_13binary_searchIS3_S5_SD_SD_SF_NS1_21lower_bound_search_opENS9_16wrapped_functionINS0_4lessIvEEbEEEE10hipError_tPvRmT1_T2_T3_mmT4_T5_P12ihipStream_tbEUlRKxE_EESM_SQ_SR_mSS_SV_bEUlT_E_NS1_11comp_targetILNS1_3genE10ELNS1_11target_archE1201ELNS1_3gpuE5ELNS1_3repE0EEENS1_30default_config_static_selectorELNS0_4arch9wavefront6targetE1EEEvSP_,comdat
.Lfunc_end306:
	.size	_ZN7rocprim17ROCPRIM_400000_NS6detail17trampoline_kernelINS0_14default_configENS1_27lower_bound_config_selectorIxiEEZNS1_14transform_implILb0ES3_S5_N6thrust23THRUST_200600_302600_NS6detail15normal_iteratorINS8_10device_ptrIxEEEENSA_INSB_IiEEEEZNS1_13binary_searchIS3_S5_SD_SD_SF_NS1_21lower_bound_search_opENS9_16wrapped_functionINS0_4lessIvEEbEEEE10hipError_tPvRmT1_T2_T3_mmT4_T5_P12ihipStream_tbEUlRKxE_EESM_SQ_SR_mSS_SV_bEUlT_E_NS1_11comp_targetILNS1_3genE10ELNS1_11target_archE1201ELNS1_3gpuE5ELNS1_3repE0EEENS1_30default_config_static_selectorELNS0_4arch9wavefront6targetE1EEEvSP_, .Lfunc_end306-_ZN7rocprim17ROCPRIM_400000_NS6detail17trampoline_kernelINS0_14default_configENS1_27lower_bound_config_selectorIxiEEZNS1_14transform_implILb0ES3_S5_N6thrust23THRUST_200600_302600_NS6detail15normal_iteratorINS8_10device_ptrIxEEEENSA_INSB_IiEEEEZNS1_13binary_searchIS3_S5_SD_SD_SF_NS1_21lower_bound_search_opENS9_16wrapped_functionINS0_4lessIvEEbEEEE10hipError_tPvRmT1_T2_T3_mmT4_T5_P12ihipStream_tbEUlRKxE_EESM_SQ_SR_mSS_SV_bEUlT_E_NS1_11comp_targetILNS1_3genE10ELNS1_11target_archE1201ELNS1_3gpuE5ELNS1_3repE0EEENS1_30default_config_static_selectorELNS0_4arch9wavefront6targetE1EEEvSP_
                                        ; -- End function
	.section	.AMDGPU.csdata,"",@progbits
; Kernel info:
; codeLenInByte = 0
; NumSgprs: 4
; NumVgprs: 0
; NumAgprs: 0
; TotalNumVgprs: 0
; ScratchSize: 0
; MemoryBound: 0
; FloatMode: 240
; IeeeMode: 1
; LDSByteSize: 0 bytes/workgroup (compile time only)
; SGPRBlocks: 0
; VGPRBlocks: 0
; NumSGPRsForWavesPerEU: 4
; NumVGPRsForWavesPerEU: 1
; AccumOffset: 4
; Occupancy: 8
; WaveLimiterHint : 0
; COMPUTE_PGM_RSRC2:SCRATCH_EN: 0
; COMPUTE_PGM_RSRC2:USER_SGPR: 6
; COMPUTE_PGM_RSRC2:TRAP_HANDLER: 0
; COMPUTE_PGM_RSRC2:TGID_X_EN: 1
; COMPUTE_PGM_RSRC2:TGID_Y_EN: 0
; COMPUTE_PGM_RSRC2:TGID_Z_EN: 0
; COMPUTE_PGM_RSRC2:TIDIG_COMP_CNT: 0
; COMPUTE_PGM_RSRC3_GFX90A:ACCUM_OFFSET: 0
; COMPUTE_PGM_RSRC3_GFX90A:TG_SPLIT: 0
	.section	.text._ZN7rocprim17ROCPRIM_400000_NS6detail17trampoline_kernelINS0_14default_configENS1_27lower_bound_config_selectorIxiEEZNS1_14transform_implILb0ES3_S5_N6thrust23THRUST_200600_302600_NS6detail15normal_iteratorINS8_10device_ptrIxEEEENSA_INSB_IiEEEEZNS1_13binary_searchIS3_S5_SD_SD_SF_NS1_21lower_bound_search_opENS9_16wrapped_functionINS0_4lessIvEEbEEEE10hipError_tPvRmT1_T2_T3_mmT4_T5_P12ihipStream_tbEUlRKxE_EESM_SQ_SR_mSS_SV_bEUlT_E_NS1_11comp_targetILNS1_3genE10ELNS1_11target_archE1200ELNS1_3gpuE4ELNS1_3repE0EEENS1_30default_config_static_selectorELNS0_4arch9wavefront6targetE1EEEvSP_,"axG",@progbits,_ZN7rocprim17ROCPRIM_400000_NS6detail17trampoline_kernelINS0_14default_configENS1_27lower_bound_config_selectorIxiEEZNS1_14transform_implILb0ES3_S5_N6thrust23THRUST_200600_302600_NS6detail15normal_iteratorINS8_10device_ptrIxEEEENSA_INSB_IiEEEEZNS1_13binary_searchIS3_S5_SD_SD_SF_NS1_21lower_bound_search_opENS9_16wrapped_functionINS0_4lessIvEEbEEEE10hipError_tPvRmT1_T2_T3_mmT4_T5_P12ihipStream_tbEUlRKxE_EESM_SQ_SR_mSS_SV_bEUlT_E_NS1_11comp_targetILNS1_3genE10ELNS1_11target_archE1200ELNS1_3gpuE4ELNS1_3repE0EEENS1_30default_config_static_selectorELNS0_4arch9wavefront6targetE1EEEvSP_,comdat
	.protected	_ZN7rocprim17ROCPRIM_400000_NS6detail17trampoline_kernelINS0_14default_configENS1_27lower_bound_config_selectorIxiEEZNS1_14transform_implILb0ES3_S5_N6thrust23THRUST_200600_302600_NS6detail15normal_iteratorINS8_10device_ptrIxEEEENSA_INSB_IiEEEEZNS1_13binary_searchIS3_S5_SD_SD_SF_NS1_21lower_bound_search_opENS9_16wrapped_functionINS0_4lessIvEEbEEEE10hipError_tPvRmT1_T2_T3_mmT4_T5_P12ihipStream_tbEUlRKxE_EESM_SQ_SR_mSS_SV_bEUlT_E_NS1_11comp_targetILNS1_3genE10ELNS1_11target_archE1200ELNS1_3gpuE4ELNS1_3repE0EEENS1_30default_config_static_selectorELNS0_4arch9wavefront6targetE1EEEvSP_ ; -- Begin function _ZN7rocprim17ROCPRIM_400000_NS6detail17trampoline_kernelINS0_14default_configENS1_27lower_bound_config_selectorIxiEEZNS1_14transform_implILb0ES3_S5_N6thrust23THRUST_200600_302600_NS6detail15normal_iteratorINS8_10device_ptrIxEEEENSA_INSB_IiEEEEZNS1_13binary_searchIS3_S5_SD_SD_SF_NS1_21lower_bound_search_opENS9_16wrapped_functionINS0_4lessIvEEbEEEE10hipError_tPvRmT1_T2_T3_mmT4_T5_P12ihipStream_tbEUlRKxE_EESM_SQ_SR_mSS_SV_bEUlT_E_NS1_11comp_targetILNS1_3genE10ELNS1_11target_archE1200ELNS1_3gpuE4ELNS1_3repE0EEENS1_30default_config_static_selectorELNS0_4arch9wavefront6targetE1EEEvSP_
	.globl	_ZN7rocprim17ROCPRIM_400000_NS6detail17trampoline_kernelINS0_14default_configENS1_27lower_bound_config_selectorIxiEEZNS1_14transform_implILb0ES3_S5_N6thrust23THRUST_200600_302600_NS6detail15normal_iteratorINS8_10device_ptrIxEEEENSA_INSB_IiEEEEZNS1_13binary_searchIS3_S5_SD_SD_SF_NS1_21lower_bound_search_opENS9_16wrapped_functionINS0_4lessIvEEbEEEE10hipError_tPvRmT1_T2_T3_mmT4_T5_P12ihipStream_tbEUlRKxE_EESM_SQ_SR_mSS_SV_bEUlT_E_NS1_11comp_targetILNS1_3genE10ELNS1_11target_archE1200ELNS1_3gpuE4ELNS1_3repE0EEENS1_30default_config_static_selectorELNS0_4arch9wavefront6targetE1EEEvSP_
	.p2align	8
	.type	_ZN7rocprim17ROCPRIM_400000_NS6detail17trampoline_kernelINS0_14default_configENS1_27lower_bound_config_selectorIxiEEZNS1_14transform_implILb0ES3_S5_N6thrust23THRUST_200600_302600_NS6detail15normal_iteratorINS8_10device_ptrIxEEEENSA_INSB_IiEEEEZNS1_13binary_searchIS3_S5_SD_SD_SF_NS1_21lower_bound_search_opENS9_16wrapped_functionINS0_4lessIvEEbEEEE10hipError_tPvRmT1_T2_T3_mmT4_T5_P12ihipStream_tbEUlRKxE_EESM_SQ_SR_mSS_SV_bEUlT_E_NS1_11comp_targetILNS1_3genE10ELNS1_11target_archE1200ELNS1_3gpuE4ELNS1_3repE0EEENS1_30default_config_static_selectorELNS0_4arch9wavefront6targetE1EEEvSP_,@function
_ZN7rocprim17ROCPRIM_400000_NS6detail17trampoline_kernelINS0_14default_configENS1_27lower_bound_config_selectorIxiEEZNS1_14transform_implILb0ES3_S5_N6thrust23THRUST_200600_302600_NS6detail15normal_iteratorINS8_10device_ptrIxEEEENSA_INSB_IiEEEEZNS1_13binary_searchIS3_S5_SD_SD_SF_NS1_21lower_bound_search_opENS9_16wrapped_functionINS0_4lessIvEEbEEEE10hipError_tPvRmT1_T2_T3_mmT4_T5_P12ihipStream_tbEUlRKxE_EESM_SQ_SR_mSS_SV_bEUlT_E_NS1_11comp_targetILNS1_3genE10ELNS1_11target_archE1200ELNS1_3gpuE4ELNS1_3repE0EEENS1_30default_config_static_selectorELNS0_4arch9wavefront6targetE1EEEvSP_: ; @_ZN7rocprim17ROCPRIM_400000_NS6detail17trampoline_kernelINS0_14default_configENS1_27lower_bound_config_selectorIxiEEZNS1_14transform_implILb0ES3_S5_N6thrust23THRUST_200600_302600_NS6detail15normal_iteratorINS8_10device_ptrIxEEEENSA_INSB_IiEEEEZNS1_13binary_searchIS3_S5_SD_SD_SF_NS1_21lower_bound_search_opENS9_16wrapped_functionINS0_4lessIvEEbEEEE10hipError_tPvRmT1_T2_T3_mmT4_T5_P12ihipStream_tbEUlRKxE_EESM_SQ_SR_mSS_SV_bEUlT_E_NS1_11comp_targetILNS1_3genE10ELNS1_11target_archE1200ELNS1_3gpuE4ELNS1_3repE0EEENS1_30default_config_static_selectorELNS0_4arch9wavefront6targetE1EEEvSP_
; %bb.0:
	.section	.rodata,"a",@progbits
	.p2align	6, 0x0
	.amdhsa_kernel _ZN7rocprim17ROCPRIM_400000_NS6detail17trampoline_kernelINS0_14default_configENS1_27lower_bound_config_selectorIxiEEZNS1_14transform_implILb0ES3_S5_N6thrust23THRUST_200600_302600_NS6detail15normal_iteratorINS8_10device_ptrIxEEEENSA_INSB_IiEEEEZNS1_13binary_searchIS3_S5_SD_SD_SF_NS1_21lower_bound_search_opENS9_16wrapped_functionINS0_4lessIvEEbEEEE10hipError_tPvRmT1_T2_T3_mmT4_T5_P12ihipStream_tbEUlRKxE_EESM_SQ_SR_mSS_SV_bEUlT_E_NS1_11comp_targetILNS1_3genE10ELNS1_11target_archE1200ELNS1_3gpuE4ELNS1_3repE0EEENS1_30default_config_static_selectorELNS0_4arch9wavefront6targetE1EEEvSP_
		.amdhsa_group_segment_fixed_size 0
		.amdhsa_private_segment_fixed_size 0
		.amdhsa_kernarg_size 56
		.amdhsa_user_sgpr_count 6
		.amdhsa_user_sgpr_private_segment_buffer 1
		.amdhsa_user_sgpr_dispatch_ptr 0
		.amdhsa_user_sgpr_queue_ptr 0
		.amdhsa_user_sgpr_kernarg_segment_ptr 1
		.amdhsa_user_sgpr_dispatch_id 0
		.amdhsa_user_sgpr_flat_scratch_init 0
		.amdhsa_user_sgpr_kernarg_preload_length 0
		.amdhsa_user_sgpr_kernarg_preload_offset 0
		.amdhsa_user_sgpr_private_segment_size 0
		.amdhsa_uses_dynamic_stack 0
		.amdhsa_system_sgpr_private_segment_wavefront_offset 0
		.amdhsa_system_sgpr_workgroup_id_x 1
		.amdhsa_system_sgpr_workgroup_id_y 0
		.amdhsa_system_sgpr_workgroup_id_z 0
		.amdhsa_system_sgpr_workgroup_info 0
		.amdhsa_system_vgpr_workitem_id 0
		.amdhsa_next_free_vgpr 1
		.amdhsa_next_free_sgpr 0
		.amdhsa_accum_offset 4
		.amdhsa_reserve_vcc 0
		.amdhsa_reserve_flat_scratch 0
		.amdhsa_float_round_mode_32 0
		.amdhsa_float_round_mode_16_64 0
		.amdhsa_float_denorm_mode_32 3
		.amdhsa_float_denorm_mode_16_64 3
		.amdhsa_dx10_clamp 1
		.amdhsa_ieee_mode 1
		.amdhsa_fp16_overflow 0
		.amdhsa_tg_split 0
		.amdhsa_exception_fp_ieee_invalid_op 0
		.amdhsa_exception_fp_denorm_src 0
		.amdhsa_exception_fp_ieee_div_zero 0
		.amdhsa_exception_fp_ieee_overflow 0
		.amdhsa_exception_fp_ieee_underflow 0
		.amdhsa_exception_fp_ieee_inexact 0
		.amdhsa_exception_int_div_zero 0
	.end_amdhsa_kernel
	.section	.text._ZN7rocprim17ROCPRIM_400000_NS6detail17trampoline_kernelINS0_14default_configENS1_27lower_bound_config_selectorIxiEEZNS1_14transform_implILb0ES3_S5_N6thrust23THRUST_200600_302600_NS6detail15normal_iteratorINS8_10device_ptrIxEEEENSA_INSB_IiEEEEZNS1_13binary_searchIS3_S5_SD_SD_SF_NS1_21lower_bound_search_opENS9_16wrapped_functionINS0_4lessIvEEbEEEE10hipError_tPvRmT1_T2_T3_mmT4_T5_P12ihipStream_tbEUlRKxE_EESM_SQ_SR_mSS_SV_bEUlT_E_NS1_11comp_targetILNS1_3genE10ELNS1_11target_archE1200ELNS1_3gpuE4ELNS1_3repE0EEENS1_30default_config_static_selectorELNS0_4arch9wavefront6targetE1EEEvSP_,"axG",@progbits,_ZN7rocprim17ROCPRIM_400000_NS6detail17trampoline_kernelINS0_14default_configENS1_27lower_bound_config_selectorIxiEEZNS1_14transform_implILb0ES3_S5_N6thrust23THRUST_200600_302600_NS6detail15normal_iteratorINS8_10device_ptrIxEEEENSA_INSB_IiEEEEZNS1_13binary_searchIS3_S5_SD_SD_SF_NS1_21lower_bound_search_opENS9_16wrapped_functionINS0_4lessIvEEbEEEE10hipError_tPvRmT1_T2_T3_mmT4_T5_P12ihipStream_tbEUlRKxE_EESM_SQ_SR_mSS_SV_bEUlT_E_NS1_11comp_targetILNS1_3genE10ELNS1_11target_archE1200ELNS1_3gpuE4ELNS1_3repE0EEENS1_30default_config_static_selectorELNS0_4arch9wavefront6targetE1EEEvSP_,comdat
.Lfunc_end307:
	.size	_ZN7rocprim17ROCPRIM_400000_NS6detail17trampoline_kernelINS0_14default_configENS1_27lower_bound_config_selectorIxiEEZNS1_14transform_implILb0ES3_S5_N6thrust23THRUST_200600_302600_NS6detail15normal_iteratorINS8_10device_ptrIxEEEENSA_INSB_IiEEEEZNS1_13binary_searchIS3_S5_SD_SD_SF_NS1_21lower_bound_search_opENS9_16wrapped_functionINS0_4lessIvEEbEEEE10hipError_tPvRmT1_T2_T3_mmT4_T5_P12ihipStream_tbEUlRKxE_EESM_SQ_SR_mSS_SV_bEUlT_E_NS1_11comp_targetILNS1_3genE10ELNS1_11target_archE1200ELNS1_3gpuE4ELNS1_3repE0EEENS1_30default_config_static_selectorELNS0_4arch9wavefront6targetE1EEEvSP_, .Lfunc_end307-_ZN7rocprim17ROCPRIM_400000_NS6detail17trampoline_kernelINS0_14default_configENS1_27lower_bound_config_selectorIxiEEZNS1_14transform_implILb0ES3_S5_N6thrust23THRUST_200600_302600_NS6detail15normal_iteratorINS8_10device_ptrIxEEEENSA_INSB_IiEEEEZNS1_13binary_searchIS3_S5_SD_SD_SF_NS1_21lower_bound_search_opENS9_16wrapped_functionINS0_4lessIvEEbEEEE10hipError_tPvRmT1_T2_T3_mmT4_T5_P12ihipStream_tbEUlRKxE_EESM_SQ_SR_mSS_SV_bEUlT_E_NS1_11comp_targetILNS1_3genE10ELNS1_11target_archE1200ELNS1_3gpuE4ELNS1_3repE0EEENS1_30default_config_static_selectorELNS0_4arch9wavefront6targetE1EEEvSP_
                                        ; -- End function
	.section	.AMDGPU.csdata,"",@progbits
; Kernel info:
; codeLenInByte = 0
; NumSgprs: 4
; NumVgprs: 0
; NumAgprs: 0
; TotalNumVgprs: 0
; ScratchSize: 0
; MemoryBound: 0
; FloatMode: 240
; IeeeMode: 1
; LDSByteSize: 0 bytes/workgroup (compile time only)
; SGPRBlocks: 0
; VGPRBlocks: 0
; NumSGPRsForWavesPerEU: 4
; NumVGPRsForWavesPerEU: 1
; AccumOffset: 4
; Occupancy: 8
; WaveLimiterHint : 0
; COMPUTE_PGM_RSRC2:SCRATCH_EN: 0
; COMPUTE_PGM_RSRC2:USER_SGPR: 6
; COMPUTE_PGM_RSRC2:TRAP_HANDLER: 0
; COMPUTE_PGM_RSRC2:TGID_X_EN: 1
; COMPUTE_PGM_RSRC2:TGID_Y_EN: 0
; COMPUTE_PGM_RSRC2:TGID_Z_EN: 0
; COMPUTE_PGM_RSRC2:TIDIG_COMP_CNT: 0
; COMPUTE_PGM_RSRC3_GFX90A:ACCUM_OFFSET: 0
; COMPUTE_PGM_RSRC3_GFX90A:TG_SPLIT: 0
	.section	.text._ZN7rocprim17ROCPRIM_400000_NS6detail17trampoline_kernelINS0_14default_configENS1_27lower_bound_config_selectorIxiEEZNS1_14transform_implILb0ES3_S5_N6thrust23THRUST_200600_302600_NS6detail15normal_iteratorINS8_10device_ptrIxEEEENSA_INSB_IiEEEEZNS1_13binary_searchIS3_S5_SD_SD_SF_NS1_21lower_bound_search_opENS9_16wrapped_functionINS0_4lessIvEEbEEEE10hipError_tPvRmT1_T2_T3_mmT4_T5_P12ihipStream_tbEUlRKxE_EESM_SQ_SR_mSS_SV_bEUlT_E_NS1_11comp_targetILNS1_3genE9ELNS1_11target_archE1100ELNS1_3gpuE3ELNS1_3repE0EEENS1_30default_config_static_selectorELNS0_4arch9wavefront6targetE1EEEvSP_,"axG",@progbits,_ZN7rocprim17ROCPRIM_400000_NS6detail17trampoline_kernelINS0_14default_configENS1_27lower_bound_config_selectorIxiEEZNS1_14transform_implILb0ES3_S5_N6thrust23THRUST_200600_302600_NS6detail15normal_iteratorINS8_10device_ptrIxEEEENSA_INSB_IiEEEEZNS1_13binary_searchIS3_S5_SD_SD_SF_NS1_21lower_bound_search_opENS9_16wrapped_functionINS0_4lessIvEEbEEEE10hipError_tPvRmT1_T2_T3_mmT4_T5_P12ihipStream_tbEUlRKxE_EESM_SQ_SR_mSS_SV_bEUlT_E_NS1_11comp_targetILNS1_3genE9ELNS1_11target_archE1100ELNS1_3gpuE3ELNS1_3repE0EEENS1_30default_config_static_selectorELNS0_4arch9wavefront6targetE1EEEvSP_,comdat
	.protected	_ZN7rocprim17ROCPRIM_400000_NS6detail17trampoline_kernelINS0_14default_configENS1_27lower_bound_config_selectorIxiEEZNS1_14transform_implILb0ES3_S5_N6thrust23THRUST_200600_302600_NS6detail15normal_iteratorINS8_10device_ptrIxEEEENSA_INSB_IiEEEEZNS1_13binary_searchIS3_S5_SD_SD_SF_NS1_21lower_bound_search_opENS9_16wrapped_functionINS0_4lessIvEEbEEEE10hipError_tPvRmT1_T2_T3_mmT4_T5_P12ihipStream_tbEUlRKxE_EESM_SQ_SR_mSS_SV_bEUlT_E_NS1_11comp_targetILNS1_3genE9ELNS1_11target_archE1100ELNS1_3gpuE3ELNS1_3repE0EEENS1_30default_config_static_selectorELNS0_4arch9wavefront6targetE1EEEvSP_ ; -- Begin function _ZN7rocprim17ROCPRIM_400000_NS6detail17trampoline_kernelINS0_14default_configENS1_27lower_bound_config_selectorIxiEEZNS1_14transform_implILb0ES3_S5_N6thrust23THRUST_200600_302600_NS6detail15normal_iteratorINS8_10device_ptrIxEEEENSA_INSB_IiEEEEZNS1_13binary_searchIS3_S5_SD_SD_SF_NS1_21lower_bound_search_opENS9_16wrapped_functionINS0_4lessIvEEbEEEE10hipError_tPvRmT1_T2_T3_mmT4_T5_P12ihipStream_tbEUlRKxE_EESM_SQ_SR_mSS_SV_bEUlT_E_NS1_11comp_targetILNS1_3genE9ELNS1_11target_archE1100ELNS1_3gpuE3ELNS1_3repE0EEENS1_30default_config_static_selectorELNS0_4arch9wavefront6targetE1EEEvSP_
	.globl	_ZN7rocprim17ROCPRIM_400000_NS6detail17trampoline_kernelINS0_14default_configENS1_27lower_bound_config_selectorIxiEEZNS1_14transform_implILb0ES3_S5_N6thrust23THRUST_200600_302600_NS6detail15normal_iteratorINS8_10device_ptrIxEEEENSA_INSB_IiEEEEZNS1_13binary_searchIS3_S5_SD_SD_SF_NS1_21lower_bound_search_opENS9_16wrapped_functionINS0_4lessIvEEbEEEE10hipError_tPvRmT1_T2_T3_mmT4_T5_P12ihipStream_tbEUlRKxE_EESM_SQ_SR_mSS_SV_bEUlT_E_NS1_11comp_targetILNS1_3genE9ELNS1_11target_archE1100ELNS1_3gpuE3ELNS1_3repE0EEENS1_30default_config_static_selectorELNS0_4arch9wavefront6targetE1EEEvSP_
	.p2align	8
	.type	_ZN7rocprim17ROCPRIM_400000_NS6detail17trampoline_kernelINS0_14default_configENS1_27lower_bound_config_selectorIxiEEZNS1_14transform_implILb0ES3_S5_N6thrust23THRUST_200600_302600_NS6detail15normal_iteratorINS8_10device_ptrIxEEEENSA_INSB_IiEEEEZNS1_13binary_searchIS3_S5_SD_SD_SF_NS1_21lower_bound_search_opENS9_16wrapped_functionINS0_4lessIvEEbEEEE10hipError_tPvRmT1_T2_T3_mmT4_T5_P12ihipStream_tbEUlRKxE_EESM_SQ_SR_mSS_SV_bEUlT_E_NS1_11comp_targetILNS1_3genE9ELNS1_11target_archE1100ELNS1_3gpuE3ELNS1_3repE0EEENS1_30default_config_static_selectorELNS0_4arch9wavefront6targetE1EEEvSP_,@function
_ZN7rocprim17ROCPRIM_400000_NS6detail17trampoline_kernelINS0_14default_configENS1_27lower_bound_config_selectorIxiEEZNS1_14transform_implILb0ES3_S5_N6thrust23THRUST_200600_302600_NS6detail15normal_iteratorINS8_10device_ptrIxEEEENSA_INSB_IiEEEEZNS1_13binary_searchIS3_S5_SD_SD_SF_NS1_21lower_bound_search_opENS9_16wrapped_functionINS0_4lessIvEEbEEEE10hipError_tPvRmT1_T2_T3_mmT4_T5_P12ihipStream_tbEUlRKxE_EESM_SQ_SR_mSS_SV_bEUlT_E_NS1_11comp_targetILNS1_3genE9ELNS1_11target_archE1100ELNS1_3gpuE3ELNS1_3repE0EEENS1_30default_config_static_selectorELNS0_4arch9wavefront6targetE1EEEvSP_: ; @_ZN7rocprim17ROCPRIM_400000_NS6detail17trampoline_kernelINS0_14default_configENS1_27lower_bound_config_selectorIxiEEZNS1_14transform_implILb0ES3_S5_N6thrust23THRUST_200600_302600_NS6detail15normal_iteratorINS8_10device_ptrIxEEEENSA_INSB_IiEEEEZNS1_13binary_searchIS3_S5_SD_SD_SF_NS1_21lower_bound_search_opENS9_16wrapped_functionINS0_4lessIvEEbEEEE10hipError_tPvRmT1_T2_T3_mmT4_T5_P12ihipStream_tbEUlRKxE_EESM_SQ_SR_mSS_SV_bEUlT_E_NS1_11comp_targetILNS1_3genE9ELNS1_11target_archE1100ELNS1_3gpuE3ELNS1_3repE0EEENS1_30default_config_static_selectorELNS0_4arch9wavefront6targetE1EEEvSP_
; %bb.0:
	.section	.rodata,"a",@progbits
	.p2align	6, 0x0
	.amdhsa_kernel _ZN7rocprim17ROCPRIM_400000_NS6detail17trampoline_kernelINS0_14default_configENS1_27lower_bound_config_selectorIxiEEZNS1_14transform_implILb0ES3_S5_N6thrust23THRUST_200600_302600_NS6detail15normal_iteratorINS8_10device_ptrIxEEEENSA_INSB_IiEEEEZNS1_13binary_searchIS3_S5_SD_SD_SF_NS1_21lower_bound_search_opENS9_16wrapped_functionINS0_4lessIvEEbEEEE10hipError_tPvRmT1_T2_T3_mmT4_T5_P12ihipStream_tbEUlRKxE_EESM_SQ_SR_mSS_SV_bEUlT_E_NS1_11comp_targetILNS1_3genE9ELNS1_11target_archE1100ELNS1_3gpuE3ELNS1_3repE0EEENS1_30default_config_static_selectorELNS0_4arch9wavefront6targetE1EEEvSP_
		.amdhsa_group_segment_fixed_size 0
		.amdhsa_private_segment_fixed_size 0
		.amdhsa_kernarg_size 56
		.amdhsa_user_sgpr_count 6
		.amdhsa_user_sgpr_private_segment_buffer 1
		.amdhsa_user_sgpr_dispatch_ptr 0
		.amdhsa_user_sgpr_queue_ptr 0
		.amdhsa_user_sgpr_kernarg_segment_ptr 1
		.amdhsa_user_sgpr_dispatch_id 0
		.amdhsa_user_sgpr_flat_scratch_init 0
		.amdhsa_user_sgpr_kernarg_preload_length 0
		.amdhsa_user_sgpr_kernarg_preload_offset 0
		.amdhsa_user_sgpr_private_segment_size 0
		.amdhsa_uses_dynamic_stack 0
		.amdhsa_system_sgpr_private_segment_wavefront_offset 0
		.amdhsa_system_sgpr_workgroup_id_x 1
		.amdhsa_system_sgpr_workgroup_id_y 0
		.amdhsa_system_sgpr_workgroup_id_z 0
		.amdhsa_system_sgpr_workgroup_info 0
		.amdhsa_system_vgpr_workitem_id 0
		.amdhsa_next_free_vgpr 1
		.amdhsa_next_free_sgpr 0
		.amdhsa_accum_offset 4
		.amdhsa_reserve_vcc 0
		.amdhsa_reserve_flat_scratch 0
		.amdhsa_float_round_mode_32 0
		.amdhsa_float_round_mode_16_64 0
		.amdhsa_float_denorm_mode_32 3
		.amdhsa_float_denorm_mode_16_64 3
		.amdhsa_dx10_clamp 1
		.amdhsa_ieee_mode 1
		.amdhsa_fp16_overflow 0
		.amdhsa_tg_split 0
		.amdhsa_exception_fp_ieee_invalid_op 0
		.amdhsa_exception_fp_denorm_src 0
		.amdhsa_exception_fp_ieee_div_zero 0
		.amdhsa_exception_fp_ieee_overflow 0
		.amdhsa_exception_fp_ieee_underflow 0
		.amdhsa_exception_fp_ieee_inexact 0
		.amdhsa_exception_int_div_zero 0
	.end_amdhsa_kernel
	.section	.text._ZN7rocprim17ROCPRIM_400000_NS6detail17trampoline_kernelINS0_14default_configENS1_27lower_bound_config_selectorIxiEEZNS1_14transform_implILb0ES3_S5_N6thrust23THRUST_200600_302600_NS6detail15normal_iteratorINS8_10device_ptrIxEEEENSA_INSB_IiEEEEZNS1_13binary_searchIS3_S5_SD_SD_SF_NS1_21lower_bound_search_opENS9_16wrapped_functionINS0_4lessIvEEbEEEE10hipError_tPvRmT1_T2_T3_mmT4_T5_P12ihipStream_tbEUlRKxE_EESM_SQ_SR_mSS_SV_bEUlT_E_NS1_11comp_targetILNS1_3genE9ELNS1_11target_archE1100ELNS1_3gpuE3ELNS1_3repE0EEENS1_30default_config_static_selectorELNS0_4arch9wavefront6targetE1EEEvSP_,"axG",@progbits,_ZN7rocprim17ROCPRIM_400000_NS6detail17trampoline_kernelINS0_14default_configENS1_27lower_bound_config_selectorIxiEEZNS1_14transform_implILb0ES3_S5_N6thrust23THRUST_200600_302600_NS6detail15normal_iteratorINS8_10device_ptrIxEEEENSA_INSB_IiEEEEZNS1_13binary_searchIS3_S5_SD_SD_SF_NS1_21lower_bound_search_opENS9_16wrapped_functionINS0_4lessIvEEbEEEE10hipError_tPvRmT1_T2_T3_mmT4_T5_P12ihipStream_tbEUlRKxE_EESM_SQ_SR_mSS_SV_bEUlT_E_NS1_11comp_targetILNS1_3genE9ELNS1_11target_archE1100ELNS1_3gpuE3ELNS1_3repE0EEENS1_30default_config_static_selectorELNS0_4arch9wavefront6targetE1EEEvSP_,comdat
.Lfunc_end308:
	.size	_ZN7rocprim17ROCPRIM_400000_NS6detail17trampoline_kernelINS0_14default_configENS1_27lower_bound_config_selectorIxiEEZNS1_14transform_implILb0ES3_S5_N6thrust23THRUST_200600_302600_NS6detail15normal_iteratorINS8_10device_ptrIxEEEENSA_INSB_IiEEEEZNS1_13binary_searchIS3_S5_SD_SD_SF_NS1_21lower_bound_search_opENS9_16wrapped_functionINS0_4lessIvEEbEEEE10hipError_tPvRmT1_T2_T3_mmT4_T5_P12ihipStream_tbEUlRKxE_EESM_SQ_SR_mSS_SV_bEUlT_E_NS1_11comp_targetILNS1_3genE9ELNS1_11target_archE1100ELNS1_3gpuE3ELNS1_3repE0EEENS1_30default_config_static_selectorELNS0_4arch9wavefront6targetE1EEEvSP_, .Lfunc_end308-_ZN7rocprim17ROCPRIM_400000_NS6detail17trampoline_kernelINS0_14default_configENS1_27lower_bound_config_selectorIxiEEZNS1_14transform_implILb0ES3_S5_N6thrust23THRUST_200600_302600_NS6detail15normal_iteratorINS8_10device_ptrIxEEEENSA_INSB_IiEEEEZNS1_13binary_searchIS3_S5_SD_SD_SF_NS1_21lower_bound_search_opENS9_16wrapped_functionINS0_4lessIvEEbEEEE10hipError_tPvRmT1_T2_T3_mmT4_T5_P12ihipStream_tbEUlRKxE_EESM_SQ_SR_mSS_SV_bEUlT_E_NS1_11comp_targetILNS1_3genE9ELNS1_11target_archE1100ELNS1_3gpuE3ELNS1_3repE0EEENS1_30default_config_static_selectorELNS0_4arch9wavefront6targetE1EEEvSP_
                                        ; -- End function
	.section	.AMDGPU.csdata,"",@progbits
; Kernel info:
; codeLenInByte = 0
; NumSgprs: 4
; NumVgprs: 0
; NumAgprs: 0
; TotalNumVgprs: 0
; ScratchSize: 0
; MemoryBound: 0
; FloatMode: 240
; IeeeMode: 1
; LDSByteSize: 0 bytes/workgroup (compile time only)
; SGPRBlocks: 0
; VGPRBlocks: 0
; NumSGPRsForWavesPerEU: 4
; NumVGPRsForWavesPerEU: 1
; AccumOffset: 4
; Occupancy: 8
; WaveLimiterHint : 0
; COMPUTE_PGM_RSRC2:SCRATCH_EN: 0
; COMPUTE_PGM_RSRC2:USER_SGPR: 6
; COMPUTE_PGM_RSRC2:TRAP_HANDLER: 0
; COMPUTE_PGM_RSRC2:TGID_X_EN: 1
; COMPUTE_PGM_RSRC2:TGID_Y_EN: 0
; COMPUTE_PGM_RSRC2:TGID_Z_EN: 0
; COMPUTE_PGM_RSRC2:TIDIG_COMP_CNT: 0
; COMPUTE_PGM_RSRC3_GFX90A:ACCUM_OFFSET: 0
; COMPUTE_PGM_RSRC3_GFX90A:TG_SPLIT: 0
	.section	.text._ZN7rocprim17ROCPRIM_400000_NS6detail17trampoline_kernelINS0_14default_configENS1_27lower_bound_config_selectorIxiEEZNS1_14transform_implILb0ES3_S5_N6thrust23THRUST_200600_302600_NS6detail15normal_iteratorINS8_10device_ptrIxEEEENSA_INSB_IiEEEEZNS1_13binary_searchIS3_S5_SD_SD_SF_NS1_21lower_bound_search_opENS9_16wrapped_functionINS0_4lessIvEEbEEEE10hipError_tPvRmT1_T2_T3_mmT4_T5_P12ihipStream_tbEUlRKxE_EESM_SQ_SR_mSS_SV_bEUlT_E_NS1_11comp_targetILNS1_3genE8ELNS1_11target_archE1030ELNS1_3gpuE2ELNS1_3repE0EEENS1_30default_config_static_selectorELNS0_4arch9wavefront6targetE1EEEvSP_,"axG",@progbits,_ZN7rocprim17ROCPRIM_400000_NS6detail17trampoline_kernelINS0_14default_configENS1_27lower_bound_config_selectorIxiEEZNS1_14transform_implILb0ES3_S5_N6thrust23THRUST_200600_302600_NS6detail15normal_iteratorINS8_10device_ptrIxEEEENSA_INSB_IiEEEEZNS1_13binary_searchIS3_S5_SD_SD_SF_NS1_21lower_bound_search_opENS9_16wrapped_functionINS0_4lessIvEEbEEEE10hipError_tPvRmT1_T2_T3_mmT4_T5_P12ihipStream_tbEUlRKxE_EESM_SQ_SR_mSS_SV_bEUlT_E_NS1_11comp_targetILNS1_3genE8ELNS1_11target_archE1030ELNS1_3gpuE2ELNS1_3repE0EEENS1_30default_config_static_selectorELNS0_4arch9wavefront6targetE1EEEvSP_,comdat
	.protected	_ZN7rocprim17ROCPRIM_400000_NS6detail17trampoline_kernelINS0_14default_configENS1_27lower_bound_config_selectorIxiEEZNS1_14transform_implILb0ES3_S5_N6thrust23THRUST_200600_302600_NS6detail15normal_iteratorINS8_10device_ptrIxEEEENSA_INSB_IiEEEEZNS1_13binary_searchIS3_S5_SD_SD_SF_NS1_21lower_bound_search_opENS9_16wrapped_functionINS0_4lessIvEEbEEEE10hipError_tPvRmT1_T2_T3_mmT4_T5_P12ihipStream_tbEUlRKxE_EESM_SQ_SR_mSS_SV_bEUlT_E_NS1_11comp_targetILNS1_3genE8ELNS1_11target_archE1030ELNS1_3gpuE2ELNS1_3repE0EEENS1_30default_config_static_selectorELNS0_4arch9wavefront6targetE1EEEvSP_ ; -- Begin function _ZN7rocprim17ROCPRIM_400000_NS6detail17trampoline_kernelINS0_14default_configENS1_27lower_bound_config_selectorIxiEEZNS1_14transform_implILb0ES3_S5_N6thrust23THRUST_200600_302600_NS6detail15normal_iteratorINS8_10device_ptrIxEEEENSA_INSB_IiEEEEZNS1_13binary_searchIS3_S5_SD_SD_SF_NS1_21lower_bound_search_opENS9_16wrapped_functionINS0_4lessIvEEbEEEE10hipError_tPvRmT1_T2_T3_mmT4_T5_P12ihipStream_tbEUlRKxE_EESM_SQ_SR_mSS_SV_bEUlT_E_NS1_11comp_targetILNS1_3genE8ELNS1_11target_archE1030ELNS1_3gpuE2ELNS1_3repE0EEENS1_30default_config_static_selectorELNS0_4arch9wavefront6targetE1EEEvSP_
	.globl	_ZN7rocprim17ROCPRIM_400000_NS6detail17trampoline_kernelINS0_14default_configENS1_27lower_bound_config_selectorIxiEEZNS1_14transform_implILb0ES3_S5_N6thrust23THRUST_200600_302600_NS6detail15normal_iteratorINS8_10device_ptrIxEEEENSA_INSB_IiEEEEZNS1_13binary_searchIS3_S5_SD_SD_SF_NS1_21lower_bound_search_opENS9_16wrapped_functionINS0_4lessIvEEbEEEE10hipError_tPvRmT1_T2_T3_mmT4_T5_P12ihipStream_tbEUlRKxE_EESM_SQ_SR_mSS_SV_bEUlT_E_NS1_11comp_targetILNS1_3genE8ELNS1_11target_archE1030ELNS1_3gpuE2ELNS1_3repE0EEENS1_30default_config_static_selectorELNS0_4arch9wavefront6targetE1EEEvSP_
	.p2align	8
	.type	_ZN7rocprim17ROCPRIM_400000_NS6detail17trampoline_kernelINS0_14default_configENS1_27lower_bound_config_selectorIxiEEZNS1_14transform_implILb0ES3_S5_N6thrust23THRUST_200600_302600_NS6detail15normal_iteratorINS8_10device_ptrIxEEEENSA_INSB_IiEEEEZNS1_13binary_searchIS3_S5_SD_SD_SF_NS1_21lower_bound_search_opENS9_16wrapped_functionINS0_4lessIvEEbEEEE10hipError_tPvRmT1_T2_T3_mmT4_T5_P12ihipStream_tbEUlRKxE_EESM_SQ_SR_mSS_SV_bEUlT_E_NS1_11comp_targetILNS1_3genE8ELNS1_11target_archE1030ELNS1_3gpuE2ELNS1_3repE0EEENS1_30default_config_static_selectorELNS0_4arch9wavefront6targetE1EEEvSP_,@function
_ZN7rocprim17ROCPRIM_400000_NS6detail17trampoline_kernelINS0_14default_configENS1_27lower_bound_config_selectorIxiEEZNS1_14transform_implILb0ES3_S5_N6thrust23THRUST_200600_302600_NS6detail15normal_iteratorINS8_10device_ptrIxEEEENSA_INSB_IiEEEEZNS1_13binary_searchIS3_S5_SD_SD_SF_NS1_21lower_bound_search_opENS9_16wrapped_functionINS0_4lessIvEEbEEEE10hipError_tPvRmT1_T2_T3_mmT4_T5_P12ihipStream_tbEUlRKxE_EESM_SQ_SR_mSS_SV_bEUlT_E_NS1_11comp_targetILNS1_3genE8ELNS1_11target_archE1030ELNS1_3gpuE2ELNS1_3repE0EEENS1_30default_config_static_selectorELNS0_4arch9wavefront6targetE1EEEvSP_: ; @_ZN7rocprim17ROCPRIM_400000_NS6detail17trampoline_kernelINS0_14default_configENS1_27lower_bound_config_selectorIxiEEZNS1_14transform_implILb0ES3_S5_N6thrust23THRUST_200600_302600_NS6detail15normal_iteratorINS8_10device_ptrIxEEEENSA_INSB_IiEEEEZNS1_13binary_searchIS3_S5_SD_SD_SF_NS1_21lower_bound_search_opENS9_16wrapped_functionINS0_4lessIvEEbEEEE10hipError_tPvRmT1_T2_T3_mmT4_T5_P12ihipStream_tbEUlRKxE_EESM_SQ_SR_mSS_SV_bEUlT_E_NS1_11comp_targetILNS1_3genE8ELNS1_11target_archE1030ELNS1_3gpuE2ELNS1_3repE0EEENS1_30default_config_static_selectorELNS0_4arch9wavefront6targetE1EEEvSP_
; %bb.0:
	.section	.rodata,"a",@progbits
	.p2align	6, 0x0
	.amdhsa_kernel _ZN7rocprim17ROCPRIM_400000_NS6detail17trampoline_kernelINS0_14default_configENS1_27lower_bound_config_selectorIxiEEZNS1_14transform_implILb0ES3_S5_N6thrust23THRUST_200600_302600_NS6detail15normal_iteratorINS8_10device_ptrIxEEEENSA_INSB_IiEEEEZNS1_13binary_searchIS3_S5_SD_SD_SF_NS1_21lower_bound_search_opENS9_16wrapped_functionINS0_4lessIvEEbEEEE10hipError_tPvRmT1_T2_T3_mmT4_T5_P12ihipStream_tbEUlRKxE_EESM_SQ_SR_mSS_SV_bEUlT_E_NS1_11comp_targetILNS1_3genE8ELNS1_11target_archE1030ELNS1_3gpuE2ELNS1_3repE0EEENS1_30default_config_static_selectorELNS0_4arch9wavefront6targetE1EEEvSP_
		.amdhsa_group_segment_fixed_size 0
		.amdhsa_private_segment_fixed_size 0
		.amdhsa_kernarg_size 56
		.amdhsa_user_sgpr_count 6
		.amdhsa_user_sgpr_private_segment_buffer 1
		.amdhsa_user_sgpr_dispatch_ptr 0
		.amdhsa_user_sgpr_queue_ptr 0
		.amdhsa_user_sgpr_kernarg_segment_ptr 1
		.amdhsa_user_sgpr_dispatch_id 0
		.amdhsa_user_sgpr_flat_scratch_init 0
		.amdhsa_user_sgpr_kernarg_preload_length 0
		.amdhsa_user_sgpr_kernarg_preload_offset 0
		.amdhsa_user_sgpr_private_segment_size 0
		.amdhsa_uses_dynamic_stack 0
		.amdhsa_system_sgpr_private_segment_wavefront_offset 0
		.amdhsa_system_sgpr_workgroup_id_x 1
		.amdhsa_system_sgpr_workgroup_id_y 0
		.amdhsa_system_sgpr_workgroup_id_z 0
		.amdhsa_system_sgpr_workgroup_info 0
		.amdhsa_system_vgpr_workitem_id 0
		.amdhsa_next_free_vgpr 1
		.amdhsa_next_free_sgpr 0
		.amdhsa_accum_offset 4
		.amdhsa_reserve_vcc 0
		.amdhsa_reserve_flat_scratch 0
		.amdhsa_float_round_mode_32 0
		.amdhsa_float_round_mode_16_64 0
		.amdhsa_float_denorm_mode_32 3
		.amdhsa_float_denorm_mode_16_64 3
		.amdhsa_dx10_clamp 1
		.amdhsa_ieee_mode 1
		.amdhsa_fp16_overflow 0
		.amdhsa_tg_split 0
		.amdhsa_exception_fp_ieee_invalid_op 0
		.amdhsa_exception_fp_denorm_src 0
		.amdhsa_exception_fp_ieee_div_zero 0
		.amdhsa_exception_fp_ieee_overflow 0
		.amdhsa_exception_fp_ieee_underflow 0
		.amdhsa_exception_fp_ieee_inexact 0
		.amdhsa_exception_int_div_zero 0
	.end_amdhsa_kernel
	.section	.text._ZN7rocprim17ROCPRIM_400000_NS6detail17trampoline_kernelINS0_14default_configENS1_27lower_bound_config_selectorIxiEEZNS1_14transform_implILb0ES3_S5_N6thrust23THRUST_200600_302600_NS6detail15normal_iteratorINS8_10device_ptrIxEEEENSA_INSB_IiEEEEZNS1_13binary_searchIS3_S5_SD_SD_SF_NS1_21lower_bound_search_opENS9_16wrapped_functionINS0_4lessIvEEbEEEE10hipError_tPvRmT1_T2_T3_mmT4_T5_P12ihipStream_tbEUlRKxE_EESM_SQ_SR_mSS_SV_bEUlT_E_NS1_11comp_targetILNS1_3genE8ELNS1_11target_archE1030ELNS1_3gpuE2ELNS1_3repE0EEENS1_30default_config_static_selectorELNS0_4arch9wavefront6targetE1EEEvSP_,"axG",@progbits,_ZN7rocprim17ROCPRIM_400000_NS6detail17trampoline_kernelINS0_14default_configENS1_27lower_bound_config_selectorIxiEEZNS1_14transform_implILb0ES3_S5_N6thrust23THRUST_200600_302600_NS6detail15normal_iteratorINS8_10device_ptrIxEEEENSA_INSB_IiEEEEZNS1_13binary_searchIS3_S5_SD_SD_SF_NS1_21lower_bound_search_opENS9_16wrapped_functionINS0_4lessIvEEbEEEE10hipError_tPvRmT1_T2_T3_mmT4_T5_P12ihipStream_tbEUlRKxE_EESM_SQ_SR_mSS_SV_bEUlT_E_NS1_11comp_targetILNS1_3genE8ELNS1_11target_archE1030ELNS1_3gpuE2ELNS1_3repE0EEENS1_30default_config_static_selectorELNS0_4arch9wavefront6targetE1EEEvSP_,comdat
.Lfunc_end309:
	.size	_ZN7rocprim17ROCPRIM_400000_NS6detail17trampoline_kernelINS0_14default_configENS1_27lower_bound_config_selectorIxiEEZNS1_14transform_implILb0ES3_S5_N6thrust23THRUST_200600_302600_NS6detail15normal_iteratorINS8_10device_ptrIxEEEENSA_INSB_IiEEEEZNS1_13binary_searchIS3_S5_SD_SD_SF_NS1_21lower_bound_search_opENS9_16wrapped_functionINS0_4lessIvEEbEEEE10hipError_tPvRmT1_T2_T3_mmT4_T5_P12ihipStream_tbEUlRKxE_EESM_SQ_SR_mSS_SV_bEUlT_E_NS1_11comp_targetILNS1_3genE8ELNS1_11target_archE1030ELNS1_3gpuE2ELNS1_3repE0EEENS1_30default_config_static_selectorELNS0_4arch9wavefront6targetE1EEEvSP_, .Lfunc_end309-_ZN7rocprim17ROCPRIM_400000_NS6detail17trampoline_kernelINS0_14default_configENS1_27lower_bound_config_selectorIxiEEZNS1_14transform_implILb0ES3_S5_N6thrust23THRUST_200600_302600_NS6detail15normal_iteratorINS8_10device_ptrIxEEEENSA_INSB_IiEEEEZNS1_13binary_searchIS3_S5_SD_SD_SF_NS1_21lower_bound_search_opENS9_16wrapped_functionINS0_4lessIvEEbEEEE10hipError_tPvRmT1_T2_T3_mmT4_T5_P12ihipStream_tbEUlRKxE_EESM_SQ_SR_mSS_SV_bEUlT_E_NS1_11comp_targetILNS1_3genE8ELNS1_11target_archE1030ELNS1_3gpuE2ELNS1_3repE0EEENS1_30default_config_static_selectorELNS0_4arch9wavefront6targetE1EEEvSP_
                                        ; -- End function
	.section	.AMDGPU.csdata,"",@progbits
; Kernel info:
; codeLenInByte = 0
; NumSgprs: 4
; NumVgprs: 0
; NumAgprs: 0
; TotalNumVgprs: 0
; ScratchSize: 0
; MemoryBound: 0
; FloatMode: 240
; IeeeMode: 1
; LDSByteSize: 0 bytes/workgroup (compile time only)
; SGPRBlocks: 0
; VGPRBlocks: 0
; NumSGPRsForWavesPerEU: 4
; NumVGPRsForWavesPerEU: 1
; AccumOffset: 4
; Occupancy: 8
; WaveLimiterHint : 0
; COMPUTE_PGM_RSRC2:SCRATCH_EN: 0
; COMPUTE_PGM_RSRC2:USER_SGPR: 6
; COMPUTE_PGM_RSRC2:TRAP_HANDLER: 0
; COMPUTE_PGM_RSRC2:TGID_X_EN: 1
; COMPUTE_PGM_RSRC2:TGID_Y_EN: 0
; COMPUTE_PGM_RSRC2:TGID_Z_EN: 0
; COMPUTE_PGM_RSRC2:TIDIG_COMP_CNT: 0
; COMPUTE_PGM_RSRC3_GFX90A:ACCUM_OFFSET: 0
; COMPUTE_PGM_RSRC3_GFX90A:TG_SPLIT: 0
	.section	.text._ZN6thrust23THRUST_200600_302600_NS11hip_rocprim14__parallel_for6kernelILj256ENS1_10__tabulate7functorINS0_6detail15normal_iteratorINS0_10device_ptrIiEEEENS0_6system6detail7generic6detail22compute_sequence_valueIivEElEElLj1EEEvT0_T1_SJ_,"axG",@progbits,_ZN6thrust23THRUST_200600_302600_NS11hip_rocprim14__parallel_for6kernelILj256ENS1_10__tabulate7functorINS0_6detail15normal_iteratorINS0_10device_ptrIiEEEENS0_6system6detail7generic6detail22compute_sequence_valueIivEElEElLj1EEEvT0_T1_SJ_,comdat
	.protected	_ZN6thrust23THRUST_200600_302600_NS11hip_rocprim14__parallel_for6kernelILj256ENS1_10__tabulate7functorINS0_6detail15normal_iteratorINS0_10device_ptrIiEEEENS0_6system6detail7generic6detail22compute_sequence_valueIivEElEElLj1EEEvT0_T1_SJ_ ; -- Begin function _ZN6thrust23THRUST_200600_302600_NS11hip_rocprim14__parallel_for6kernelILj256ENS1_10__tabulate7functorINS0_6detail15normal_iteratorINS0_10device_ptrIiEEEENS0_6system6detail7generic6detail22compute_sequence_valueIivEElEElLj1EEEvT0_T1_SJ_
	.globl	_ZN6thrust23THRUST_200600_302600_NS11hip_rocprim14__parallel_for6kernelILj256ENS1_10__tabulate7functorINS0_6detail15normal_iteratorINS0_10device_ptrIiEEEENS0_6system6detail7generic6detail22compute_sequence_valueIivEElEElLj1EEEvT0_T1_SJ_
	.p2align	8
	.type	_ZN6thrust23THRUST_200600_302600_NS11hip_rocprim14__parallel_for6kernelILj256ENS1_10__tabulate7functorINS0_6detail15normal_iteratorINS0_10device_ptrIiEEEENS0_6system6detail7generic6detail22compute_sequence_valueIivEElEElLj1EEEvT0_T1_SJ_,@function
_ZN6thrust23THRUST_200600_302600_NS11hip_rocprim14__parallel_for6kernelILj256ENS1_10__tabulate7functorINS0_6detail15normal_iteratorINS0_10device_ptrIiEEEENS0_6system6detail7generic6detail22compute_sequence_valueIivEElEElLj1EEEvT0_T1_SJ_: ; @_ZN6thrust23THRUST_200600_302600_NS11hip_rocprim14__parallel_for6kernelILj256ENS1_10__tabulate7functorINS0_6detail15normal_iteratorINS0_10device_ptrIiEEEENS0_6system6detail7generic6detail22compute_sequence_valueIivEElEElLj1EEEvT0_T1_SJ_
; %bb.0:
	s_load_dwordx4 s[8:11], s[4:5], 0x10
	s_lshl_b32 s0, s6, 8
	v_mov_b32_e32 v2, 0x100
	v_mov_b32_e32 v3, 0
	s_waitcnt lgkmcnt(0)
	s_add_u32 s0, s0, s10
	s_addc_u32 s1, 0, s11
	s_sub_u32 s2, s8, s0
	s_subb_u32 s3, s9, s1
	v_cmp_lt_i64_e32 vcc, s[2:3], v[2:3]
	s_and_b64 s[6:7], vcc, exec
	s_cselect_b32 s6, s2, 0x100
	s_cmpk_eq_i32 s6, 0x100
	s_cselect_b64 s[2:3], -1, 0
	v_cmp_gt_u32_e32 vcc, s6, v0
	s_or_b64 s[2:3], s[2:3], vcc
	s_and_saveexec_b64 s[6:7], s[2:3]
	s_cbranch_execz .LBB310_2
; %bb.1:
	s_load_dwordx4 s[4:7], s[4:5], 0x0
	v_mov_b32_e32 v1, s1
	v_add_co_u32_e32 v0, vcc, s0, v0
	v_addc_co_u32_e32 v1, vcc, 0, v1, vcc
	s_waitcnt lgkmcnt(0)
	v_mul_lo_u32 v2, s7, v0
	v_lshlrev_b64 v[0:1], 2, v[0:1]
	v_mov_b32_e32 v3, s5
	v_add_co_u32_e32 v0, vcc, s4, v0
	v_add_u32_e32 v2, s6, v2
	v_addc_co_u32_e32 v1, vcc, v3, v1, vcc
	flat_store_dword v[0:1], v2
.LBB310_2:
	s_endpgm
	.section	.rodata,"a",@progbits
	.p2align	6, 0x0
	.amdhsa_kernel _ZN6thrust23THRUST_200600_302600_NS11hip_rocprim14__parallel_for6kernelILj256ENS1_10__tabulate7functorINS0_6detail15normal_iteratorINS0_10device_ptrIiEEEENS0_6system6detail7generic6detail22compute_sequence_valueIivEElEElLj1EEEvT0_T1_SJ_
		.amdhsa_group_segment_fixed_size 0
		.amdhsa_private_segment_fixed_size 0
		.amdhsa_kernarg_size 32
		.amdhsa_user_sgpr_count 6
		.amdhsa_user_sgpr_private_segment_buffer 1
		.amdhsa_user_sgpr_dispatch_ptr 0
		.amdhsa_user_sgpr_queue_ptr 0
		.amdhsa_user_sgpr_kernarg_segment_ptr 1
		.amdhsa_user_sgpr_dispatch_id 0
		.amdhsa_user_sgpr_flat_scratch_init 0
		.amdhsa_user_sgpr_kernarg_preload_length 0
		.amdhsa_user_sgpr_kernarg_preload_offset 0
		.amdhsa_user_sgpr_private_segment_size 0
		.amdhsa_uses_dynamic_stack 0
		.amdhsa_system_sgpr_private_segment_wavefront_offset 0
		.amdhsa_system_sgpr_workgroup_id_x 1
		.amdhsa_system_sgpr_workgroup_id_y 0
		.amdhsa_system_sgpr_workgroup_id_z 0
		.amdhsa_system_sgpr_workgroup_info 0
		.amdhsa_system_vgpr_workitem_id 0
		.amdhsa_next_free_vgpr 4
		.amdhsa_next_free_sgpr 12
		.amdhsa_accum_offset 4
		.amdhsa_reserve_vcc 1
		.amdhsa_reserve_flat_scratch 0
		.amdhsa_float_round_mode_32 0
		.amdhsa_float_round_mode_16_64 0
		.amdhsa_float_denorm_mode_32 3
		.amdhsa_float_denorm_mode_16_64 3
		.amdhsa_dx10_clamp 1
		.amdhsa_ieee_mode 1
		.amdhsa_fp16_overflow 0
		.amdhsa_tg_split 0
		.amdhsa_exception_fp_ieee_invalid_op 0
		.amdhsa_exception_fp_denorm_src 0
		.amdhsa_exception_fp_ieee_div_zero 0
		.amdhsa_exception_fp_ieee_overflow 0
		.amdhsa_exception_fp_ieee_underflow 0
		.amdhsa_exception_fp_ieee_inexact 0
		.amdhsa_exception_int_div_zero 0
	.end_amdhsa_kernel
	.section	.text._ZN6thrust23THRUST_200600_302600_NS11hip_rocprim14__parallel_for6kernelILj256ENS1_10__tabulate7functorINS0_6detail15normal_iteratorINS0_10device_ptrIiEEEENS0_6system6detail7generic6detail22compute_sequence_valueIivEElEElLj1EEEvT0_T1_SJ_,"axG",@progbits,_ZN6thrust23THRUST_200600_302600_NS11hip_rocprim14__parallel_for6kernelILj256ENS1_10__tabulate7functorINS0_6detail15normal_iteratorINS0_10device_ptrIiEEEENS0_6system6detail7generic6detail22compute_sequence_valueIivEElEElLj1EEEvT0_T1_SJ_,comdat
.Lfunc_end310:
	.size	_ZN6thrust23THRUST_200600_302600_NS11hip_rocprim14__parallel_for6kernelILj256ENS1_10__tabulate7functorINS0_6detail15normal_iteratorINS0_10device_ptrIiEEEENS0_6system6detail7generic6detail22compute_sequence_valueIivEElEElLj1EEEvT0_T1_SJ_, .Lfunc_end310-_ZN6thrust23THRUST_200600_302600_NS11hip_rocprim14__parallel_for6kernelILj256ENS1_10__tabulate7functorINS0_6detail15normal_iteratorINS0_10device_ptrIiEEEENS0_6system6detail7generic6detail22compute_sequence_valueIivEElEElLj1EEEvT0_T1_SJ_
                                        ; -- End function
	.section	.AMDGPU.csdata,"",@progbits
; Kernel info:
; codeLenInByte = 152
; NumSgprs: 16
; NumVgprs: 4
; NumAgprs: 0
; TotalNumVgprs: 4
; ScratchSize: 0
; MemoryBound: 0
; FloatMode: 240
; IeeeMode: 1
; LDSByteSize: 0 bytes/workgroup (compile time only)
; SGPRBlocks: 1
; VGPRBlocks: 0
; NumSGPRsForWavesPerEU: 16
; NumVGPRsForWavesPerEU: 4
; AccumOffset: 4
; Occupancy: 8
; WaveLimiterHint : 0
; COMPUTE_PGM_RSRC2:SCRATCH_EN: 0
; COMPUTE_PGM_RSRC2:USER_SGPR: 6
; COMPUTE_PGM_RSRC2:TRAP_HANDLER: 0
; COMPUTE_PGM_RSRC2:TGID_X_EN: 1
; COMPUTE_PGM_RSRC2:TGID_Y_EN: 0
; COMPUTE_PGM_RSRC2:TGID_Z_EN: 0
; COMPUTE_PGM_RSRC2:TIDIG_COMP_CNT: 0
; COMPUTE_PGM_RSRC3_GFX90A:ACCUM_OFFSET: 0
; COMPUTE_PGM_RSRC3_GFX90A:TG_SPLIT: 0
	.section	.text._ZN7rocprim17ROCPRIM_400000_NS6detail17trampoline_kernelINS0_14default_configENS1_27lower_bound_config_selectorIiiEEZNS1_14transform_implILb0ES3_S5_N6thrust23THRUST_200600_302600_NS6detail15normal_iteratorINS8_10device_ptrIiEEEESD_ZNS1_13binary_searchIS3_S5_SD_SD_SD_NS1_21lower_bound_search_opENS9_16wrapped_functionINS0_4lessIvEEbEEEE10hipError_tPvRmT1_T2_T3_mmT4_T5_P12ihipStream_tbEUlRKiE_EESK_SO_SP_mSQ_ST_bEUlT_E_NS1_11comp_targetILNS1_3genE0ELNS1_11target_archE4294967295ELNS1_3gpuE0ELNS1_3repE0EEENS1_30default_config_static_selectorELNS0_4arch9wavefront6targetE1EEEvSN_,"axG",@progbits,_ZN7rocprim17ROCPRIM_400000_NS6detail17trampoline_kernelINS0_14default_configENS1_27lower_bound_config_selectorIiiEEZNS1_14transform_implILb0ES3_S5_N6thrust23THRUST_200600_302600_NS6detail15normal_iteratorINS8_10device_ptrIiEEEESD_ZNS1_13binary_searchIS3_S5_SD_SD_SD_NS1_21lower_bound_search_opENS9_16wrapped_functionINS0_4lessIvEEbEEEE10hipError_tPvRmT1_T2_T3_mmT4_T5_P12ihipStream_tbEUlRKiE_EESK_SO_SP_mSQ_ST_bEUlT_E_NS1_11comp_targetILNS1_3genE0ELNS1_11target_archE4294967295ELNS1_3gpuE0ELNS1_3repE0EEENS1_30default_config_static_selectorELNS0_4arch9wavefront6targetE1EEEvSN_,comdat
	.protected	_ZN7rocprim17ROCPRIM_400000_NS6detail17trampoline_kernelINS0_14default_configENS1_27lower_bound_config_selectorIiiEEZNS1_14transform_implILb0ES3_S5_N6thrust23THRUST_200600_302600_NS6detail15normal_iteratorINS8_10device_ptrIiEEEESD_ZNS1_13binary_searchIS3_S5_SD_SD_SD_NS1_21lower_bound_search_opENS9_16wrapped_functionINS0_4lessIvEEbEEEE10hipError_tPvRmT1_T2_T3_mmT4_T5_P12ihipStream_tbEUlRKiE_EESK_SO_SP_mSQ_ST_bEUlT_E_NS1_11comp_targetILNS1_3genE0ELNS1_11target_archE4294967295ELNS1_3gpuE0ELNS1_3repE0EEENS1_30default_config_static_selectorELNS0_4arch9wavefront6targetE1EEEvSN_ ; -- Begin function _ZN7rocprim17ROCPRIM_400000_NS6detail17trampoline_kernelINS0_14default_configENS1_27lower_bound_config_selectorIiiEEZNS1_14transform_implILb0ES3_S5_N6thrust23THRUST_200600_302600_NS6detail15normal_iteratorINS8_10device_ptrIiEEEESD_ZNS1_13binary_searchIS3_S5_SD_SD_SD_NS1_21lower_bound_search_opENS9_16wrapped_functionINS0_4lessIvEEbEEEE10hipError_tPvRmT1_T2_T3_mmT4_T5_P12ihipStream_tbEUlRKiE_EESK_SO_SP_mSQ_ST_bEUlT_E_NS1_11comp_targetILNS1_3genE0ELNS1_11target_archE4294967295ELNS1_3gpuE0ELNS1_3repE0EEENS1_30default_config_static_selectorELNS0_4arch9wavefront6targetE1EEEvSN_
	.globl	_ZN7rocprim17ROCPRIM_400000_NS6detail17trampoline_kernelINS0_14default_configENS1_27lower_bound_config_selectorIiiEEZNS1_14transform_implILb0ES3_S5_N6thrust23THRUST_200600_302600_NS6detail15normal_iteratorINS8_10device_ptrIiEEEESD_ZNS1_13binary_searchIS3_S5_SD_SD_SD_NS1_21lower_bound_search_opENS9_16wrapped_functionINS0_4lessIvEEbEEEE10hipError_tPvRmT1_T2_T3_mmT4_T5_P12ihipStream_tbEUlRKiE_EESK_SO_SP_mSQ_ST_bEUlT_E_NS1_11comp_targetILNS1_3genE0ELNS1_11target_archE4294967295ELNS1_3gpuE0ELNS1_3repE0EEENS1_30default_config_static_selectorELNS0_4arch9wavefront6targetE1EEEvSN_
	.p2align	8
	.type	_ZN7rocprim17ROCPRIM_400000_NS6detail17trampoline_kernelINS0_14default_configENS1_27lower_bound_config_selectorIiiEEZNS1_14transform_implILb0ES3_S5_N6thrust23THRUST_200600_302600_NS6detail15normal_iteratorINS8_10device_ptrIiEEEESD_ZNS1_13binary_searchIS3_S5_SD_SD_SD_NS1_21lower_bound_search_opENS9_16wrapped_functionINS0_4lessIvEEbEEEE10hipError_tPvRmT1_T2_T3_mmT4_T5_P12ihipStream_tbEUlRKiE_EESK_SO_SP_mSQ_ST_bEUlT_E_NS1_11comp_targetILNS1_3genE0ELNS1_11target_archE4294967295ELNS1_3gpuE0ELNS1_3repE0EEENS1_30default_config_static_selectorELNS0_4arch9wavefront6targetE1EEEvSN_,@function
_ZN7rocprim17ROCPRIM_400000_NS6detail17trampoline_kernelINS0_14default_configENS1_27lower_bound_config_selectorIiiEEZNS1_14transform_implILb0ES3_S5_N6thrust23THRUST_200600_302600_NS6detail15normal_iteratorINS8_10device_ptrIiEEEESD_ZNS1_13binary_searchIS3_S5_SD_SD_SD_NS1_21lower_bound_search_opENS9_16wrapped_functionINS0_4lessIvEEbEEEE10hipError_tPvRmT1_T2_T3_mmT4_T5_P12ihipStream_tbEUlRKiE_EESK_SO_SP_mSQ_ST_bEUlT_E_NS1_11comp_targetILNS1_3genE0ELNS1_11target_archE4294967295ELNS1_3gpuE0ELNS1_3repE0EEENS1_30default_config_static_selectorELNS0_4arch9wavefront6targetE1EEEvSN_: ; @_ZN7rocprim17ROCPRIM_400000_NS6detail17trampoline_kernelINS0_14default_configENS1_27lower_bound_config_selectorIiiEEZNS1_14transform_implILb0ES3_S5_N6thrust23THRUST_200600_302600_NS6detail15normal_iteratorINS8_10device_ptrIiEEEESD_ZNS1_13binary_searchIS3_S5_SD_SD_SD_NS1_21lower_bound_search_opENS9_16wrapped_functionINS0_4lessIvEEbEEEE10hipError_tPvRmT1_T2_T3_mmT4_T5_P12ihipStream_tbEUlRKiE_EESK_SO_SP_mSQ_ST_bEUlT_E_NS1_11comp_targetILNS1_3genE0ELNS1_11target_archE4294967295ELNS1_3gpuE0ELNS1_3repE0EEENS1_30default_config_static_selectorELNS0_4arch9wavefront6targetE1EEEvSN_
; %bb.0:
	.section	.rodata,"a",@progbits
	.p2align	6, 0x0
	.amdhsa_kernel _ZN7rocprim17ROCPRIM_400000_NS6detail17trampoline_kernelINS0_14default_configENS1_27lower_bound_config_selectorIiiEEZNS1_14transform_implILb0ES3_S5_N6thrust23THRUST_200600_302600_NS6detail15normal_iteratorINS8_10device_ptrIiEEEESD_ZNS1_13binary_searchIS3_S5_SD_SD_SD_NS1_21lower_bound_search_opENS9_16wrapped_functionINS0_4lessIvEEbEEEE10hipError_tPvRmT1_T2_T3_mmT4_T5_P12ihipStream_tbEUlRKiE_EESK_SO_SP_mSQ_ST_bEUlT_E_NS1_11comp_targetILNS1_3genE0ELNS1_11target_archE4294967295ELNS1_3gpuE0ELNS1_3repE0EEENS1_30default_config_static_selectorELNS0_4arch9wavefront6targetE1EEEvSN_
		.amdhsa_group_segment_fixed_size 0
		.amdhsa_private_segment_fixed_size 0
		.amdhsa_kernarg_size 56
		.amdhsa_user_sgpr_count 6
		.amdhsa_user_sgpr_private_segment_buffer 1
		.amdhsa_user_sgpr_dispatch_ptr 0
		.amdhsa_user_sgpr_queue_ptr 0
		.amdhsa_user_sgpr_kernarg_segment_ptr 1
		.amdhsa_user_sgpr_dispatch_id 0
		.amdhsa_user_sgpr_flat_scratch_init 0
		.amdhsa_user_sgpr_kernarg_preload_length 0
		.amdhsa_user_sgpr_kernarg_preload_offset 0
		.amdhsa_user_sgpr_private_segment_size 0
		.amdhsa_uses_dynamic_stack 0
		.amdhsa_system_sgpr_private_segment_wavefront_offset 0
		.amdhsa_system_sgpr_workgroup_id_x 1
		.amdhsa_system_sgpr_workgroup_id_y 0
		.amdhsa_system_sgpr_workgroup_id_z 0
		.amdhsa_system_sgpr_workgroup_info 0
		.amdhsa_system_vgpr_workitem_id 0
		.amdhsa_next_free_vgpr 1
		.amdhsa_next_free_sgpr 0
		.amdhsa_accum_offset 4
		.amdhsa_reserve_vcc 0
		.amdhsa_reserve_flat_scratch 0
		.amdhsa_float_round_mode_32 0
		.amdhsa_float_round_mode_16_64 0
		.amdhsa_float_denorm_mode_32 3
		.amdhsa_float_denorm_mode_16_64 3
		.amdhsa_dx10_clamp 1
		.amdhsa_ieee_mode 1
		.amdhsa_fp16_overflow 0
		.amdhsa_tg_split 0
		.amdhsa_exception_fp_ieee_invalid_op 0
		.amdhsa_exception_fp_denorm_src 0
		.amdhsa_exception_fp_ieee_div_zero 0
		.amdhsa_exception_fp_ieee_overflow 0
		.amdhsa_exception_fp_ieee_underflow 0
		.amdhsa_exception_fp_ieee_inexact 0
		.amdhsa_exception_int_div_zero 0
	.end_amdhsa_kernel
	.section	.text._ZN7rocprim17ROCPRIM_400000_NS6detail17trampoline_kernelINS0_14default_configENS1_27lower_bound_config_selectorIiiEEZNS1_14transform_implILb0ES3_S5_N6thrust23THRUST_200600_302600_NS6detail15normal_iteratorINS8_10device_ptrIiEEEESD_ZNS1_13binary_searchIS3_S5_SD_SD_SD_NS1_21lower_bound_search_opENS9_16wrapped_functionINS0_4lessIvEEbEEEE10hipError_tPvRmT1_T2_T3_mmT4_T5_P12ihipStream_tbEUlRKiE_EESK_SO_SP_mSQ_ST_bEUlT_E_NS1_11comp_targetILNS1_3genE0ELNS1_11target_archE4294967295ELNS1_3gpuE0ELNS1_3repE0EEENS1_30default_config_static_selectorELNS0_4arch9wavefront6targetE1EEEvSN_,"axG",@progbits,_ZN7rocprim17ROCPRIM_400000_NS6detail17trampoline_kernelINS0_14default_configENS1_27lower_bound_config_selectorIiiEEZNS1_14transform_implILb0ES3_S5_N6thrust23THRUST_200600_302600_NS6detail15normal_iteratorINS8_10device_ptrIiEEEESD_ZNS1_13binary_searchIS3_S5_SD_SD_SD_NS1_21lower_bound_search_opENS9_16wrapped_functionINS0_4lessIvEEbEEEE10hipError_tPvRmT1_T2_T3_mmT4_T5_P12ihipStream_tbEUlRKiE_EESK_SO_SP_mSQ_ST_bEUlT_E_NS1_11comp_targetILNS1_3genE0ELNS1_11target_archE4294967295ELNS1_3gpuE0ELNS1_3repE0EEENS1_30default_config_static_selectorELNS0_4arch9wavefront6targetE1EEEvSN_,comdat
.Lfunc_end311:
	.size	_ZN7rocprim17ROCPRIM_400000_NS6detail17trampoline_kernelINS0_14default_configENS1_27lower_bound_config_selectorIiiEEZNS1_14transform_implILb0ES3_S5_N6thrust23THRUST_200600_302600_NS6detail15normal_iteratorINS8_10device_ptrIiEEEESD_ZNS1_13binary_searchIS3_S5_SD_SD_SD_NS1_21lower_bound_search_opENS9_16wrapped_functionINS0_4lessIvEEbEEEE10hipError_tPvRmT1_T2_T3_mmT4_T5_P12ihipStream_tbEUlRKiE_EESK_SO_SP_mSQ_ST_bEUlT_E_NS1_11comp_targetILNS1_3genE0ELNS1_11target_archE4294967295ELNS1_3gpuE0ELNS1_3repE0EEENS1_30default_config_static_selectorELNS0_4arch9wavefront6targetE1EEEvSN_, .Lfunc_end311-_ZN7rocprim17ROCPRIM_400000_NS6detail17trampoline_kernelINS0_14default_configENS1_27lower_bound_config_selectorIiiEEZNS1_14transform_implILb0ES3_S5_N6thrust23THRUST_200600_302600_NS6detail15normal_iteratorINS8_10device_ptrIiEEEESD_ZNS1_13binary_searchIS3_S5_SD_SD_SD_NS1_21lower_bound_search_opENS9_16wrapped_functionINS0_4lessIvEEbEEEE10hipError_tPvRmT1_T2_T3_mmT4_T5_P12ihipStream_tbEUlRKiE_EESK_SO_SP_mSQ_ST_bEUlT_E_NS1_11comp_targetILNS1_3genE0ELNS1_11target_archE4294967295ELNS1_3gpuE0ELNS1_3repE0EEENS1_30default_config_static_selectorELNS0_4arch9wavefront6targetE1EEEvSN_
                                        ; -- End function
	.section	.AMDGPU.csdata,"",@progbits
; Kernel info:
; codeLenInByte = 0
; NumSgprs: 4
; NumVgprs: 0
; NumAgprs: 0
; TotalNumVgprs: 0
; ScratchSize: 0
; MemoryBound: 0
; FloatMode: 240
; IeeeMode: 1
; LDSByteSize: 0 bytes/workgroup (compile time only)
; SGPRBlocks: 0
; VGPRBlocks: 0
; NumSGPRsForWavesPerEU: 4
; NumVGPRsForWavesPerEU: 1
; AccumOffset: 4
; Occupancy: 8
; WaveLimiterHint : 0
; COMPUTE_PGM_RSRC2:SCRATCH_EN: 0
; COMPUTE_PGM_RSRC2:USER_SGPR: 6
; COMPUTE_PGM_RSRC2:TRAP_HANDLER: 0
; COMPUTE_PGM_RSRC2:TGID_X_EN: 1
; COMPUTE_PGM_RSRC2:TGID_Y_EN: 0
; COMPUTE_PGM_RSRC2:TGID_Z_EN: 0
; COMPUTE_PGM_RSRC2:TIDIG_COMP_CNT: 0
; COMPUTE_PGM_RSRC3_GFX90A:ACCUM_OFFSET: 0
; COMPUTE_PGM_RSRC3_GFX90A:TG_SPLIT: 0
	.section	.text._ZN7rocprim17ROCPRIM_400000_NS6detail17trampoline_kernelINS0_14default_configENS1_27lower_bound_config_selectorIiiEEZNS1_14transform_implILb0ES3_S5_N6thrust23THRUST_200600_302600_NS6detail15normal_iteratorINS8_10device_ptrIiEEEESD_ZNS1_13binary_searchIS3_S5_SD_SD_SD_NS1_21lower_bound_search_opENS9_16wrapped_functionINS0_4lessIvEEbEEEE10hipError_tPvRmT1_T2_T3_mmT4_T5_P12ihipStream_tbEUlRKiE_EESK_SO_SP_mSQ_ST_bEUlT_E_NS1_11comp_targetILNS1_3genE5ELNS1_11target_archE942ELNS1_3gpuE9ELNS1_3repE0EEENS1_30default_config_static_selectorELNS0_4arch9wavefront6targetE1EEEvSN_,"axG",@progbits,_ZN7rocprim17ROCPRIM_400000_NS6detail17trampoline_kernelINS0_14default_configENS1_27lower_bound_config_selectorIiiEEZNS1_14transform_implILb0ES3_S5_N6thrust23THRUST_200600_302600_NS6detail15normal_iteratorINS8_10device_ptrIiEEEESD_ZNS1_13binary_searchIS3_S5_SD_SD_SD_NS1_21lower_bound_search_opENS9_16wrapped_functionINS0_4lessIvEEbEEEE10hipError_tPvRmT1_T2_T3_mmT4_T5_P12ihipStream_tbEUlRKiE_EESK_SO_SP_mSQ_ST_bEUlT_E_NS1_11comp_targetILNS1_3genE5ELNS1_11target_archE942ELNS1_3gpuE9ELNS1_3repE0EEENS1_30default_config_static_selectorELNS0_4arch9wavefront6targetE1EEEvSN_,comdat
	.protected	_ZN7rocprim17ROCPRIM_400000_NS6detail17trampoline_kernelINS0_14default_configENS1_27lower_bound_config_selectorIiiEEZNS1_14transform_implILb0ES3_S5_N6thrust23THRUST_200600_302600_NS6detail15normal_iteratorINS8_10device_ptrIiEEEESD_ZNS1_13binary_searchIS3_S5_SD_SD_SD_NS1_21lower_bound_search_opENS9_16wrapped_functionINS0_4lessIvEEbEEEE10hipError_tPvRmT1_T2_T3_mmT4_T5_P12ihipStream_tbEUlRKiE_EESK_SO_SP_mSQ_ST_bEUlT_E_NS1_11comp_targetILNS1_3genE5ELNS1_11target_archE942ELNS1_3gpuE9ELNS1_3repE0EEENS1_30default_config_static_selectorELNS0_4arch9wavefront6targetE1EEEvSN_ ; -- Begin function _ZN7rocprim17ROCPRIM_400000_NS6detail17trampoline_kernelINS0_14default_configENS1_27lower_bound_config_selectorIiiEEZNS1_14transform_implILb0ES3_S5_N6thrust23THRUST_200600_302600_NS6detail15normal_iteratorINS8_10device_ptrIiEEEESD_ZNS1_13binary_searchIS3_S5_SD_SD_SD_NS1_21lower_bound_search_opENS9_16wrapped_functionINS0_4lessIvEEbEEEE10hipError_tPvRmT1_T2_T3_mmT4_T5_P12ihipStream_tbEUlRKiE_EESK_SO_SP_mSQ_ST_bEUlT_E_NS1_11comp_targetILNS1_3genE5ELNS1_11target_archE942ELNS1_3gpuE9ELNS1_3repE0EEENS1_30default_config_static_selectorELNS0_4arch9wavefront6targetE1EEEvSN_
	.globl	_ZN7rocprim17ROCPRIM_400000_NS6detail17trampoline_kernelINS0_14default_configENS1_27lower_bound_config_selectorIiiEEZNS1_14transform_implILb0ES3_S5_N6thrust23THRUST_200600_302600_NS6detail15normal_iteratorINS8_10device_ptrIiEEEESD_ZNS1_13binary_searchIS3_S5_SD_SD_SD_NS1_21lower_bound_search_opENS9_16wrapped_functionINS0_4lessIvEEbEEEE10hipError_tPvRmT1_T2_T3_mmT4_T5_P12ihipStream_tbEUlRKiE_EESK_SO_SP_mSQ_ST_bEUlT_E_NS1_11comp_targetILNS1_3genE5ELNS1_11target_archE942ELNS1_3gpuE9ELNS1_3repE0EEENS1_30default_config_static_selectorELNS0_4arch9wavefront6targetE1EEEvSN_
	.p2align	8
	.type	_ZN7rocprim17ROCPRIM_400000_NS6detail17trampoline_kernelINS0_14default_configENS1_27lower_bound_config_selectorIiiEEZNS1_14transform_implILb0ES3_S5_N6thrust23THRUST_200600_302600_NS6detail15normal_iteratorINS8_10device_ptrIiEEEESD_ZNS1_13binary_searchIS3_S5_SD_SD_SD_NS1_21lower_bound_search_opENS9_16wrapped_functionINS0_4lessIvEEbEEEE10hipError_tPvRmT1_T2_T3_mmT4_T5_P12ihipStream_tbEUlRKiE_EESK_SO_SP_mSQ_ST_bEUlT_E_NS1_11comp_targetILNS1_3genE5ELNS1_11target_archE942ELNS1_3gpuE9ELNS1_3repE0EEENS1_30default_config_static_selectorELNS0_4arch9wavefront6targetE1EEEvSN_,@function
_ZN7rocprim17ROCPRIM_400000_NS6detail17trampoline_kernelINS0_14default_configENS1_27lower_bound_config_selectorIiiEEZNS1_14transform_implILb0ES3_S5_N6thrust23THRUST_200600_302600_NS6detail15normal_iteratorINS8_10device_ptrIiEEEESD_ZNS1_13binary_searchIS3_S5_SD_SD_SD_NS1_21lower_bound_search_opENS9_16wrapped_functionINS0_4lessIvEEbEEEE10hipError_tPvRmT1_T2_T3_mmT4_T5_P12ihipStream_tbEUlRKiE_EESK_SO_SP_mSQ_ST_bEUlT_E_NS1_11comp_targetILNS1_3genE5ELNS1_11target_archE942ELNS1_3gpuE9ELNS1_3repE0EEENS1_30default_config_static_selectorELNS0_4arch9wavefront6targetE1EEEvSN_: ; @_ZN7rocprim17ROCPRIM_400000_NS6detail17trampoline_kernelINS0_14default_configENS1_27lower_bound_config_selectorIiiEEZNS1_14transform_implILb0ES3_S5_N6thrust23THRUST_200600_302600_NS6detail15normal_iteratorINS8_10device_ptrIiEEEESD_ZNS1_13binary_searchIS3_S5_SD_SD_SD_NS1_21lower_bound_search_opENS9_16wrapped_functionINS0_4lessIvEEbEEEE10hipError_tPvRmT1_T2_T3_mmT4_T5_P12ihipStream_tbEUlRKiE_EESK_SO_SP_mSQ_ST_bEUlT_E_NS1_11comp_targetILNS1_3genE5ELNS1_11target_archE942ELNS1_3gpuE9ELNS1_3repE0EEENS1_30default_config_static_selectorELNS0_4arch9wavefront6targetE1EEEvSN_
; %bb.0:
	.section	.rodata,"a",@progbits
	.p2align	6, 0x0
	.amdhsa_kernel _ZN7rocprim17ROCPRIM_400000_NS6detail17trampoline_kernelINS0_14default_configENS1_27lower_bound_config_selectorIiiEEZNS1_14transform_implILb0ES3_S5_N6thrust23THRUST_200600_302600_NS6detail15normal_iteratorINS8_10device_ptrIiEEEESD_ZNS1_13binary_searchIS3_S5_SD_SD_SD_NS1_21lower_bound_search_opENS9_16wrapped_functionINS0_4lessIvEEbEEEE10hipError_tPvRmT1_T2_T3_mmT4_T5_P12ihipStream_tbEUlRKiE_EESK_SO_SP_mSQ_ST_bEUlT_E_NS1_11comp_targetILNS1_3genE5ELNS1_11target_archE942ELNS1_3gpuE9ELNS1_3repE0EEENS1_30default_config_static_selectorELNS0_4arch9wavefront6targetE1EEEvSN_
		.amdhsa_group_segment_fixed_size 0
		.amdhsa_private_segment_fixed_size 0
		.amdhsa_kernarg_size 56
		.amdhsa_user_sgpr_count 6
		.amdhsa_user_sgpr_private_segment_buffer 1
		.amdhsa_user_sgpr_dispatch_ptr 0
		.amdhsa_user_sgpr_queue_ptr 0
		.amdhsa_user_sgpr_kernarg_segment_ptr 1
		.amdhsa_user_sgpr_dispatch_id 0
		.amdhsa_user_sgpr_flat_scratch_init 0
		.amdhsa_user_sgpr_kernarg_preload_length 0
		.amdhsa_user_sgpr_kernarg_preload_offset 0
		.amdhsa_user_sgpr_private_segment_size 0
		.amdhsa_uses_dynamic_stack 0
		.amdhsa_system_sgpr_private_segment_wavefront_offset 0
		.amdhsa_system_sgpr_workgroup_id_x 1
		.amdhsa_system_sgpr_workgroup_id_y 0
		.amdhsa_system_sgpr_workgroup_id_z 0
		.amdhsa_system_sgpr_workgroup_info 0
		.amdhsa_system_vgpr_workitem_id 0
		.amdhsa_next_free_vgpr 1
		.amdhsa_next_free_sgpr 0
		.amdhsa_accum_offset 4
		.amdhsa_reserve_vcc 0
		.amdhsa_reserve_flat_scratch 0
		.amdhsa_float_round_mode_32 0
		.amdhsa_float_round_mode_16_64 0
		.amdhsa_float_denorm_mode_32 3
		.amdhsa_float_denorm_mode_16_64 3
		.amdhsa_dx10_clamp 1
		.amdhsa_ieee_mode 1
		.amdhsa_fp16_overflow 0
		.amdhsa_tg_split 0
		.amdhsa_exception_fp_ieee_invalid_op 0
		.amdhsa_exception_fp_denorm_src 0
		.amdhsa_exception_fp_ieee_div_zero 0
		.amdhsa_exception_fp_ieee_overflow 0
		.amdhsa_exception_fp_ieee_underflow 0
		.amdhsa_exception_fp_ieee_inexact 0
		.amdhsa_exception_int_div_zero 0
	.end_amdhsa_kernel
	.section	.text._ZN7rocprim17ROCPRIM_400000_NS6detail17trampoline_kernelINS0_14default_configENS1_27lower_bound_config_selectorIiiEEZNS1_14transform_implILb0ES3_S5_N6thrust23THRUST_200600_302600_NS6detail15normal_iteratorINS8_10device_ptrIiEEEESD_ZNS1_13binary_searchIS3_S5_SD_SD_SD_NS1_21lower_bound_search_opENS9_16wrapped_functionINS0_4lessIvEEbEEEE10hipError_tPvRmT1_T2_T3_mmT4_T5_P12ihipStream_tbEUlRKiE_EESK_SO_SP_mSQ_ST_bEUlT_E_NS1_11comp_targetILNS1_3genE5ELNS1_11target_archE942ELNS1_3gpuE9ELNS1_3repE0EEENS1_30default_config_static_selectorELNS0_4arch9wavefront6targetE1EEEvSN_,"axG",@progbits,_ZN7rocprim17ROCPRIM_400000_NS6detail17trampoline_kernelINS0_14default_configENS1_27lower_bound_config_selectorIiiEEZNS1_14transform_implILb0ES3_S5_N6thrust23THRUST_200600_302600_NS6detail15normal_iteratorINS8_10device_ptrIiEEEESD_ZNS1_13binary_searchIS3_S5_SD_SD_SD_NS1_21lower_bound_search_opENS9_16wrapped_functionINS0_4lessIvEEbEEEE10hipError_tPvRmT1_T2_T3_mmT4_T5_P12ihipStream_tbEUlRKiE_EESK_SO_SP_mSQ_ST_bEUlT_E_NS1_11comp_targetILNS1_3genE5ELNS1_11target_archE942ELNS1_3gpuE9ELNS1_3repE0EEENS1_30default_config_static_selectorELNS0_4arch9wavefront6targetE1EEEvSN_,comdat
.Lfunc_end312:
	.size	_ZN7rocprim17ROCPRIM_400000_NS6detail17trampoline_kernelINS0_14default_configENS1_27lower_bound_config_selectorIiiEEZNS1_14transform_implILb0ES3_S5_N6thrust23THRUST_200600_302600_NS6detail15normal_iteratorINS8_10device_ptrIiEEEESD_ZNS1_13binary_searchIS3_S5_SD_SD_SD_NS1_21lower_bound_search_opENS9_16wrapped_functionINS0_4lessIvEEbEEEE10hipError_tPvRmT1_T2_T3_mmT4_T5_P12ihipStream_tbEUlRKiE_EESK_SO_SP_mSQ_ST_bEUlT_E_NS1_11comp_targetILNS1_3genE5ELNS1_11target_archE942ELNS1_3gpuE9ELNS1_3repE0EEENS1_30default_config_static_selectorELNS0_4arch9wavefront6targetE1EEEvSN_, .Lfunc_end312-_ZN7rocprim17ROCPRIM_400000_NS6detail17trampoline_kernelINS0_14default_configENS1_27lower_bound_config_selectorIiiEEZNS1_14transform_implILb0ES3_S5_N6thrust23THRUST_200600_302600_NS6detail15normal_iteratorINS8_10device_ptrIiEEEESD_ZNS1_13binary_searchIS3_S5_SD_SD_SD_NS1_21lower_bound_search_opENS9_16wrapped_functionINS0_4lessIvEEbEEEE10hipError_tPvRmT1_T2_T3_mmT4_T5_P12ihipStream_tbEUlRKiE_EESK_SO_SP_mSQ_ST_bEUlT_E_NS1_11comp_targetILNS1_3genE5ELNS1_11target_archE942ELNS1_3gpuE9ELNS1_3repE0EEENS1_30default_config_static_selectorELNS0_4arch9wavefront6targetE1EEEvSN_
                                        ; -- End function
	.section	.AMDGPU.csdata,"",@progbits
; Kernel info:
; codeLenInByte = 0
; NumSgprs: 4
; NumVgprs: 0
; NumAgprs: 0
; TotalNumVgprs: 0
; ScratchSize: 0
; MemoryBound: 0
; FloatMode: 240
; IeeeMode: 1
; LDSByteSize: 0 bytes/workgroup (compile time only)
; SGPRBlocks: 0
; VGPRBlocks: 0
; NumSGPRsForWavesPerEU: 4
; NumVGPRsForWavesPerEU: 1
; AccumOffset: 4
; Occupancy: 8
; WaveLimiterHint : 0
; COMPUTE_PGM_RSRC2:SCRATCH_EN: 0
; COMPUTE_PGM_RSRC2:USER_SGPR: 6
; COMPUTE_PGM_RSRC2:TRAP_HANDLER: 0
; COMPUTE_PGM_RSRC2:TGID_X_EN: 1
; COMPUTE_PGM_RSRC2:TGID_Y_EN: 0
; COMPUTE_PGM_RSRC2:TGID_Z_EN: 0
; COMPUTE_PGM_RSRC2:TIDIG_COMP_CNT: 0
; COMPUTE_PGM_RSRC3_GFX90A:ACCUM_OFFSET: 0
; COMPUTE_PGM_RSRC3_GFX90A:TG_SPLIT: 0
	.section	.text._ZN7rocprim17ROCPRIM_400000_NS6detail17trampoline_kernelINS0_14default_configENS1_27lower_bound_config_selectorIiiEEZNS1_14transform_implILb0ES3_S5_N6thrust23THRUST_200600_302600_NS6detail15normal_iteratorINS8_10device_ptrIiEEEESD_ZNS1_13binary_searchIS3_S5_SD_SD_SD_NS1_21lower_bound_search_opENS9_16wrapped_functionINS0_4lessIvEEbEEEE10hipError_tPvRmT1_T2_T3_mmT4_T5_P12ihipStream_tbEUlRKiE_EESK_SO_SP_mSQ_ST_bEUlT_E_NS1_11comp_targetILNS1_3genE4ELNS1_11target_archE910ELNS1_3gpuE8ELNS1_3repE0EEENS1_30default_config_static_selectorELNS0_4arch9wavefront6targetE1EEEvSN_,"axG",@progbits,_ZN7rocprim17ROCPRIM_400000_NS6detail17trampoline_kernelINS0_14default_configENS1_27lower_bound_config_selectorIiiEEZNS1_14transform_implILb0ES3_S5_N6thrust23THRUST_200600_302600_NS6detail15normal_iteratorINS8_10device_ptrIiEEEESD_ZNS1_13binary_searchIS3_S5_SD_SD_SD_NS1_21lower_bound_search_opENS9_16wrapped_functionINS0_4lessIvEEbEEEE10hipError_tPvRmT1_T2_T3_mmT4_T5_P12ihipStream_tbEUlRKiE_EESK_SO_SP_mSQ_ST_bEUlT_E_NS1_11comp_targetILNS1_3genE4ELNS1_11target_archE910ELNS1_3gpuE8ELNS1_3repE0EEENS1_30default_config_static_selectorELNS0_4arch9wavefront6targetE1EEEvSN_,comdat
	.protected	_ZN7rocprim17ROCPRIM_400000_NS6detail17trampoline_kernelINS0_14default_configENS1_27lower_bound_config_selectorIiiEEZNS1_14transform_implILb0ES3_S5_N6thrust23THRUST_200600_302600_NS6detail15normal_iteratorINS8_10device_ptrIiEEEESD_ZNS1_13binary_searchIS3_S5_SD_SD_SD_NS1_21lower_bound_search_opENS9_16wrapped_functionINS0_4lessIvEEbEEEE10hipError_tPvRmT1_T2_T3_mmT4_T5_P12ihipStream_tbEUlRKiE_EESK_SO_SP_mSQ_ST_bEUlT_E_NS1_11comp_targetILNS1_3genE4ELNS1_11target_archE910ELNS1_3gpuE8ELNS1_3repE0EEENS1_30default_config_static_selectorELNS0_4arch9wavefront6targetE1EEEvSN_ ; -- Begin function _ZN7rocprim17ROCPRIM_400000_NS6detail17trampoline_kernelINS0_14default_configENS1_27lower_bound_config_selectorIiiEEZNS1_14transform_implILb0ES3_S5_N6thrust23THRUST_200600_302600_NS6detail15normal_iteratorINS8_10device_ptrIiEEEESD_ZNS1_13binary_searchIS3_S5_SD_SD_SD_NS1_21lower_bound_search_opENS9_16wrapped_functionINS0_4lessIvEEbEEEE10hipError_tPvRmT1_T2_T3_mmT4_T5_P12ihipStream_tbEUlRKiE_EESK_SO_SP_mSQ_ST_bEUlT_E_NS1_11comp_targetILNS1_3genE4ELNS1_11target_archE910ELNS1_3gpuE8ELNS1_3repE0EEENS1_30default_config_static_selectorELNS0_4arch9wavefront6targetE1EEEvSN_
	.globl	_ZN7rocprim17ROCPRIM_400000_NS6detail17trampoline_kernelINS0_14default_configENS1_27lower_bound_config_selectorIiiEEZNS1_14transform_implILb0ES3_S5_N6thrust23THRUST_200600_302600_NS6detail15normal_iteratorINS8_10device_ptrIiEEEESD_ZNS1_13binary_searchIS3_S5_SD_SD_SD_NS1_21lower_bound_search_opENS9_16wrapped_functionINS0_4lessIvEEbEEEE10hipError_tPvRmT1_T2_T3_mmT4_T5_P12ihipStream_tbEUlRKiE_EESK_SO_SP_mSQ_ST_bEUlT_E_NS1_11comp_targetILNS1_3genE4ELNS1_11target_archE910ELNS1_3gpuE8ELNS1_3repE0EEENS1_30default_config_static_selectorELNS0_4arch9wavefront6targetE1EEEvSN_
	.p2align	8
	.type	_ZN7rocprim17ROCPRIM_400000_NS6detail17trampoline_kernelINS0_14default_configENS1_27lower_bound_config_selectorIiiEEZNS1_14transform_implILb0ES3_S5_N6thrust23THRUST_200600_302600_NS6detail15normal_iteratorINS8_10device_ptrIiEEEESD_ZNS1_13binary_searchIS3_S5_SD_SD_SD_NS1_21lower_bound_search_opENS9_16wrapped_functionINS0_4lessIvEEbEEEE10hipError_tPvRmT1_T2_T3_mmT4_T5_P12ihipStream_tbEUlRKiE_EESK_SO_SP_mSQ_ST_bEUlT_E_NS1_11comp_targetILNS1_3genE4ELNS1_11target_archE910ELNS1_3gpuE8ELNS1_3repE0EEENS1_30default_config_static_selectorELNS0_4arch9wavefront6targetE1EEEvSN_,@function
_ZN7rocprim17ROCPRIM_400000_NS6detail17trampoline_kernelINS0_14default_configENS1_27lower_bound_config_selectorIiiEEZNS1_14transform_implILb0ES3_S5_N6thrust23THRUST_200600_302600_NS6detail15normal_iteratorINS8_10device_ptrIiEEEESD_ZNS1_13binary_searchIS3_S5_SD_SD_SD_NS1_21lower_bound_search_opENS9_16wrapped_functionINS0_4lessIvEEbEEEE10hipError_tPvRmT1_T2_T3_mmT4_T5_P12ihipStream_tbEUlRKiE_EESK_SO_SP_mSQ_ST_bEUlT_E_NS1_11comp_targetILNS1_3genE4ELNS1_11target_archE910ELNS1_3gpuE8ELNS1_3repE0EEENS1_30default_config_static_selectorELNS0_4arch9wavefront6targetE1EEEvSN_: ; @_ZN7rocprim17ROCPRIM_400000_NS6detail17trampoline_kernelINS0_14default_configENS1_27lower_bound_config_selectorIiiEEZNS1_14transform_implILb0ES3_S5_N6thrust23THRUST_200600_302600_NS6detail15normal_iteratorINS8_10device_ptrIiEEEESD_ZNS1_13binary_searchIS3_S5_SD_SD_SD_NS1_21lower_bound_search_opENS9_16wrapped_functionINS0_4lessIvEEbEEEE10hipError_tPvRmT1_T2_T3_mmT4_T5_P12ihipStream_tbEUlRKiE_EESK_SO_SP_mSQ_ST_bEUlT_E_NS1_11comp_targetILNS1_3genE4ELNS1_11target_archE910ELNS1_3gpuE8ELNS1_3repE0EEENS1_30default_config_static_selectorELNS0_4arch9wavefront6targetE1EEEvSN_
; %bb.0:
	s_load_dwordx4 s[12:15], s[4:5], 0x0
	s_load_dwordx4 s[0:3], s[4:5], 0x18
	s_load_dwordx2 s[10:11], s[4:5], 0x28
	s_load_dword s16, s[4:5], 0x38
	s_waitcnt lgkmcnt(0)
	s_lshl_b64 s[8:9], s[14:15], 2
	s_add_u32 s7, s12, s8
	s_addc_u32 s14, s13, s9
	s_add_u32 s12, s0, s8
	s_addc_u32 s13, s1, s9
	s_lshl_b32 s8, s6, 8
	s_add_i32 s16, s16, -1
	s_mov_b32 s9, 0
	s_cmp_lg_u32 s6, s16
	s_mov_b64 s[0:1], -1
	s_cbranch_scc0 .LBB313_6
; %bb.1:
	v_mov_b32_e32 v2, 0
	s_cmp_eq_u64 s[10:11], 0
	s_mov_b64 s[0:1], 0
	s_cbranch_scc1 .LBB313_5
; %bb.2:
	s_lshl_b64 s[16:17], s[8:9], 2
	s_add_u32 s6, s7, s16
	s_addc_u32 s15, s14, s17
	v_lshlrev_b32_e32 v1, 2, v0
	v_mov_b32_e32 v3, s15
	v_add_co_u32_e32 v2, vcc, s6, v1
	v_addc_co_u32_e32 v3, vcc, 0, v3, vcc
	flat_load_dword v1, v[2:3]
	v_pk_mov_b32 v[2:3], 0, 0
	v_pk_mov_b32 v[4:5], s[10:11], s[10:11] op_sel:[0,1]
	v_mov_b32_e32 v6, s3
.LBB313_3:                              ; =>This Inner Loop Header: Depth=1
	v_sub_co_u32_e32 v8, vcc, v4, v2
	v_subb_co_u32_e32 v9, vcc, v5, v3, vcc
	v_lshrrev_b64 v[10:11], 1, v[8:9]
	v_add_co_u32_e32 v7, vcc, v10, v2
	v_lshrrev_b64 v[8:9], 6, v[8:9]
	v_addc_co_u32_e32 v10, vcc, v11, v3, vcc
	v_add_co_u32_e32 v8, vcc, v7, v8
	v_addc_co_u32_e32 v9, vcc, v10, v9, vcc
	v_lshlrev_b64 v[10:11], 2, v[8:9]
	v_add_co_u32_e32 v10, vcc, s2, v10
	v_addc_co_u32_e32 v11, vcc, v6, v11, vcc
	global_load_dword v7, v[10:11], off
	v_add_co_u32_e32 v10, vcc, 1, v8
	v_addc_co_u32_e32 v11, vcc, 0, v9, vcc
	s_waitcnt vmcnt(0) lgkmcnt(0)
	v_cmp_lt_i32_e32 vcc, v7, v1
	v_cndmask_b32_e32 v5, v9, v5, vcc
	v_cndmask_b32_e32 v4, v8, v4, vcc
	v_cndmask_b32_e32 v3, v3, v11, vcc
	v_cndmask_b32_e32 v2, v2, v10, vcc
	v_cmp_ge_u64_e32 vcc, v[2:3], v[4:5]
	s_or_b64 s[0:1], vcc, s[0:1]
	s_andn2_b64 exec, exec, s[0:1]
	s_cbranch_execnz .LBB313_3
; %bb.4:
	s_or_b64 exec, exec, s[0:1]
.LBB313_5:
	s_lshl_b64 s[0:1], s[8:9], 2
	s_add_u32 s0, s12, s0
	s_addc_u32 s1, s13, s1
	v_lshlrev_b32_e32 v1, 2, v0
	v_mov_b32_e32 v3, s1
	v_add_co_u32_e32 v4, vcc, s0, v1
	v_addc_co_u32_e32 v5, vcc, 0, v3, vcc
	s_mov_b64 s[0:1], 0
	flat_store_dword v[4:5], v2
.LBB313_6:
	s_and_b64 vcc, exec, s[0:1]
	s_cbranch_vccz .LBB313_11
; %bb.7:
	s_load_dword s0, s[4:5], 0x10
                                        ; implicit-def: $vgpr1
	s_waitcnt lgkmcnt(0)
	s_sub_i32 s0, s0, s8
	v_cmp_gt_u32_e32 vcc, s0, v0
	s_and_saveexec_b64 s[4:5], vcc
	s_cbranch_execnz .LBB313_12
; %bb.8:
	s_or_b64 exec, exec, s[4:5]
                                        ; implicit-def: $vgpr2
	s_and_saveexec_b64 s[4:5], vcc
	s_cbranch_execnz .LBB313_13
.LBB313_9:
	s_or_b64 exec, exec, s[4:5]
	s_and_saveexec_b64 s[0:1], vcc
	s_cbranch_execz .LBB313_11
.LBB313_10:
	s_lshl_b64 s[0:1], s[8:9], 2
	s_add_u32 s0, s12, s0
	s_addc_u32 s1, s13, s1
	v_lshlrev_b32_e32 v0, 2, v0
	s_waitcnt vmcnt(0) lgkmcnt(0)
	v_mov_b32_e32 v1, s1
	v_add_co_u32_e32 v0, vcc, s0, v0
	v_addc_co_u32_e32 v1, vcc, 0, v1, vcc
	flat_store_dword v[0:1], v2
.LBB313_11:
	s_endpgm
.LBB313_12:
	s_lshl_b64 s[0:1], s[8:9], 2
	s_add_u32 s0, s7, s0
	s_addc_u32 s1, s14, s1
	v_lshlrev_b32_e32 v1, 2, v0
	v_mov_b32_e32 v3, s1
	v_add_co_u32_e64 v2, s[0:1], s0, v1
	v_addc_co_u32_e64 v3, s[0:1], 0, v3, s[0:1]
	flat_load_dword v1, v[2:3]
	s_or_b64 exec, exec, s[4:5]
                                        ; implicit-def: $vgpr2
	s_and_saveexec_b64 s[4:5], vcc
	s_cbranch_execz .LBB313_9
.LBB313_13:
	s_cmp_eq_u64 s[10:11], 0
	s_mov_b64 s[6:7], 0
	s_cbranch_scc1 .LBB313_17
; %bb.14:
	v_pk_mov_b32 v[2:3], 0, 0
	v_pk_mov_b32 v[4:5], s[10:11], s[10:11] op_sel:[0,1]
	v_mov_b32_e32 v6, s3
.LBB313_15:                             ; =>This Inner Loop Header: Depth=1
	v_sub_co_u32_e64 v8, s[0:1], v4, v2
	v_subb_co_u32_e64 v9, s[0:1], v5, v3, s[0:1]
	v_lshrrev_b64 v[10:11], 1, v[8:9]
	v_add_co_u32_e64 v7, s[0:1], v10, v2
	v_lshrrev_b64 v[8:9], 6, v[8:9]
	v_addc_co_u32_e64 v10, s[0:1], v11, v3, s[0:1]
	v_add_co_u32_e64 v8, s[0:1], v7, v8
	v_addc_co_u32_e64 v9, s[0:1], v10, v9, s[0:1]
	v_lshlrev_b64 v[10:11], 2, v[8:9]
	v_add_co_u32_e64 v10, s[0:1], s2, v10
	v_addc_co_u32_e64 v11, s[0:1], v6, v11, s[0:1]
	global_load_dword v7, v[10:11], off
	v_add_co_u32_e64 v10, s[0:1], 1, v8
	v_addc_co_u32_e64 v11, s[0:1], 0, v9, s[0:1]
	s_waitcnt vmcnt(0) lgkmcnt(0)
	v_cmp_lt_i32_e64 s[0:1], v7, v1
	v_cndmask_b32_e64 v5, v9, v5, s[0:1]
	v_cndmask_b32_e64 v4, v8, v4, s[0:1]
	;; [unrolled: 1-line block ×4, first 2 shown]
	v_cmp_ge_u64_e64 s[0:1], v[2:3], v[4:5]
	s_or_b64 s[6:7], s[0:1], s[6:7]
	s_andn2_b64 exec, exec, s[6:7]
	s_cbranch_execnz .LBB313_15
; %bb.16:
	s_or_b64 exec, exec, s[6:7]
	s_or_b64 exec, exec, s[4:5]
	s_and_saveexec_b64 s[0:1], vcc
	s_cbranch_execnz .LBB313_10
	s_branch .LBB313_11
.LBB313_17:
	v_mov_b32_e32 v2, 0
	s_or_b64 exec, exec, s[4:5]
	s_and_saveexec_b64 s[0:1], vcc
	s_cbranch_execnz .LBB313_10
	s_branch .LBB313_11
	.section	.rodata,"a",@progbits
	.p2align	6, 0x0
	.amdhsa_kernel _ZN7rocprim17ROCPRIM_400000_NS6detail17trampoline_kernelINS0_14default_configENS1_27lower_bound_config_selectorIiiEEZNS1_14transform_implILb0ES3_S5_N6thrust23THRUST_200600_302600_NS6detail15normal_iteratorINS8_10device_ptrIiEEEESD_ZNS1_13binary_searchIS3_S5_SD_SD_SD_NS1_21lower_bound_search_opENS9_16wrapped_functionINS0_4lessIvEEbEEEE10hipError_tPvRmT1_T2_T3_mmT4_T5_P12ihipStream_tbEUlRKiE_EESK_SO_SP_mSQ_ST_bEUlT_E_NS1_11comp_targetILNS1_3genE4ELNS1_11target_archE910ELNS1_3gpuE8ELNS1_3repE0EEENS1_30default_config_static_selectorELNS0_4arch9wavefront6targetE1EEEvSN_
		.amdhsa_group_segment_fixed_size 0
		.amdhsa_private_segment_fixed_size 0
		.amdhsa_kernarg_size 312
		.amdhsa_user_sgpr_count 6
		.amdhsa_user_sgpr_private_segment_buffer 1
		.amdhsa_user_sgpr_dispatch_ptr 0
		.amdhsa_user_sgpr_queue_ptr 0
		.amdhsa_user_sgpr_kernarg_segment_ptr 1
		.amdhsa_user_sgpr_dispatch_id 0
		.amdhsa_user_sgpr_flat_scratch_init 0
		.amdhsa_user_sgpr_kernarg_preload_length 0
		.amdhsa_user_sgpr_kernarg_preload_offset 0
		.amdhsa_user_sgpr_private_segment_size 0
		.amdhsa_uses_dynamic_stack 0
		.amdhsa_system_sgpr_private_segment_wavefront_offset 0
		.amdhsa_system_sgpr_workgroup_id_x 1
		.amdhsa_system_sgpr_workgroup_id_y 0
		.amdhsa_system_sgpr_workgroup_id_z 0
		.amdhsa_system_sgpr_workgroup_info 0
		.amdhsa_system_vgpr_workitem_id 0
		.amdhsa_next_free_vgpr 12
		.amdhsa_next_free_sgpr 18
		.amdhsa_accum_offset 12
		.amdhsa_reserve_vcc 1
		.amdhsa_reserve_flat_scratch 0
		.amdhsa_float_round_mode_32 0
		.amdhsa_float_round_mode_16_64 0
		.amdhsa_float_denorm_mode_32 3
		.amdhsa_float_denorm_mode_16_64 3
		.amdhsa_dx10_clamp 1
		.amdhsa_ieee_mode 1
		.amdhsa_fp16_overflow 0
		.amdhsa_tg_split 0
		.amdhsa_exception_fp_ieee_invalid_op 0
		.amdhsa_exception_fp_denorm_src 0
		.amdhsa_exception_fp_ieee_div_zero 0
		.amdhsa_exception_fp_ieee_overflow 0
		.amdhsa_exception_fp_ieee_underflow 0
		.amdhsa_exception_fp_ieee_inexact 0
		.amdhsa_exception_int_div_zero 0
	.end_amdhsa_kernel
	.section	.text._ZN7rocprim17ROCPRIM_400000_NS6detail17trampoline_kernelINS0_14default_configENS1_27lower_bound_config_selectorIiiEEZNS1_14transform_implILb0ES3_S5_N6thrust23THRUST_200600_302600_NS6detail15normal_iteratorINS8_10device_ptrIiEEEESD_ZNS1_13binary_searchIS3_S5_SD_SD_SD_NS1_21lower_bound_search_opENS9_16wrapped_functionINS0_4lessIvEEbEEEE10hipError_tPvRmT1_T2_T3_mmT4_T5_P12ihipStream_tbEUlRKiE_EESK_SO_SP_mSQ_ST_bEUlT_E_NS1_11comp_targetILNS1_3genE4ELNS1_11target_archE910ELNS1_3gpuE8ELNS1_3repE0EEENS1_30default_config_static_selectorELNS0_4arch9wavefront6targetE1EEEvSN_,"axG",@progbits,_ZN7rocprim17ROCPRIM_400000_NS6detail17trampoline_kernelINS0_14default_configENS1_27lower_bound_config_selectorIiiEEZNS1_14transform_implILb0ES3_S5_N6thrust23THRUST_200600_302600_NS6detail15normal_iteratorINS8_10device_ptrIiEEEESD_ZNS1_13binary_searchIS3_S5_SD_SD_SD_NS1_21lower_bound_search_opENS9_16wrapped_functionINS0_4lessIvEEbEEEE10hipError_tPvRmT1_T2_T3_mmT4_T5_P12ihipStream_tbEUlRKiE_EESK_SO_SP_mSQ_ST_bEUlT_E_NS1_11comp_targetILNS1_3genE4ELNS1_11target_archE910ELNS1_3gpuE8ELNS1_3repE0EEENS1_30default_config_static_selectorELNS0_4arch9wavefront6targetE1EEEvSN_,comdat
.Lfunc_end313:
	.size	_ZN7rocprim17ROCPRIM_400000_NS6detail17trampoline_kernelINS0_14default_configENS1_27lower_bound_config_selectorIiiEEZNS1_14transform_implILb0ES3_S5_N6thrust23THRUST_200600_302600_NS6detail15normal_iteratorINS8_10device_ptrIiEEEESD_ZNS1_13binary_searchIS3_S5_SD_SD_SD_NS1_21lower_bound_search_opENS9_16wrapped_functionINS0_4lessIvEEbEEEE10hipError_tPvRmT1_T2_T3_mmT4_T5_P12ihipStream_tbEUlRKiE_EESK_SO_SP_mSQ_ST_bEUlT_E_NS1_11comp_targetILNS1_3genE4ELNS1_11target_archE910ELNS1_3gpuE8ELNS1_3repE0EEENS1_30default_config_static_selectorELNS0_4arch9wavefront6targetE1EEEvSN_, .Lfunc_end313-_ZN7rocprim17ROCPRIM_400000_NS6detail17trampoline_kernelINS0_14default_configENS1_27lower_bound_config_selectorIiiEEZNS1_14transform_implILb0ES3_S5_N6thrust23THRUST_200600_302600_NS6detail15normal_iteratorINS8_10device_ptrIiEEEESD_ZNS1_13binary_searchIS3_S5_SD_SD_SD_NS1_21lower_bound_search_opENS9_16wrapped_functionINS0_4lessIvEEbEEEE10hipError_tPvRmT1_T2_T3_mmT4_T5_P12ihipStream_tbEUlRKiE_EESK_SO_SP_mSQ_ST_bEUlT_E_NS1_11comp_targetILNS1_3genE4ELNS1_11target_archE910ELNS1_3gpuE8ELNS1_3repE0EEENS1_30default_config_static_selectorELNS0_4arch9wavefront6targetE1EEEvSN_
                                        ; -- End function
	.section	.AMDGPU.csdata,"",@progbits
; Kernel info:
; codeLenInByte = 716
; NumSgprs: 22
; NumVgprs: 12
; NumAgprs: 0
; TotalNumVgprs: 12
; ScratchSize: 0
; MemoryBound: 0
; FloatMode: 240
; IeeeMode: 1
; LDSByteSize: 0 bytes/workgroup (compile time only)
; SGPRBlocks: 2
; VGPRBlocks: 1
; NumSGPRsForWavesPerEU: 22
; NumVGPRsForWavesPerEU: 12
; AccumOffset: 12
; Occupancy: 8
; WaveLimiterHint : 0
; COMPUTE_PGM_RSRC2:SCRATCH_EN: 0
; COMPUTE_PGM_RSRC2:USER_SGPR: 6
; COMPUTE_PGM_RSRC2:TRAP_HANDLER: 0
; COMPUTE_PGM_RSRC2:TGID_X_EN: 1
; COMPUTE_PGM_RSRC2:TGID_Y_EN: 0
; COMPUTE_PGM_RSRC2:TGID_Z_EN: 0
; COMPUTE_PGM_RSRC2:TIDIG_COMP_CNT: 0
; COMPUTE_PGM_RSRC3_GFX90A:ACCUM_OFFSET: 2
; COMPUTE_PGM_RSRC3_GFX90A:TG_SPLIT: 0
	.section	.text._ZN7rocprim17ROCPRIM_400000_NS6detail17trampoline_kernelINS0_14default_configENS1_27lower_bound_config_selectorIiiEEZNS1_14transform_implILb0ES3_S5_N6thrust23THRUST_200600_302600_NS6detail15normal_iteratorINS8_10device_ptrIiEEEESD_ZNS1_13binary_searchIS3_S5_SD_SD_SD_NS1_21lower_bound_search_opENS9_16wrapped_functionINS0_4lessIvEEbEEEE10hipError_tPvRmT1_T2_T3_mmT4_T5_P12ihipStream_tbEUlRKiE_EESK_SO_SP_mSQ_ST_bEUlT_E_NS1_11comp_targetILNS1_3genE3ELNS1_11target_archE908ELNS1_3gpuE7ELNS1_3repE0EEENS1_30default_config_static_selectorELNS0_4arch9wavefront6targetE1EEEvSN_,"axG",@progbits,_ZN7rocprim17ROCPRIM_400000_NS6detail17trampoline_kernelINS0_14default_configENS1_27lower_bound_config_selectorIiiEEZNS1_14transform_implILb0ES3_S5_N6thrust23THRUST_200600_302600_NS6detail15normal_iteratorINS8_10device_ptrIiEEEESD_ZNS1_13binary_searchIS3_S5_SD_SD_SD_NS1_21lower_bound_search_opENS9_16wrapped_functionINS0_4lessIvEEbEEEE10hipError_tPvRmT1_T2_T3_mmT4_T5_P12ihipStream_tbEUlRKiE_EESK_SO_SP_mSQ_ST_bEUlT_E_NS1_11comp_targetILNS1_3genE3ELNS1_11target_archE908ELNS1_3gpuE7ELNS1_3repE0EEENS1_30default_config_static_selectorELNS0_4arch9wavefront6targetE1EEEvSN_,comdat
	.protected	_ZN7rocprim17ROCPRIM_400000_NS6detail17trampoline_kernelINS0_14default_configENS1_27lower_bound_config_selectorIiiEEZNS1_14transform_implILb0ES3_S5_N6thrust23THRUST_200600_302600_NS6detail15normal_iteratorINS8_10device_ptrIiEEEESD_ZNS1_13binary_searchIS3_S5_SD_SD_SD_NS1_21lower_bound_search_opENS9_16wrapped_functionINS0_4lessIvEEbEEEE10hipError_tPvRmT1_T2_T3_mmT4_T5_P12ihipStream_tbEUlRKiE_EESK_SO_SP_mSQ_ST_bEUlT_E_NS1_11comp_targetILNS1_3genE3ELNS1_11target_archE908ELNS1_3gpuE7ELNS1_3repE0EEENS1_30default_config_static_selectorELNS0_4arch9wavefront6targetE1EEEvSN_ ; -- Begin function _ZN7rocprim17ROCPRIM_400000_NS6detail17trampoline_kernelINS0_14default_configENS1_27lower_bound_config_selectorIiiEEZNS1_14transform_implILb0ES3_S5_N6thrust23THRUST_200600_302600_NS6detail15normal_iteratorINS8_10device_ptrIiEEEESD_ZNS1_13binary_searchIS3_S5_SD_SD_SD_NS1_21lower_bound_search_opENS9_16wrapped_functionINS0_4lessIvEEbEEEE10hipError_tPvRmT1_T2_T3_mmT4_T5_P12ihipStream_tbEUlRKiE_EESK_SO_SP_mSQ_ST_bEUlT_E_NS1_11comp_targetILNS1_3genE3ELNS1_11target_archE908ELNS1_3gpuE7ELNS1_3repE0EEENS1_30default_config_static_selectorELNS0_4arch9wavefront6targetE1EEEvSN_
	.globl	_ZN7rocprim17ROCPRIM_400000_NS6detail17trampoline_kernelINS0_14default_configENS1_27lower_bound_config_selectorIiiEEZNS1_14transform_implILb0ES3_S5_N6thrust23THRUST_200600_302600_NS6detail15normal_iteratorINS8_10device_ptrIiEEEESD_ZNS1_13binary_searchIS3_S5_SD_SD_SD_NS1_21lower_bound_search_opENS9_16wrapped_functionINS0_4lessIvEEbEEEE10hipError_tPvRmT1_T2_T3_mmT4_T5_P12ihipStream_tbEUlRKiE_EESK_SO_SP_mSQ_ST_bEUlT_E_NS1_11comp_targetILNS1_3genE3ELNS1_11target_archE908ELNS1_3gpuE7ELNS1_3repE0EEENS1_30default_config_static_selectorELNS0_4arch9wavefront6targetE1EEEvSN_
	.p2align	8
	.type	_ZN7rocprim17ROCPRIM_400000_NS6detail17trampoline_kernelINS0_14default_configENS1_27lower_bound_config_selectorIiiEEZNS1_14transform_implILb0ES3_S5_N6thrust23THRUST_200600_302600_NS6detail15normal_iteratorINS8_10device_ptrIiEEEESD_ZNS1_13binary_searchIS3_S5_SD_SD_SD_NS1_21lower_bound_search_opENS9_16wrapped_functionINS0_4lessIvEEbEEEE10hipError_tPvRmT1_T2_T3_mmT4_T5_P12ihipStream_tbEUlRKiE_EESK_SO_SP_mSQ_ST_bEUlT_E_NS1_11comp_targetILNS1_3genE3ELNS1_11target_archE908ELNS1_3gpuE7ELNS1_3repE0EEENS1_30default_config_static_selectorELNS0_4arch9wavefront6targetE1EEEvSN_,@function
_ZN7rocprim17ROCPRIM_400000_NS6detail17trampoline_kernelINS0_14default_configENS1_27lower_bound_config_selectorIiiEEZNS1_14transform_implILb0ES3_S5_N6thrust23THRUST_200600_302600_NS6detail15normal_iteratorINS8_10device_ptrIiEEEESD_ZNS1_13binary_searchIS3_S5_SD_SD_SD_NS1_21lower_bound_search_opENS9_16wrapped_functionINS0_4lessIvEEbEEEE10hipError_tPvRmT1_T2_T3_mmT4_T5_P12ihipStream_tbEUlRKiE_EESK_SO_SP_mSQ_ST_bEUlT_E_NS1_11comp_targetILNS1_3genE3ELNS1_11target_archE908ELNS1_3gpuE7ELNS1_3repE0EEENS1_30default_config_static_selectorELNS0_4arch9wavefront6targetE1EEEvSN_: ; @_ZN7rocprim17ROCPRIM_400000_NS6detail17trampoline_kernelINS0_14default_configENS1_27lower_bound_config_selectorIiiEEZNS1_14transform_implILb0ES3_S5_N6thrust23THRUST_200600_302600_NS6detail15normal_iteratorINS8_10device_ptrIiEEEESD_ZNS1_13binary_searchIS3_S5_SD_SD_SD_NS1_21lower_bound_search_opENS9_16wrapped_functionINS0_4lessIvEEbEEEE10hipError_tPvRmT1_T2_T3_mmT4_T5_P12ihipStream_tbEUlRKiE_EESK_SO_SP_mSQ_ST_bEUlT_E_NS1_11comp_targetILNS1_3genE3ELNS1_11target_archE908ELNS1_3gpuE7ELNS1_3repE0EEENS1_30default_config_static_selectorELNS0_4arch9wavefront6targetE1EEEvSN_
; %bb.0:
	.section	.rodata,"a",@progbits
	.p2align	6, 0x0
	.amdhsa_kernel _ZN7rocprim17ROCPRIM_400000_NS6detail17trampoline_kernelINS0_14default_configENS1_27lower_bound_config_selectorIiiEEZNS1_14transform_implILb0ES3_S5_N6thrust23THRUST_200600_302600_NS6detail15normal_iteratorINS8_10device_ptrIiEEEESD_ZNS1_13binary_searchIS3_S5_SD_SD_SD_NS1_21lower_bound_search_opENS9_16wrapped_functionINS0_4lessIvEEbEEEE10hipError_tPvRmT1_T2_T3_mmT4_T5_P12ihipStream_tbEUlRKiE_EESK_SO_SP_mSQ_ST_bEUlT_E_NS1_11comp_targetILNS1_3genE3ELNS1_11target_archE908ELNS1_3gpuE7ELNS1_3repE0EEENS1_30default_config_static_selectorELNS0_4arch9wavefront6targetE1EEEvSN_
		.amdhsa_group_segment_fixed_size 0
		.amdhsa_private_segment_fixed_size 0
		.amdhsa_kernarg_size 56
		.amdhsa_user_sgpr_count 6
		.amdhsa_user_sgpr_private_segment_buffer 1
		.amdhsa_user_sgpr_dispatch_ptr 0
		.amdhsa_user_sgpr_queue_ptr 0
		.amdhsa_user_sgpr_kernarg_segment_ptr 1
		.amdhsa_user_sgpr_dispatch_id 0
		.amdhsa_user_sgpr_flat_scratch_init 0
		.amdhsa_user_sgpr_kernarg_preload_length 0
		.amdhsa_user_sgpr_kernarg_preload_offset 0
		.amdhsa_user_sgpr_private_segment_size 0
		.amdhsa_uses_dynamic_stack 0
		.amdhsa_system_sgpr_private_segment_wavefront_offset 0
		.amdhsa_system_sgpr_workgroup_id_x 1
		.amdhsa_system_sgpr_workgroup_id_y 0
		.amdhsa_system_sgpr_workgroup_id_z 0
		.amdhsa_system_sgpr_workgroup_info 0
		.amdhsa_system_vgpr_workitem_id 0
		.amdhsa_next_free_vgpr 1
		.amdhsa_next_free_sgpr 0
		.amdhsa_accum_offset 4
		.amdhsa_reserve_vcc 0
		.amdhsa_reserve_flat_scratch 0
		.amdhsa_float_round_mode_32 0
		.amdhsa_float_round_mode_16_64 0
		.amdhsa_float_denorm_mode_32 3
		.amdhsa_float_denorm_mode_16_64 3
		.amdhsa_dx10_clamp 1
		.amdhsa_ieee_mode 1
		.amdhsa_fp16_overflow 0
		.amdhsa_tg_split 0
		.amdhsa_exception_fp_ieee_invalid_op 0
		.amdhsa_exception_fp_denorm_src 0
		.amdhsa_exception_fp_ieee_div_zero 0
		.amdhsa_exception_fp_ieee_overflow 0
		.amdhsa_exception_fp_ieee_underflow 0
		.amdhsa_exception_fp_ieee_inexact 0
		.amdhsa_exception_int_div_zero 0
	.end_amdhsa_kernel
	.section	.text._ZN7rocprim17ROCPRIM_400000_NS6detail17trampoline_kernelINS0_14default_configENS1_27lower_bound_config_selectorIiiEEZNS1_14transform_implILb0ES3_S5_N6thrust23THRUST_200600_302600_NS6detail15normal_iteratorINS8_10device_ptrIiEEEESD_ZNS1_13binary_searchIS3_S5_SD_SD_SD_NS1_21lower_bound_search_opENS9_16wrapped_functionINS0_4lessIvEEbEEEE10hipError_tPvRmT1_T2_T3_mmT4_T5_P12ihipStream_tbEUlRKiE_EESK_SO_SP_mSQ_ST_bEUlT_E_NS1_11comp_targetILNS1_3genE3ELNS1_11target_archE908ELNS1_3gpuE7ELNS1_3repE0EEENS1_30default_config_static_selectorELNS0_4arch9wavefront6targetE1EEEvSN_,"axG",@progbits,_ZN7rocprim17ROCPRIM_400000_NS6detail17trampoline_kernelINS0_14default_configENS1_27lower_bound_config_selectorIiiEEZNS1_14transform_implILb0ES3_S5_N6thrust23THRUST_200600_302600_NS6detail15normal_iteratorINS8_10device_ptrIiEEEESD_ZNS1_13binary_searchIS3_S5_SD_SD_SD_NS1_21lower_bound_search_opENS9_16wrapped_functionINS0_4lessIvEEbEEEE10hipError_tPvRmT1_T2_T3_mmT4_T5_P12ihipStream_tbEUlRKiE_EESK_SO_SP_mSQ_ST_bEUlT_E_NS1_11comp_targetILNS1_3genE3ELNS1_11target_archE908ELNS1_3gpuE7ELNS1_3repE0EEENS1_30default_config_static_selectorELNS0_4arch9wavefront6targetE1EEEvSN_,comdat
.Lfunc_end314:
	.size	_ZN7rocprim17ROCPRIM_400000_NS6detail17trampoline_kernelINS0_14default_configENS1_27lower_bound_config_selectorIiiEEZNS1_14transform_implILb0ES3_S5_N6thrust23THRUST_200600_302600_NS6detail15normal_iteratorINS8_10device_ptrIiEEEESD_ZNS1_13binary_searchIS3_S5_SD_SD_SD_NS1_21lower_bound_search_opENS9_16wrapped_functionINS0_4lessIvEEbEEEE10hipError_tPvRmT1_T2_T3_mmT4_T5_P12ihipStream_tbEUlRKiE_EESK_SO_SP_mSQ_ST_bEUlT_E_NS1_11comp_targetILNS1_3genE3ELNS1_11target_archE908ELNS1_3gpuE7ELNS1_3repE0EEENS1_30default_config_static_selectorELNS0_4arch9wavefront6targetE1EEEvSN_, .Lfunc_end314-_ZN7rocprim17ROCPRIM_400000_NS6detail17trampoline_kernelINS0_14default_configENS1_27lower_bound_config_selectorIiiEEZNS1_14transform_implILb0ES3_S5_N6thrust23THRUST_200600_302600_NS6detail15normal_iteratorINS8_10device_ptrIiEEEESD_ZNS1_13binary_searchIS3_S5_SD_SD_SD_NS1_21lower_bound_search_opENS9_16wrapped_functionINS0_4lessIvEEbEEEE10hipError_tPvRmT1_T2_T3_mmT4_T5_P12ihipStream_tbEUlRKiE_EESK_SO_SP_mSQ_ST_bEUlT_E_NS1_11comp_targetILNS1_3genE3ELNS1_11target_archE908ELNS1_3gpuE7ELNS1_3repE0EEENS1_30default_config_static_selectorELNS0_4arch9wavefront6targetE1EEEvSN_
                                        ; -- End function
	.section	.AMDGPU.csdata,"",@progbits
; Kernel info:
; codeLenInByte = 0
; NumSgprs: 4
; NumVgprs: 0
; NumAgprs: 0
; TotalNumVgprs: 0
; ScratchSize: 0
; MemoryBound: 0
; FloatMode: 240
; IeeeMode: 1
; LDSByteSize: 0 bytes/workgroup (compile time only)
; SGPRBlocks: 0
; VGPRBlocks: 0
; NumSGPRsForWavesPerEU: 4
; NumVGPRsForWavesPerEU: 1
; AccumOffset: 4
; Occupancy: 8
; WaveLimiterHint : 0
; COMPUTE_PGM_RSRC2:SCRATCH_EN: 0
; COMPUTE_PGM_RSRC2:USER_SGPR: 6
; COMPUTE_PGM_RSRC2:TRAP_HANDLER: 0
; COMPUTE_PGM_RSRC2:TGID_X_EN: 1
; COMPUTE_PGM_RSRC2:TGID_Y_EN: 0
; COMPUTE_PGM_RSRC2:TGID_Z_EN: 0
; COMPUTE_PGM_RSRC2:TIDIG_COMP_CNT: 0
; COMPUTE_PGM_RSRC3_GFX90A:ACCUM_OFFSET: 0
; COMPUTE_PGM_RSRC3_GFX90A:TG_SPLIT: 0
	.section	.text._ZN7rocprim17ROCPRIM_400000_NS6detail17trampoline_kernelINS0_14default_configENS1_27lower_bound_config_selectorIiiEEZNS1_14transform_implILb0ES3_S5_N6thrust23THRUST_200600_302600_NS6detail15normal_iteratorINS8_10device_ptrIiEEEESD_ZNS1_13binary_searchIS3_S5_SD_SD_SD_NS1_21lower_bound_search_opENS9_16wrapped_functionINS0_4lessIvEEbEEEE10hipError_tPvRmT1_T2_T3_mmT4_T5_P12ihipStream_tbEUlRKiE_EESK_SO_SP_mSQ_ST_bEUlT_E_NS1_11comp_targetILNS1_3genE2ELNS1_11target_archE906ELNS1_3gpuE6ELNS1_3repE0EEENS1_30default_config_static_selectorELNS0_4arch9wavefront6targetE1EEEvSN_,"axG",@progbits,_ZN7rocprim17ROCPRIM_400000_NS6detail17trampoline_kernelINS0_14default_configENS1_27lower_bound_config_selectorIiiEEZNS1_14transform_implILb0ES3_S5_N6thrust23THRUST_200600_302600_NS6detail15normal_iteratorINS8_10device_ptrIiEEEESD_ZNS1_13binary_searchIS3_S5_SD_SD_SD_NS1_21lower_bound_search_opENS9_16wrapped_functionINS0_4lessIvEEbEEEE10hipError_tPvRmT1_T2_T3_mmT4_T5_P12ihipStream_tbEUlRKiE_EESK_SO_SP_mSQ_ST_bEUlT_E_NS1_11comp_targetILNS1_3genE2ELNS1_11target_archE906ELNS1_3gpuE6ELNS1_3repE0EEENS1_30default_config_static_selectorELNS0_4arch9wavefront6targetE1EEEvSN_,comdat
	.protected	_ZN7rocprim17ROCPRIM_400000_NS6detail17trampoline_kernelINS0_14default_configENS1_27lower_bound_config_selectorIiiEEZNS1_14transform_implILb0ES3_S5_N6thrust23THRUST_200600_302600_NS6detail15normal_iteratorINS8_10device_ptrIiEEEESD_ZNS1_13binary_searchIS3_S5_SD_SD_SD_NS1_21lower_bound_search_opENS9_16wrapped_functionINS0_4lessIvEEbEEEE10hipError_tPvRmT1_T2_T3_mmT4_T5_P12ihipStream_tbEUlRKiE_EESK_SO_SP_mSQ_ST_bEUlT_E_NS1_11comp_targetILNS1_3genE2ELNS1_11target_archE906ELNS1_3gpuE6ELNS1_3repE0EEENS1_30default_config_static_selectorELNS0_4arch9wavefront6targetE1EEEvSN_ ; -- Begin function _ZN7rocprim17ROCPRIM_400000_NS6detail17trampoline_kernelINS0_14default_configENS1_27lower_bound_config_selectorIiiEEZNS1_14transform_implILb0ES3_S5_N6thrust23THRUST_200600_302600_NS6detail15normal_iteratorINS8_10device_ptrIiEEEESD_ZNS1_13binary_searchIS3_S5_SD_SD_SD_NS1_21lower_bound_search_opENS9_16wrapped_functionINS0_4lessIvEEbEEEE10hipError_tPvRmT1_T2_T3_mmT4_T5_P12ihipStream_tbEUlRKiE_EESK_SO_SP_mSQ_ST_bEUlT_E_NS1_11comp_targetILNS1_3genE2ELNS1_11target_archE906ELNS1_3gpuE6ELNS1_3repE0EEENS1_30default_config_static_selectorELNS0_4arch9wavefront6targetE1EEEvSN_
	.globl	_ZN7rocprim17ROCPRIM_400000_NS6detail17trampoline_kernelINS0_14default_configENS1_27lower_bound_config_selectorIiiEEZNS1_14transform_implILb0ES3_S5_N6thrust23THRUST_200600_302600_NS6detail15normal_iteratorINS8_10device_ptrIiEEEESD_ZNS1_13binary_searchIS3_S5_SD_SD_SD_NS1_21lower_bound_search_opENS9_16wrapped_functionINS0_4lessIvEEbEEEE10hipError_tPvRmT1_T2_T3_mmT4_T5_P12ihipStream_tbEUlRKiE_EESK_SO_SP_mSQ_ST_bEUlT_E_NS1_11comp_targetILNS1_3genE2ELNS1_11target_archE906ELNS1_3gpuE6ELNS1_3repE0EEENS1_30default_config_static_selectorELNS0_4arch9wavefront6targetE1EEEvSN_
	.p2align	8
	.type	_ZN7rocprim17ROCPRIM_400000_NS6detail17trampoline_kernelINS0_14default_configENS1_27lower_bound_config_selectorIiiEEZNS1_14transform_implILb0ES3_S5_N6thrust23THRUST_200600_302600_NS6detail15normal_iteratorINS8_10device_ptrIiEEEESD_ZNS1_13binary_searchIS3_S5_SD_SD_SD_NS1_21lower_bound_search_opENS9_16wrapped_functionINS0_4lessIvEEbEEEE10hipError_tPvRmT1_T2_T3_mmT4_T5_P12ihipStream_tbEUlRKiE_EESK_SO_SP_mSQ_ST_bEUlT_E_NS1_11comp_targetILNS1_3genE2ELNS1_11target_archE906ELNS1_3gpuE6ELNS1_3repE0EEENS1_30default_config_static_selectorELNS0_4arch9wavefront6targetE1EEEvSN_,@function
_ZN7rocprim17ROCPRIM_400000_NS6detail17trampoline_kernelINS0_14default_configENS1_27lower_bound_config_selectorIiiEEZNS1_14transform_implILb0ES3_S5_N6thrust23THRUST_200600_302600_NS6detail15normal_iteratorINS8_10device_ptrIiEEEESD_ZNS1_13binary_searchIS3_S5_SD_SD_SD_NS1_21lower_bound_search_opENS9_16wrapped_functionINS0_4lessIvEEbEEEE10hipError_tPvRmT1_T2_T3_mmT4_T5_P12ihipStream_tbEUlRKiE_EESK_SO_SP_mSQ_ST_bEUlT_E_NS1_11comp_targetILNS1_3genE2ELNS1_11target_archE906ELNS1_3gpuE6ELNS1_3repE0EEENS1_30default_config_static_selectorELNS0_4arch9wavefront6targetE1EEEvSN_: ; @_ZN7rocprim17ROCPRIM_400000_NS6detail17trampoline_kernelINS0_14default_configENS1_27lower_bound_config_selectorIiiEEZNS1_14transform_implILb0ES3_S5_N6thrust23THRUST_200600_302600_NS6detail15normal_iteratorINS8_10device_ptrIiEEEESD_ZNS1_13binary_searchIS3_S5_SD_SD_SD_NS1_21lower_bound_search_opENS9_16wrapped_functionINS0_4lessIvEEbEEEE10hipError_tPvRmT1_T2_T3_mmT4_T5_P12ihipStream_tbEUlRKiE_EESK_SO_SP_mSQ_ST_bEUlT_E_NS1_11comp_targetILNS1_3genE2ELNS1_11target_archE906ELNS1_3gpuE6ELNS1_3repE0EEENS1_30default_config_static_selectorELNS0_4arch9wavefront6targetE1EEEvSN_
; %bb.0:
	.section	.rodata,"a",@progbits
	.p2align	6, 0x0
	.amdhsa_kernel _ZN7rocprim17ROCPRIM_400000_NS6detail17trampoline_kernelINS0_14default_configENS1_27lower_bound_config_selectorIiiEEZNS1_14transform_implILb0ES3_S5_N6thrust23THRUST_200600_302600_NS6detail15normal_iteratorINS8_10device_ptrIiEEEESD_ZNS1_13binary_searchIS3_S5_SD_SD_SD_NS1_21lower_bound_search_opENS9_16wrapped_functionINS0_4lessIvEEbEEEE10hipError_tPvRmT1_T2_T3_mmT4_T5_P12ihipStream_tbEUlRKiE_EESK_SO_SP_mSQ_ST_bEUlT_E_NS1_11comp_targetILNS1_3genE2ELNS1_11target_archE906ELNS1_3gpuE6ELNS1_3repE0EEENS1_30default_config_static_selectorELNS0_4arch9wavefront6targetE1EEEvSN_
		.amdhsa_group_segment_fixed_size 0
		.amdhsa_private_segment_fixed_size 0
		.amdhsa_kernarg_size 56
		.amdhsa_user_sgpr_count 6
		.amdhsa_user_sgpr_private_segment_buffer 1
		.amdhsa_user_sgpr_dispatch_ptr 0
		.amdhsa_user_sgpr_queue_ptr 0
		.amdhsa_user_sgpr_kernarg_segment_ptr 1
		.amdhsa_user_sgpr_dispatch_id 0
		.amdhsa_user_sgpr_flat_scratch_init 0
		.amdhsa_user_sgpr_kernarg_preload_length 0
		.amdhsa_user_sgpr_kernarg_preload_offset 0
		.amdhsa_user_sgpr_private_segment_size 0
		.amdhsa_uses_dynamic_stack 0
		.amdhsa_system_sgpr_private_segment_wavefront_offset 0
		.amdhsa_system_sgpr_workgroup_id_x 1
		.amdhsa_system_sgpr_workgroup_id_y 0
		.amdhsa_system_sgpr_workgroup_id_z 0
		.amdhsa_system_sgpr_workgroup_info 0
		.amdhsa_system_vgpr_workitem_id 0
		.amdhsa_next_free_vgpr 1
		.amdhsa_next_free_sgpr 0
		.amdhsa_accum_offset 4
		.amdhsa_reserve_vcc 0
		.amdhsa_reserve_flat_scratch 0
		.amdhsa_float_round_mode_32 0
		.amdhsa_float_round_mode_16_64 0
		.amdhsa_float_denorm_mode_32 3
		.amdhsa_float_denorm_mode_16_64 3
		.amdhsa_dx10_clamp 1
		.amdhsa_ieee_mode 1
		.amdhsa_fp16_overflow 0
		.amdhsa_tg_split 0
		.amdhsa_exception_fp_ieee_invalid_op 0
		.amdhsa_exception_fp_denorm_src 0
		.amdhsa_exception_fp_ieee_div_zero 0
		.amdhsa_exception_fp_ieee_overflow 0
		.amdhsa_exception_fp_ieee_underflow 0
		.amdhsa_exception_fp_ieee_inexact 0
		.amdhsa_exception_int_div_zero 0
	.end_amdhsa_kernel
	.section	.text._ZN7rocprim17ROCPRIM_400000_NS6detail17trampoline_kernelINS0_14default_configENS1_27lower_bound_config_selectorIiiEEZNS1_14transform_implILb0ES3_S5_N6thrust23THRUST_200600_302600_NS6detail15normal_iteratorINS8_10device_ptrIiEEEESD_ZNS1_13binary_searchIS3_S5_SD_SD_SD_NS1_21lower_bound_search_opENS9_16wrapped_functionINS0_4lessIvEEbEEEE10hipError_tPvRmT1_T2_T3_mmT4_T5_P12ihipStream_tbEUlRKiE_EESK_SO_SP_mSQ_ST_bEUlT_E_NS1_11comp_targetILNS1_3genE2ELNS1_11target_archE906ELNS1_3gpuE6ELNS1_3repE0EEENS1_30default_config_static_selectorELNS0_4arch9wavefront6targetE1EEEvSN_,"axG",@progbits,_ZN7rocprim17ROCPRIM_400000_NS6detail17trampoline_kernelINS0_14default_configENS1_27lower_bound_config_selectorIiiEEZNS1_14transform_implILb0ES3_S5_N6thrust23THRUST_200600_302600_NS6detail15normal_iteratorINS8_10device_ptrIiEEEESD_ZNS1_13binary_searchIS3_S5_SD_SD_SD_NS1_21lower_bound_search_opENS9_16wrapped_functionINS0_4lessIvEEbEEEE10hipError_tPvRmT1_T2_T3_mmT4_T5_P12ihipStream_tbEUlRKiE_EESK_SO_SP_mSQ_ST_bEUlT_E_NS1_11comp_targetILNS1_3genE2ELNS1_11target_archE906ELNS1_3gpuE6ELNS1_3repE0EEENS1_30default_config_static_selectorELNS0_4arch9wavefront6targetE1EEEvSN_,comdat
.Lfunc_end315:
	.size	_ZN7rocprim17ROCPRIM_400000_NS6detail17trampoline_kernelINS0_14default_configENS1_27lower_bound_config_selectorIiiEEZNS1_14transform_implILb0ES3_S5_N6thrust23THRUST_200600_302600_NS6detail15normal_iteratorINS8_10device_ptrIiEEEESD_ZNS1_13binary_searchIS3_S5_SD_SD_SD_NS1_21lower_bound_search_opENS9_16wrapped_functionINS0_4lessIvEEbEEEE10hipError_tPvRmT1_T2_T3_mmT4_T5_P12ihipStream_tbEUlRKiE_EESK_SO_SP_mSQ_ST_bEUlT_E_NS1_11comp_targetILNS1_3genE2ELNS1_11target_archE906ELNS1_3gpuE6ELNS1_3repE0EEENS1_30default_config_static_selectorELNS0_4arch9wavefront6targetE1EEEvSN_, .Lfunc_end315-_ZN7rocprim17ROCPRIM_400000_NS6detail17trampoline_kernelINS0_14default_configENS1_27lower_bound_config_selectorIiiEEZNS1_14transform_implILb0ES3_S5_N6thrust23THRUST_200600_302600_NS6detail15normal_iteratorINS8_10device_ptrIiEEEESD_ZNS1_13binary_searchIS3_S5_SD_SD_SD_NS1_21lower_bound_search_opENS9_16wrapped_functionINS0_4lessIvEEbEEEE10hipError_tPvRmT1_T2_T3_mmT4_T5_P12ihipStream_tbEUlRKiE_EESK_SO_SP_mSQ_ST_bEUlT_E_NS1_11comp_targetILNS1_3genE2ELNS1_11target_archE906ELNS1_3gpuE6ELNS1_3repE0EEENS1_30default_config_static_selectorELNS0_4arch9wavefront6targetE1EEEvSN_
                                        ; -- End function
	.section	.AMDGPU.csdata,"",@progbits
; Kernel info:
; codeLenInByte = 0
; NumSgprs: 4
; NumVgprs: 0
; NumAgprs: 0
; TotalNumVgprs: 0
; ScratchSize: 0
; MemoryBound: 0
; FloatMode: 240
; IeeeMode: 1
; LDSByteSize: 0 bytes/workgroup (compile time only)
; SGPRBlocks: 0
; VGPRBlocks: 0
; NumSGPRsForWavesPerEU: 4
; NumVGPRsForWavesPerEU: 1
; AccumOffset: 4
; Occupancy: 8
; WaveLimiterHint : 0
; COMPUTE_PGM_RSRC2:SCRATCH_EN: 0
; COMPUTE_PGM_RSRC2:USER_SGPR: 6
; COMPUTE_PGM_RSRC2:TRAP_HANDLER: 0
; COMPUTE_PGM_RSRC2:TGID_X_EN: 1
; COMPUTE_PGM_RSRC2:TGID_Y_EN: 0
; COMPUTE_PGM_RSRC2:TGID_Z_EN: 0
; COMPUTE_PGM_RSRC2:TIDIG_COMP_CNT: 0
; COMPUTE_PGM_RSRC3_GFX90A:ACCUM_OFFSET: 0
; COMPUTE_PGM_RSRC3_GFX90A:TG_SPLIT: 0
	.section	.text._ZN7rocprim17ROCPRIM_400000_NS6detail17trampoline_kernelINS0_14default_configENS1_27lower_bound_config_selectorIiiEEZNS1_14transform_implILb0ES3_S5_N6thrust23THRUST_200600_302600_NS6detail15normal_iteratorINS8_10device_ptrIiEEEESD_ZNS1_13binary_searchIS3_S5_SD_SD_SD_NS1_21lower_bound_search_opENS9_16wrapped_functionINS0_4lessIvEEbEEEE10hipError_tPvRmT1_T2_T3_mmT4_T5_P12ihipStream_tbEUlRKiE_EESK_SO_SP_mSQ_ST_bEUlT_E_NS1_11comp_targetILNS1_3genE10ELNS1_11target_archE1201ELNS1_3gpuE5ELNS1_3repE0EEENS1_30default_config_static_selectorELNS0_4arch9wavefront6targetE1EEEvSN_,"axG",@progbits,_ZN7rocprim17ROCPRIM_400000_NS6detail17trampoline_kernelINS0_14default_configENS1_27lower_bound_config_selectorIiiEEZNS1_14transform_implILb0ES3_S5_N6thrust23THRUST_200600_302600_NS6detail15normal_iteratorINS8_10device_ptrIiEEEESD_ZNS1_13binary_searchIS3_S5_SD_SD_SD_NS1_21lower_bound_search_opENS9_16wrapped_functionINS0_4lessIvEEbEEEE10hipError_tPvRmT1_T2_T3_mmT4_T5_P12ihipStream_tbEUlRKiE_EESK_SO_SP_mSQ_ST_bEUlT_E_NS1_11comp_targetILNS1_3genE10ELNS1_11target_archE1201ELNS1_3gpuE5ELNS1_3repE0EEENS1_30default_config_static_selectorELNS0_4arch9wavefront6targetE1EEEvSN_,comdat
	.protected	_ZN7rocprim17ROCPRIM_400000_NS6detail17trampoline_kernelINS0_14default_configENS1_27lower_bound_config_selectorIiiEEZNS1_14transform_implILb0ES3_S5_N6thrust23THRUST_200600_302600_NS6detail15normal_iteratorINS8_10device_ptrIiEEEESD_ZNS1_13binary_searchIS3_S5_SD_SD_SD_NS1_21lower_bound_search_opENS9_16wrapped_functionINS0_4lessIvEEbEEEE10hipError_tPvRmT1_T2_T3_mmT4_T5_P12ihipStream_tbEUlRKiE_EESK_SO_SP_mSQ_ST_bEUlT_E_NS1_11comp_targetILNS1_3genE10ELNS1_11target_archE1201ELNS1_3gpuE5ELNS1_3repE0EEENS1_30default_config_static_selectorELNS0_4arch9wavefront6targetE1EEEvSN_ ; -- Begin function _ZN7rocprim17ROCPRIM_400000_NS6detail17trampoline_kernelINS0_14default_configENS1_27lower_bound_config_selectorIiiEEZNS1_14transform_implILb0ES3_S5_N6thrust23THRUST_200600_302600_NS6detail15normal_iteratorINS8_10device_ptrIiEEEESD_ZNS1_13binary_searchIS3_S5_SD_SD_SD_NS1_21lower_bound_search_opENS9_16wrapped_functionINS0_4lessIvEEbEEEE10hipError_tPvRmT1_T2_T3_mmT4_T5_P12ihipStream_tbEUlRKiE_EESK_SO_SP_mSQ_ST_bEUlT_E_NS1_11comp_targetILNS1_3genE10ELNS1_11target_archE1201ELNS1_3gpuE5ELNS1_3repE0EEENS1_30default_config_static_selectorELNS0_4arch9wavefront6targetE1EEEvSN_
	.globl	_ZN7rocprim17ROCPRIM_400000_NS6detail17trampoline_kernelINS0_14default_configENS1_27lower_bound_config_selectorIiiEEZNS1_14transform_implILb0ES3_S5_N6thrust23THRUST_200600_302600_NS6detail15normal_iteratorINS8_10device_ptrIiEEEESD_ZNS1_13binary_searchIS3_S5_SD_SD_SD_NS1_21lower_bound_search_opENS9_16wrapped_functionINS0_4lessIvEEbEEEE10hipError_tPvRmT1_T2_T3_mmT4_T5_P12ihipStream_tbEUlRKiE_EESK_SO_SP_mSQ_ST_bEUlT_E_NS1_11comp_targetILNS1_3genE10ELNS1_11target_archE1201ELNS1_3gpuE5ELNS1_3repE0EEENS1_30default_config_static_selectorELNS0_4arch9wavefront6targetE1EEEvSN_
	.p2align	8
	.type	_ZN7rocprim17ROCPRIM_400000_NS6detail17trampoline_kernelINS0_14default_configENS1_27lower_bound_config_selectorIiiEEZNS1_14transform_implILb0ES3_S5_N6thrust23THRUST_200600_302600_NS6detail15normal_iteratorINS8_10device_ptrIiEEEESD_ZNS1_13binary_searchIS3_S5_SD_SD_SD_NS1_21lower_bound_search_opENS9_16wrapped_functionINS0_4lessIvEEbEEEE10hipError_tPvRmT1_T2_T3_mmT4_T5_P12ihipStream_tbEUlRKiE_EESK_SO_SP_mSQ_ST_bEUlT_E_NS1_11comp_targetILNS1_3genE10ELNS1_11target_archE1201ELNS1_3gpuE5ELNS1_3repE0EEENS1_30default_config_static_selectorELNS0_4arch9wavefront6targetE1EEEvSN_,@function
_ZN7rocprim17ROCPRIM_400000_NS6detail17trampoline_kernelINS0_14default_configENS1_27lower_bound_config_selectorIiiEEZNS1_14transform_implILb0ES3_S5_N6thrust23THRUST_200600_302600_NS6detail15normal_iteratorINS8_10device_ptrIiEEEESD_ZNS1_13binary_searchIS3_S5_SD_SD_SD_NS1_21lower_bound_search_opENS9_16wrapped_functionINS0_4lessIvEEbEEEE10hipError_tPvRmT1_T2_T3_mmT4_T5_P12ihipStream_tbEUlRKiE_EESK_SO_SP_mSQ_ST_bEUlT_E_NS1_11comp_targetILNS1_3genE10ELNS1_11target_archE1201ELNS1_3gpuE5ELNS1_3repE0EEENS1_30default_config_static_selectorELNS0_4arch9wavefront6targetE1EEEvSN_: ; @_ZN7rocprim17ROCPRIM_400000_NS6detail17trampoline_kernelINS0_14default_configENS1_27lower_bound_config_selectorIiiEEZNS1_14transform_implILb0ES3_S5_N6thrust23THRUST_200600_302600_NS6detail15normal_iteratorINS8_10device_ptrIiEEEESD_ZNS1_13binary_searchIS3_S5_SD_SD_SD_NS1_21lower_bound_search_opENS9_16wrapped_functionINS0_4lessIvEEbEEEE10hipError_tPvRmT1_T2_T3_mmT4_T5_P12ihipStream_tbEUlRKiE_EESK_SO_SP_mSQ_ST_bEUlT_E_NS1_11comp_targetILNS1_3genE10ELNS1_11target_archE1201ELNS1_3gpuE5ELNS1_3repE0EEENS1_30default_config_static_selectorELNS0_4arch9wavefront6targetE1EEEvSN_
; %bb.0:
	.section	.rodata,"a",@progbits
	.p2align	6, 0x0
	.amdhsa_kernel _ZN7rocprim17ROCPRIM_400000_NS6detail17trampoline_kernelINS0_14default_configENS1_27lower_bound_config_selectorIiiEEZNS1_14transform_implILb0ES3_S5_N6thrust23THRUST_200600_302600_NS6detail15normal_iteratorINS8_10device_ptrIiEEEESD_ZNS1_13binary_searchIS3_S5_SD_SD_SD_NS1_21lower_bound_search_opENS9_16wrapped_functionINS0_4lessIvEEbEEEE10hipError_tPvRmT1_T2_T3_mmT4_T5_P12ihipStream_tbEUlRKiE_EESK_SO_SP_mSQ_ST_bEUlT_E_NS1_11comp_targetILNS1_3genE10ELNS1_11target_archE1201ELNS1_3gpuE5ELNS1_3repE0EEENS1_30default_config_static_selectorELNS0_4arch9wavefront6targetE1EEEvSN_
		.amdhsa_group_segment_fixed_size 0
		.amdhsa_private_segment_fixed_size 0
		.amdhsa_kernarg_size 56
		.amdhsa_user_sgpr_count 6
		.amdhsa_user_sgpr_private_segment_buffer 1
		.amdhsa_user_sgpr_dispatch_ptr 0
		.amdhsa_user_sgpr_queue_ptr 0
		.amdhsa_user_sgpr_kernarg_segment_ptr 1
		.amdhsa_user_sgpr_dispatch_id 0
		.amdhsa_user_sgpr_flat_scratch_init 0
		.amdhsa_user_sgpr_kernarg_preload_length 0
		.amdhsa_user_sgpr_kernarg_preload_offset 0
		.amdhsa_user_sgpr_private_segment_size 0
		.amdhsa_uses_dynamic_stack 0
		.amdhsa_system_sgpr_private_segment_wavefront_offset 0
		.amdhsa_system_sgpr_workgroup_id_x 1
		.amdhsa_system_sgpr_workgroup_id_y 0
		.amdhsa_system_sgpr_workgroup_id_z 0
		.amdhsa_system_sgpr_workgroup_info 0
		.amdhsa_system_vgpr_workitem_id 0
		.amdhsa_next_free_vgpr 1
		.amdhsa_next_free_sgpr 0
		.amdhsa_accum_offset 4
		.amdhsa_reserve_vcc 0
		.amdhsa_reserve_flat_scratch 0
		.amdhsa_float_round_mode_32 0
		.amdhsa_float_round_mode_16_64 0
		.amdhsa_float_denorm_mode_32 3
		.amdhsa_float_denorm_mode_16_64 3
		.amdhsa_dx10_clamp 1
		.amdhsa_ieee_mode 1
		.amdhsa_fp16_overflow 0
		.amdhsa_tg_split 0
		.amdhsa_exception_fp_ieee_invalid_op 0
		.amdhsa_exception_fp_denorm_src 0
		.amdhsa_exception_fp_ieee_div_zero 0
		.amdhsa_exception_fp_ieee_overflow 0
		.amdhsa_exception_fp_ieee_underflow 0
		.amdhsa_exception_fp_ieee_inexact 0
		.amdhsa_exception_int_div_zero 0
	.end_amdhsa_kernel
	.section	.text._ZN7rocprim17ROCPRIM_400000_NS6detail17trampoline_kernelINS0_14default_configENS1_27lower_bound_config_selectorIiiEEZNS1_14transform_implILb0ES3_S5_N6thrust23THRUST_200600_302600_NS6detail15normal_iteratorINS8_10device_ptrIiEEEESD_ZNS1_13binary_searchIS3_S5_SD_SD_SD_NS1_21lower_bound_search_opENS9_16wrapped_functionINS0_4lessIvEEbEEEE10hipError_tPvRmT1_T2_T3_mmT4_T5_P12ihipStream_tbEUlRKiE_EESK_SO_SP_mSQ_ST_bEUlT_E_NS1_11comp_targetILNS1_3genE10ELNS1_11target_archE1201ELNS1_3gpuE5ELNS1_3repE0EEENS1_30default_config_static_selectorELNS0_4arch9wavefront6targetE1EEEvSN_,"axG",@progbits,_ZN7rocprim17ROCPRIM_400000_NS6detail17trampoline_kernelINS0_14default_configENS1_27lower_bound_config_selectorIiiEEZNS1_14transform_implILb0ES3_S5_N6thrust23THRUST_200600_302600_NS6detail15normal_iteratorINS8_10device_ptrIiEEEESD_ZNS1_13binary_searchIS3_S5_SD_SD_SD_NS1_21lower_bound_search_opENS9_16wrapped_functionINS0_4lessIvEEbEEEE10hipError_tPvRmT1_T2_T3_mmT4_T5_P12ihipStream_tbEUlRKiE_EESK_SO_SP_mSQ_ST_bEUlT_E_NS1_11comp_targetILNS1_3genE10ELNS1_11target_archE1201ELNS1_3gpuE5ELNS1_3repE0EEENS1_30default_config_static_selectorELNS0_4arch9wavefront6targetE1EEEvSN_,comdat
.Lfunc_end316:
	.size	_ZN7rocprim17ROCPRIM_400000_NS6detail17trampoline_kernelINS0_14default_configENS1_27lower_bound_config_selectorIiiEEZNS1_14transform_implILb0ES3_S5_N6thrust23THRUST_200600_302600_NS6detail15normal_iteratorINS8_10device_ptrIiEEEESD_ZNS1_13binary_searchIS3_S5_SD_SD_SD_NS1_21lower_bound_search_opENS9_16wrapped_functionINS0_4lessIvEEbEEEE10hipError_tPvRmT1_T2_T3_mmT4_T5_P12ihipStream_tbEUlRKiE_EESK_SO_SP_mSQ_ST_bEUlT_E_NS1_11comp_targetILNS1_3genE10ELNS1_11target_archE1201ELNS1_3gpuE5ELNS1_3repE0EEENS1_30default_config_static_selectorELNS0_4arch9wavefront6targetE1EEEvSN_, .Lfunc_end316-_ZN7rocprim17ROCPRIM_400000_NS6detail17trampoline_kernelINS0_14default_configENS1_27lower_bound_config_selectorIiiEEZNS1_14transform_implILb0ES3_S5_N6thrust23THRUST_200600_302600_NS6detail15normal_iteratorINS8_10device_ptrIiEEEESD_ZNS1_13binary_searchIS3_S5_SD_SD_SD_NS1_21lower_bound_search_opENS9_16wrapped_functionINS0_4lessIvEEbEEEE10hipError_tPvRmT1_T2_T3_mmT4_T5_P12ihipStream_tbEUlRKiE_EESK_SO_SP_mSQ_ST_bEUlT_E_NS1_11comp_targetILNS1_3genE10ELNS1_11target_archE1201ELNS1_3gpuE5ELNS1_3repE0EEENS1_30default_config_static_selectorELNS0_4arch9wavefront6targetE1EEEvSN_
                                        ; -- End function
	.section	.AMDGPU.csdata,"",@progbits
; Kernel info:
; codeLenInByte = 0
; NumSgprs: 4
; NumVgprs: 0
; NumAgprs: 0
; TotalNumVgprs: 0
; ScratchSize: 0
; MemoryBound: 0
; FloatMode: 240
; IeeeMode: 1
; LDSByteSize: 0 bytes/workgroup (compile time only)
; SGPRBlocks: 0
; VGPRBlocks: 0
; NumSGPRsForWavesPerEU: 4
; NumVGPRsForWavesPerEU: 1
; AccumOffset: 4
; Occupancy: 8
; WaveLimiterHint : 0
; COMPUTE_PGM_RSRC2:SCRATCH_EN: 0
; COMPUTE_PGM_RSRC2:USER_SGPR: 6
; COMPUTE_PGM_RSRC2:TRAP_HANDLER: 0
; COMPUTE_PGM_RSRC2:TGID_X_EN: 1
; COMPUTE_PGM_RSRC2:TGID_Y_EN: 0
; COMPUTE_PGM_RSRC2:TGID_Z_EN: 0
; COMPUTE_PGM_RSRC2:TIDIG_COMP_CNT: 0
; COMPUTE_PGM_RSRC3_GFX90A:ACCUM_OFFSET: 0
; COMPUTE_PGM_RSRC3_GFX90A:TG_SPLIT: 0
	.section	.text._ZN7rocprim17ROCPRIM_400000_NS6detail17trampoline_kernelINS0_14default_configENS1_27lower_bound_config_selectorIiiEEZNS1_14transform_implILb0ES3_S5_N6thrust23THRUST_200600_302600_NS6detail15normal_iteratorINS8_10device_ptrIiEEEESD_ZNS1_13binary_searchIS3_S5_SD_SD_SD_NS1_21lower_bound_search_opENS9_16wrapped_functionINS0_4lessIvEEbEEEE10hipError_tPvRmT1_T2_T3_mmT4_T5_P12ihipStream_tbEUlRKiE_EESK_SO_SP_mSQ_ST_bEUlT_E_NS1_11comp_targetILNS1_3genE10ELNS1_11target_archE1200ELNS1_3gpuE4ELNS1_3repE0EEENS1_30default_config_static_selectorELNS0_4arch9wavefront6targetE1EEEvSN_,"axG",@progbits,_ZN7rocprim17ROCPRIM_400000_NS6detail17trampoline_kernelINS0_14default_configENS1_27lower_bound_config_selectorIiiEEZNS1_14transform_implILb0ES3_S5_N6thrust23THRUST_200600_302600_NS6detail15normal_iteratorINS8_10device_ptrIiEEEESD_ZNS1_13binary_searchIS3_S5_SD_SD_SD_NS1_21lower_bound_search_opENS9_16wrapped_functionINS0_4lessIvEEbEEEE10hipError_tPvRmT1_T2_T3_mmT4_T5_P12ihipStream_tbEUlRKiE_EESK_SO_SP_mSQ_ST_bEUlT_E_NS1_11comp_targetILNS1_3genE10ELNS1_11target_archE1200ELNS1_3gpuE4ELNS1_3repE0EEENS1_30default_config_static_selectorELNS0_4arch9wavefront6targetE1EEEvSN_,comdat
	.protected	_ZN7rocprim17ROCPRIM_400000_NS6detail17trampoline_kernelINS0_14default_configENS1_27lower_bound_config_selectorIiiEEZNS1_14transform_implILb0ES3_S5_N6thrust23THRUST_200600_302600_NS6detail15normal_iteratorINS8_10device_ptrIiEEEESD_ZNS1_13binary_searchIS3_S5_SD_SD_SD_NS1_21lower_bound_search_opENS9_16wrapped_functionINS0_4lessIvEEbEEEE10hipError_tPvRmT1_T2_T3_mmT4_T5_P12ihipStream_tbEUlRKiE_EESK_SO_SP_mSQ_ST_bEUlT_E_NS1_11comp_targetILNS1_3genE10ELNS1_11target_archE1200ELNS1_3gpuE4ELNS1_3repE0EEENS1_30default_config_static_selectorELNS0_4arch9wavefront6targetE1EEEvSN_ ; -- Begin function _ZN7rocprim17ROCPRIM_400000_NS6detail17trampoline_kernelINS0_14default_configENS1_27lower_bound_config_selectorIiiEEZNS1_14transform_implILb0ES3_S5_N6thrust23THRUST_200600_302600_NS6detail15normal_iteratorINS8_10device_ptrIiEEEESD_ZNS1_13binary_searchIS3_S5_SD_SD_SD_NS1_21lower_bound_search_opENS9_16wrapped_functionINS0_4lessIvEEbEEEE10hipError_tPvRmT1_T2_T3_mmT4_T5_P12ihipStream_tbEUlRKiE_EESK_SO_SP_mSQ_ST_bEUlT_E_NS1_11comp_targetILNS1_3genE10ELNS1_11target_archE1200ELNS1_3gpuE4ELNS1_3repE0EEENS1_30default_config_static_selectorELNS0_4arch9wavefront6targetE1EEEvSN_
	.globl	_ZN7rocprim17ROCPRIM_400000_NS6detail17trampoline_kernelINS0_14default_configENS1_27lower_bound_config_selectorIiiEEZNS1_14transform_implILb0ES3_S5_N6thrust23THRUST_200600_302600_NS6detail15normal_iteratorINS8_10device_ptrIiEEEESD_ZNS1_13binary_searchIS3_S5_SD_SD_SD_NS1_21lower_bound_search_opENS9_16wrapped_functionINS0_4lessIvEEbEEEE10hipError_tPvRmT1_T2_T3_mmT4_T5_P12ihipStream_tbEUlRKiE_EESK_SO_SP_mSQ_ST_bEUlT_E_NS1_11comp_targetILNS1_3genE10ELNS1_11target_archE1200ELNS1_3gpuE4ELNS1_3repE0EEENS1_30default_config_static_selectorELNS0_4arch9wavefront6targetE1EEEvSN_
	.p2align	8
	.type	_ZN7rocprim17ROCPRIM_400000_NS6detail17trampoline_kernelINS0_14default_configENS1_27lower_bound_config_selectorIiiEEZNS1_14transform_implILb0ES3_S5_N6thrust23THRUST_200600_302600_NS6detail15normal_iteratorINS8_10device_ptrIiEEEESD_ZNS1_13binary_searchIS3_S5_SD_SD_SD_NS1_21lower_bound_search_opENS9_16wrapped_functionINS0_4lessIvEEbEEEE10hipError_tPvRmT1_T2_T3_mmT4_T5_P12ihipStream_tbEUlRKiE_EESK_SO_SP_mSQ_ST_bEUlT_E_NS1_11comp_targetILNS1_3genE10ELNS1_11target_archE1200ELNS1_3gpuE4ELNS1_3repE0EEENS1_30default_config_static_selectorELNS0_4arch9wavefront6targetE1EEEvSN_,@function
_ZN7rocprim17ROCPRIM_400000_NS6detail17trampoline_kernelINS0_14default_configENS1_27lower_bound_config_selectorIiiEEZNS1_14transform_implILb0ES3_S5_N6thrust23THRUST_200600_302600_NS6detail15normal_iteratorINS8_10device_ptrIiEEEESD_ZNS1_13binary_searchIS3_S5_SD_SD_SD_NS1_21lower_bound_search_opENS9_16wrapped_functionINS0_4lessIvEEbEEEE10hipError_tPvRmT1_T2_T3_mmT4_T5_P12ihipStream_tbEUlRKiE_EESK_SO_SP_mSQ_ST_bEUlT_E_NS1_11comp_targetILNS1_3genE10ELNS1_11target_archE1200ELNS1_3gpuE4ELNS1_3repE0EEENS1_30default_config_static_selectorELNS0_4arch9wavefront6targetE1EEEvSN_: ; @_ZN7rocprim17ROCPRIM_400000_NS6detail17trampoline_kernelINS0_14default_configENS1_27lower_bound_config_selectorIiiEEZNS1_14transform_implILb0ES3_S5_N6thrust23THRUST_200600_302600_NS6detail15normal_iteratorINS8_10device_ptrIiEEEESD_ZNS1_13binary_searchIS3_S5_SD_SD_SD_NS1_21lower_bound_search_opENS9_16wrapped_functionINS0_4lessIvEEbEEEE10hipError_tPvRmT1_T2_T3_mmT4_T5_P12ihipStream_tbEUlRKiE_EESK_SO_SP_mSQ_ST_bEUlT_E_NS1_11comp_targetILNS1_3genE10ELNS1_11target_archE1200ELNS1_3gpuE4ELNS1_3repE0EEENS1_30default_config_static_selectorELNS0_4arch9wavefront6targetE1EEEvSN_
; %bb.0:
	.section	.rodata,"a",@progbits
	.p2align	6, 0x0
	.amdhsa_kernel _ZN7rocprim17ROCPRIM_400000_NS6detail17trampoline_kernelINS0_14default_configENS1_27lower_bound_config_selectorIiiEEZNS1_14transform_implILb0ES3_S5_N6thrust23THRUST_200600_302600_NS6detail15normal_iteratorINS8_10device_ptrIiEEEESD_ZNS1_13binary_searchIS3_S5_SD_SD_SD_NS1_21lower_bound_search_opENS9_16wrapped_functionINS0_4lessIvEEbEEEE10hipError_tPvRmT1_T2_T3_mmT4_T5_P12ihipStream_tbEUlRKiE_EESK_SO_SP_mSQ_ST_bEUlT_E_NS1_11comp_targetILNS1_3genE10ELNS1_11target_archE1200ELNS1_3gpuE4ELNS1_3repE0EEENS1_30default_config_static_selectorELNS0_4arch9wavefront6targetE1EEEvSN_
		.amdhsa_group_segment_fixed_size 0
		.amdhsa_private_segment_fixed_size 0
		.amdhsa_kernarg_size 56
		.amdhsa_user_sgpr_count 6
		.amdhsa_user_sgpr_private_segment_buffer 1
		.amdhsa_user_sgpr_dispatch_ptr 0
		.amdhsa_user_sgpr_queue_ptr 0
		.amdhsa_user_sgpr_kernarg_segment_ptr 1
		.amdhsa_user_sgpr_dispatch_id 0
		.amdhsa_user_sgpr_flat_scratch_init 0
		.amdhsa_user_sgpr_kernarg_preload_length 0
		.amdhsa_user_sgpr_kernarg_preload_offset 0
		.amdhsa_user_sgpr_private_segment_size 0
		.amdhsa_uses_dynamic_stack 0
		.amdhsa_system_sgpr_private_segment_wavefront_offset 0
		.amdhsa_system_sgpr_workgroup_id_x 1
		.amdhsa_system_sgpr_workgroup_id_y 0
		.amdhsa_system_sgpr_workgroup_id_z 0
		.amdhsa_system_sgpr_workgroup_info 0
		.amdhsa_system_vgpr_workitem_id 0
		.amdhsa_next_free_vgpr 1
		.amdhsa_next_free_sgpr 0
		.amdhsa_accum_offset 4
		.amdhsa_reserve_vcc 0
		.amdhsa_reserve_flat_scratch 0
		.amdhsa_float_round_mode_32 0
		.amdhsa_float_round_mode_16_64 0
		.amdhsa_float_denorm_mode_32 3
		.amdhsa_float_denorm_mode_16_64 3
		.amdhsa_dx10_clamp 1
		.amdhsa_ieee_mode 1
		.amdhsa_fp16_overflow 0
		.amdhsa_tg_split 0
		.amdhsa_exception_fp_ieee_invalid_op 0
		.amdhsa_exception_fp_denorm_src 0
		.amdhsa_exception_fp_ieee_div_zero 0
		.amdhsa_exception_fp_ieee_overflow 0
		.amdhsa_exception_fp_ieee_underflow 0
		.amdhsa_exception_fp_ieee_inexact 0
		.amdhsa_exception_int_div_zero 0
	.end_amdhsa_kernel
	.section	.text._ZN7rocprim17ROCPRIM_400000_NS6detail17trampoline_kernelINS0_14default_configENS1_27lower_bound_config_selectorIiiEEZNS1_14transform_implILb0ES3_S5_N6thrust23THRUST_200600_302600_NS6detail15normal_iteratorINS8_10device_ptrIiEEEESD_ZNS1_13binary_searchIS3_S5_SD_SD_SD_NS1_21lower_bound_search_opENS9_16wrapped_functionINS0_4lessIvEEbEEEE10hipError_tPvRmT1_T2_T3_mmT4_T5_P12ihipStream_tbEUlRKiE_EESK_SO_SP_mSQ_ST_bEUlT_E_NS1_11comp_targetILNS1_3genE10ELNS1_11target_archE1200ELNS1_3gpuE4ELNS1_3repE0EEENS1_30default_config_static_selectorELNS0_4arch9wavefront6targetE1EEEvSN_,"axG",@progbits,_ZN7rocprim17ROCPRIM_400000_NS6detail17trampoline_kernelINS0_14default_configENS1_27lower_bound_config_selectorIiiEEZNS1_14transform_implILb0ES3_S5_N6thrust23THRUST_200600_302600_NS6detail15normal_iteratorINS8_10device_ptrIiEEEESD_ZNS1_13binary_searchIS3_S5_SD_SD_SD_NS1_21lower_bound_search_opENS9_16wrapped_functionINS0_4lessIvEEbEEEE10hipError_tPvRmT1_T2_T3_mmT4_T5_P12ihipStream_tbEUlRKiE_EESK_SO_SP_mSQ_ST_bEUlT_E_NS1_11comp_targetILNS1_3genE10ELNS1_11target_archE1200ELNS1_3gpuE4ELNS1_3repE0EEENS1_30default_config_static_selectorELNS0_4arch9wavefront6targetE1EEEvSN_,comdat
.Lfunc_end317:
	.size	_ZN7rocprim17ROCPRIM_400000_NS6detail17trampoline_kernelINS0_14default_configENS1_27lower_bound_config_selectorIiiEEZNS1_14transform_implILb0ES3_S5_N6thrust23THRUST_200600_302600_NS6detail15normal_iteratorINS8_10device_ptrIiEEEESD_ZNS1_13binary_searchIS3_S5_SD_SD_SD_NS1_21lower_bound_search_opENS9_16wrapped_functionINS0_4lessIvEEbEEEE10hipError_tPvRmT1_T2_T3_mmT4_T5_P12ihipStream_tbEUlRKiE_EESK_SO_SP_mSQ_ST_bEUlT_E_NS1_11comp_targetILNS1_3genE10ELNS1_11target_archE1200ELNS1_3gpuE4ELNS1_3repE0EEENS1_30default_config_static_selectorELNS0_4arch9wavefront6targetE1EEEvSN_, .Lfunc_end317-_ZN7rocprim17ROCPRIM_400000_NS6detail17trampoline_kernelINS0_14default_configENS1_27lower_bound_config_selectorIiiEEZNS1_14transform_implILb0ES3_S5_N6thrust23THRUST_200600_302600_NS6detail15normal_iteratorINS8_10device_ptrIiEEEESD_ZNS1_13binary_searchIS3_S5_SD_SD_SD_NS1_21lower_bound_search_opENS9_16wrapped_functionINS0_4lessIvEEbEEEE10hipError_tPvRmT1_T2_T3_mmT4_T5_P12ihipStream_tbEUlRKiE_EESK_SO_SP_mSQ_ST_bEUlT_E_NS1_11comp_targetILNS1_3genE10ELNS1_11target_archE1200ELNS1_3gpuE4ELNS1_3repE0EEENS1_30default_config_static_selectorELNS0_4arch9wavefront6targetE1EEEvSN_
                                        ; -- End function
	.section	.AMDGPU.csdata,"",@progbits
; Kernel info:
; codeLenInByte = 0
; NumSgprs: 4
; NumVgprs: 0
; NumAgprs: 0
; TotalNumVgprs: 0
; ScratchSize: 0
; MemoryBound: 0
; FloatMode: 240
; IeeeMode: 1
; LDSByteSize: 0 bytes/workgroup (compile time only)
; SGPRBlocks: 0
; VGPRBlocks: 0
; NumSGPRsForWavesPerEU: 4
; NumVGPRsForWavesPerEU: 1
; AccumOffset: 4
; Occupancy: 8
; WaveLimiterHint : 0
; COMPUTE_PGM_RSRC2:SCRATCH_EN: 0
; COMPUTE_PGM_RSRC2:USER_SGPR: 6
; COMPUTE_PGM_RSRC2:TRAP_HANDLER: 0
; COMPUTE_PGM_RSRC2:TGID_X_EN: 1
; COMPUTE_PGM_RSRC2:TGID_Y_EN: 0
; COMPUTE_PGM_RSRC2:TGID_Z_EN: 0
; COMPUTE_PGM_RSRC2:TIDIG_COMP_CNT: 0
; COMPUTE_PGM_RSRC3_GFX90A:ACCUM_OFFSET: 0
; COMPUTE_PGM_RSRC3_GFX90A:TG_SPLIT: 0
	.section	.text._ZN7rocprim17ROCPRIM_400000_NS6detail17trampoline_kernelINS0_14default_configENS1_27lower_bound_config_selectorIiiEEZNS1_14transform_implILb0ES3_S5_N6thrust23THRUST_200600_302600_NS6detail15normal_iteratorINS8_10device_ptrIiEEEESD_ZNS1_13binary_searchIS3_S5_SD_SD_SD_NS1_21lower_bound_search_opENS9_16wrapped_functionINS0_4lessIvEEbEEEE10hipError_tPvRmT1_T2_T3_mmT4_T5_P12ihipStream_tbEUlRKiE_EESK_SO_SP_mSQ_ST_bEUlT_E_NS1_11comp_targetILNS1_3genE9ELNS1_11target_archE1100ELNS1_3gpuE3ELNS1_3repE0EEENS1_30default_config_static_selectorELNS0_4arch9wavefront6targetE1EEEvSN_,"axG",@progbits,_ZN7rocprim17ROCPRIM_400000_NS6detail17trampoline_kernelINS0_14default_configENS1_27lower_bound_config_selectorIiiEEZNS1_14transform_implILb0ES3_S5_N6thrust23THRUST_200600_302600_NS6detail15normal_iteratorINS8_10device_ptrIiEEEESD_ZNS1_13binary_searchIS3_S5_SD_SD_SD_NS1_21lower_bound_search_opENS9_16wrapped_functionINS0_4lessIvEEbEEEE10hipError_tPvRmT1_T2_T3_mmT4_T5_P12ihipStream_tbEUlRKiE_EESK_SO_SP_mSQ_ST_bEUlT_E_NS1_11comp_targetILNS1_3genE9ELNS1_11target_archE1100ELNS1_3gpuE3ELNS1_3repE0EEENS1_30default_config_static_selectorELNS0_4arch9wavefront6targetE1EEEvSN_,comdat
	.protected	_ZN7rocprim17ROCPRIM_400000_NS6detail17trampoline_kernelINS0_14default_configENS1_27lower_bound_config_selectorIiiEEZNS1_14transform_implILb0ES3_S5_N6thrust23THRUST_200600_302600_NS6detail15normal_iteratorINS8_10device_ptrIiEEEESD_ZNS1_13binary_searchIS3_S5_SD_SD_SD_NS1_21lower_bound_search_opENS9_16wrapped_functionINS0_4lessIvEEbEEEE10hipError_tPvRmT1_T2_T3_mmT4_T5_P12ihipStream_tbEUlRKiE_EESK_SO_SP_mSQ_ST_bEUlT_E_NS1_11comp_targetILNS1_3genE9ELNS1_11target_archE1100ELNS1_3gpuE3ELNS1_3repE0EEENS1_30default_config_static_selectorELNS0_4arch9wavefront6targetE1EEEvSN_ ; -- Begin function _ZN7rocprim17ROCPRIM_400000_NS6detail17trampoline_kernelINS0_14default_configENS1_27lower_bound_config_selectorIiiEEZNS1_14transform_implILb0ES3_S5_N6thrust23THRUST_200600_302600_NS6detail15normal_iteratorINS8_10device_ptrIiEEEESD_ZNS1_13binary_searchIS3_S5_SD_SD_SD_NS1_21lower_bound_search_opENS9_16wrapped_functionINS0_4lessIvEEbEEEE10hipError_tPvRmT1_T2_T3_mmT4_T5_P12ihipStream_tbEUlRKiE_EESK_SO_SP_mSQ_ST_bEUlT_E_NS1_11comp_targetILNS1_3genE9ELNS1_11target_archE1100ELNS1_3gpuE3ELNS1_3repE0EEENS1_30default_config_static_selectorELNS0_4arch9wavefront6targetE1EEEvSN_
	.globl	_ZN7rocprim17ROCPRIM_400000_NS6detail17trampoline_kernelINS0_14default_configENS1_27lower_bound_config_selectorIiiEEZNS1_14transform_implILb0ES3_S5_N6thrust23THRUST_200600_302600_NS6detail15normal_iteratorINS8_10device_ptrIiEEEESD_ZNS1_13binary_searchIS3_S5_SD_SD_SD_NS1_21lower_bound_search_opENS9_16wrapped_functionINS0_4lessIvEEbEEEE10hipError_tPvRmT1_T2_T3_mmT4_T5_P12ihipStream_tbEUlRKiE_EESK_SO_SP_mSQ_ST_bEUlT_E_NS1_11comp_targetILNS1_3genE9ELNS1_11target_archE1100ELNS1_3gpuE3ELNS1_3repE0EEENS1_30default_config_static_selectorELNS0_4arch9wavefront6targetE1EEEvSN_
	.p2align	8
	.type	_ZN7rocprim17ROCPRIM_400000_NS6detail17trampoline_kernelINS0_14default_configENS1_27lower_bound_config_selectorIiiEEZNS1_14transform_implILb0ES3_S5_N6thrust23THRUST_200600_302600_NS6detail15normal_iteratorINS8_10device_ptrIiEEEESD_ZNS1_13binary_searchIS3_S5_SD_SD_SD_NS1_21lower_bound_search_opENS9_16wrapped_functionINS0_4lessIvEEbEEEE10hipError_tPvRmT1_T2_T3_mmT4_T5_P12ihipStream_tbEUlRKiE_EESK_SO_SP_mSQ_ST_bEUlT_E_NS1_11comp_targetILNS1_3genE9ELNS1_11target_archE1100ELNS1_3gpuE3ELNS1_3repE0EEENS1_30default_config_static_selectorELNS0_4arch9wavefront6targetE1EEEvSN_,@function
_ZN7rocprim17ROCPRIM_400000_NS6detail17trampoline_kernelINS0_14default_configENS1_27lower_bound_config_selectorIiiEEZNS1_14transform_implILb0ES3_S5_N6thrust23THRUST_200600_302600_NS6detail15normal_iteratorINS8_10device_ptrIiEEEESD_ZNS1_13binary_searchIS3_S5_SD_SD_SD_NS1_21lower_bound_search_opENS9_16wrapped_functionINS0_4lessIvEEbEEEE10hipError_tPvRmT1_T2_T3_mmT4_T5_P12ihipStream_tbEUlRKiE_EESK_SO_SP_mSQ_ST_bEUlT_E_NS1_11comp_targetILNS1_3genE9ELNS1_11target_archE1100ELNS1_3gpuE3ELNS1_3repE0EEENS1_30default_config_static_selectorELNS0_4arch9wavefront6targetE1EEEvSN_: ; @_ZN7rocprim17ROCPRIM_400000_NS6detail17trampoline_kernelINS0_14default_configENS1_27lower_bound_config_selectorIiiEEZNS1_14transform_implILb0ES3_S5_N6thrust23THRUST_200600_302600_NS6detail15normal_iteratorINS8_10device_ptrIiEEEESD_ZNS1_13binary_searchIS3_S5_SD_SD_SD_NS1_21lower_bound_search_opENS9_16wrapped_functionINS0_4lessIvEEbEEEE10hipError_tPvRmT1_T2_T3_mmT4_T5_P12ihipStream_tbEUlRKiE_EESK_SO_SP_mSQ_ST_bEUlT_E_NS1_11comp_targetILNS1_3genE9ELNS1_11target_archE1100ELNS1_3gpuE3ELNS1_3repE0EEENS1_30default_config_static_selectorELNS0_4arch9wavefront6targetE1EEEvSN_
; %bb.0:
	.section	.rodata,"a",@progbits
	.p2align	6, 0x0
	.amdhsa_kernel _ZN7rocprim17ROCPRIM_400000_NS6detail17trampoline_kernelINS0_14default_configENS1_27lower_bound_config_selectorIiiEEZNS1_14transform_implILb0ES3_S5_N6thrust23THRUST_200600_302600_NS6detail15normal_iteratorINS8_10device_ptrIiEEEESD_ZNS1_13binary_searchIS3_S5_SD_SD_SD_NS1_21lower_bound_search_opENS9_16wrapped_functionINS0_4lessIvEEbEEEE10hipError_tPvRmT1_T2_T3_mmT4_T5_P12ihipStream_tbEUlRKiE_EESK_SO_SP_mSQ_ST_bEUlT_E_NS1_11comp_targetILNS1_3genE9ELNS1_11target_archE1100ELNS1_3gpuE3ELNS1_3repE0EEENS1_30default_config_static_selectorELNS0_4arch9wavefront6targetE1EEEvSN_
		.amdhsa_group_segment_fixed_size 0
		.amdhsa_private_segment_fixed_size 0
		.amdhsa_kernarg_size 56
		.amdhsa_user_sgpr_count 6
		.amdhsa_user_sgpr_private_segment_buffer 1
		.amdhsa_user_sgpr_dispatch_ptr 0
		.amdhsa_user_sgpr_queue_ptr 0
		.amdhsa_user_sgpr_kernarg_segment_ptr 1
		.amdhsa_user_sgpr_dispatch_id 0
		.amdhsa_user_sgpr_flat_scratch_init 0
		.amdhsa_user_sgpr_kernarg_preload_length 0
		.amdhsa_user_sgpr_kernarg_preload_offset 0
		.amdhsa_user_sgpr_private_segment_size 0
		.amdhsa_uses_dynamic_stack 0
		.amdhsa_system_sgpr_private_segment_wavefront_offset 0
		.amdhsa_system_sgpr_workgroup_id_x 1
		.amdhsa_system_sgpr_workgroup_id_y 0
		.amdhsa_system_sgpr_workgroup_id_z 0
		.amdhsa_system_sgpr_workgroup_info 0
		.amdhsa_system_vgpr_workitem_id 0
		.amdhsa_next_free_vgpr 1
		.amdhsa_next_free_sgpr 0
		.amdhsa_accum_offset 4
		.amdhsa_reserve_vcc 0
		.amdhsa_reserve_flat_scratch 0
		.amdhsa_float_round_mode_32 0
		.amdhsa_float_round_mode_16_64 0
		.amdhsa_float_denorm_mode_32 3
		.amdhsa_float_denorm_mode_16_64 3
		.amdhsa_dx10_clamp 1
		.amdhsa_ieee_mode 1
		.amdhsa_fp16_overflow 0
		.amdhsa_tg_split 0
		.amdhsa_exception_fp_ieee_invalid_op 0
		.amdhsa_exception_fp_denorm_src 0
		.amdhsa_exception_fp_ieee_div_zero 0
		.amdhsa_exception_fp_ieee_overflow 0
		.amdhsa_exception_fp_ieee_underflow 0
		.amdhsa_exception_fp_ieee_inexact 0
		.amdhsa_exception_int_div_zero 0
	.end_amdhsa_kernel
	.section	.text._ZN7rocprim17ROCPRIM_400000_NS6detail17trampoline_kernelINS0_14default_configENS1_27lower_bound_config_selectorIiiEEZNS1_14transform_implILb0ES3_S5_N6thrust23THRUST_200600_302600_NS6detail15normal_iteratorINS8_10device_ptrIiEEEESD_ZNS1_13binary_searchIS3_S5_SD_SD_SD_NS1_21lower_bound_search_opENS9_16wrapped_functionINS0_4lessIvEEbEEEE10hipError_tPvRmT1_T2_T3_mmT4_T5_P12ihipStream_tbEUlRKiE_EESK_SO_SP_mSQ_ST_bEUlT_E_NS1_11comp_targetILNS1_3genE9ELNS1_11target_archE1100ELNS1_3gpuE3ELNS1_3repE0EEENS1_30default_config_static_selectorELNS0_4arch9wavefront6targetE1EEEvSN_,"axG",@progbits,_ZN7rocprim17ROCPRIM_400000_NS6detail17trampoline_kernelINS0_14default_configENS1_27lower_bound_config_selectorIiiEEZNS1_14transform_implILb0ES3_S5_N6thrust23THRUST_200600_302600_NS6detail15normal_iteratorINS8_10device_ptrIiEEEESD_ZNS1_13binary_searchIS3_S5_SD_SD_SD_NS1_21lower_bound_search_opENS9_16wrapped_functionINS0_4lessIvEEbEEEE10hipError_tPvRmT1_T2_T3_mmT4_T5_P12ihipStream_tbEUlRKiE_EESK_SO_SP_mSQ_ST_bEUlT_E_NS1_11comp_targetILNS1_3genE9ELNS1_11target_archE1100ELNS1_3gpuE3ELNS1_3repE0EEENS1_30default_config_static_selectorELNS0_4arch9wavefront6targetE1EEEvSN_,comdat
.Lfunc_end318:
	.size	_ZN7rocprim17ROCPRIM_400000_NS6detail17trampoline_kernelINS0_14default_configENS1_27lower_bound_config_selectorIiiEEZNS1_14transform_implILb0ES3_S5_N6thrust23THRUST_200600_302600_NS6detail15normal_iteratorINS8_10device_ptrIiEEEESD_ZNS1_13binary_searchIS3_S5_SD_SD_SD_NS1_21lower_bound_search_opENS9_16wrapped_functionINS0_4lessIvEEbEEEE10hipError_tPvRmT1_T2_T3_mmT4_T5_P12ihipStream_tbEUlRKiE_EESK_SO_SP_mSQ_ST_bEUlT_E_NS1_11comp_targetILNS1_3genE9ELNS1_11target_archE1100ELNS1_3gpuE3ELNS1_3repE0EEENS1_30default_config_static_selectorELNS0_4arch9wavefront6targetE1EEEvSN_, .Lfunc_end318-_ZN7rocprim17ROCPRIM_400000_NS6detail17trampoline_kernelINS0_14default_configENS1_27lower_bound_config_selectorIiiEEZNS1_14transform_implILb0ES3_S5_N6thrust23THRUST_200600_302600_NS6detail15normal_iteratorINS8_10device_ptrIiEEEESD_ZNS1_13binary_searchIS3_S5_SD_SD_SD_NS1_21lower_bound_search_opENS9_16wrapped_functionINS0_4lessIvEEbEEEE10hipError_tPvRmT1_T2_T3_mmT4_T5_P12ihipStream_tbEUlRKiE_EESK_SO_SP_mSQ_ST_bEUlT_E_NS1_11comp_targetILNS1_3genE9ELNS1_11target_archE1100ELNS1_3gpuE3ELNS1_3repE0EEENS1_30default_config_static_selectorELNS0_4arch9wavefront6targetE1EEEvSN_
                                        ; -- End function
	.section	.AMDGPU.csdata,"",@progbits
; Kernel info:
; codeLenInByte = 0
; NumSgprs: 4
; NumVgprs: 0
; NumAgprs: 0
; TotalNumVgprs: 0
; ScratchSize: 0
; MemoryBound: 0
; FloatMode: 240
; IeeeMode: 1
; LDSByteSize: 0 bytes/workgroup (compile time only)
; SGPRBlocks: 0
; VGPRBlocks: 0
; NumSGPRsForWavesPerEU: 4
; NumVGPRsForWavesPerEU: 1
; AccumOffset: 4
; Occupancy: 8
; WaveLimiterHint : 0
; COMPUTE_PGM_RSRC2:SCRATCH_EN: 0
; COMPUTE_PGM_RSRC2:USER_SGPR: 6
; COMPUTE_PGM_RSRC2:TRAP_HANDLER: 0
; COMPUTE_PGM_RSRC2:TGID_X_EN: 1
; COMPUTE_PGM_RSRC2:TGID_Y_EN: 0
; COMPUTE_PGM_RSRC2:TGID_Z_EN: 0
; COMPUTE_PGM_RSRC2:TIDIG_COMP_CNT: 0
; COMPUTE_PGM_RSRC3_GFX90A:ACCUM_OFFSET: 0
; COMPUTE_PGM_RSRC3_GFX90A:TG_SPLIT: 0
	.section	.text._ZN7rocprim17ROCPRIM_400000_NS6detail17trampoline_kernelINS0_14default_configENS1_27lower_bound_config_selectorIiiEEZNS1_14transform_implILb0ES3_S5_N6thrust23THRUST_200600_302600_NS6detail15normal_iteratorINS8_10device_ptrIiEEEESD_ZNS1_13binary_searchIS3_S5_SD_SD_SD_NS1_21lower_bound_search_opENS9_16wrapped_functionINS0_4lessIvEEbEEEE10hipError_tPvRmT1_T2_T3_mmT4_T5_P12ihipStream_tbEUlRKiE_EESK_SO_SP_mSQ_ST_bEUlT_E_NS1_11comp_targetILNS1_3genE8ELNS1_11target_archE1030ELNS1_3gpuE2ELNS1_3repE0EEENS1_30default_config_static_selectorELNS0_4arch9wavefront6targetE1EEEvSN_,"axG",@progbits,_ZN7rocprim17ROCPRIM_400000_NS6detail17trampoline_kernelINS0_14default_configENS1_27lower_bound_config_selectorIiiEEZNS1_14transform_implILb0ES3_S5_N6thrust23THRUST_200600_302600_NS6detail15normal_iteratorINS8_10device_ptrIiEEEESD_ZNS1_13binary_searchIS3_S5_SD_SD_SD_NS1_21lower_bound_search_opENS9_16wrapped_functionINS0_4lessIvEEbEEEE10hipError_tPvRmT1_T2_T3_mmT4_T5_P12ihipStream_tbEUlRKiE_EESK_SO_SP_mSQ_ST_bEUlT_E_NS1_11comp_targetILNS1_3genE8ELNS1_11target_archE1030ELNS1_3gpuE2ELNS1_3repE0EEENS1_30default_config_static_selectorELNS0_4arch9wavefront6targetE1EEEvSN_,comdat
	.protected	_ZN7rocprim17ROCPRIM_400000_NS6detail17trampoline_kernelINS0_14default_configENS1_27lower_bound_config_selectorIiiEEZNS1_14transform_implILb0ES3_S5_N6thrust23THRUST_200600_302600_NS6detail15normal_iteratorINS8_10device_ptrIiEEEESD_ZNS1_13binary_searchIS3_S5_SD_SD_SD_NS1_21lower_bound_search_opENS9_16wrapped_functionINS0_4lessIvEEbEEEE10hipError_tPvRmT1_T2_T3_mmT4_T5_P12ihipStream_tbEUlRKiE_EESK_SO_SP_mSQ_ST_bEUlT_E_NS1_11comp_targetILNS1_3genE8ELNS1_11target_archE1030ELNS1_3gpuE2ELNS1_3repE0EEENS1_30default_config_static_selectorELNS0_4arch9wavefront6targetE1EEEvSN_ ; -- Begin function _ZN7rocprim17ROCPRIM_400000_NS6detail17trampoline_kernelINS0_14default_configENS1_27lower_bound_config_selectorIiiEEZNS1_14transform_implILb0ES3_S5_N6thrust23THRUST_200600_302600_NS6detail15normal_iteratorINS8_10device_ptrIiEEEESD_ZNS1_13binary_searchIS3_S5_SD_SD_SD_NS1_21lower_bound_search_opENS9_16wrapped_functionINS0_4lessIvEEbEEEE10hipError_tPvRmT1_T2_T3_mmT4_T5_P12ihipStream_tbEUlRKiE_EESK_SO_SP_mSQ_ST_bEUlT_E_NS1_11comp_targetILNS1_3genE8ELNS1_11target_archE1030ELNS1_3gpuE2ELNS1_3repE0EEENS1_30default_config_static_selectorELNS0_4arch9wavefront6targetE1EEEvSN_
	.globl	_ZN7rocprim17ROCPRIM_400000_NS6detail17trampoline_kernelINS0_14default_configENS1_27lower_bound_config_selectorIiiEEZNS1_14transform_implILb0ES3_S5_N6thrust23THRUST_200600_302600_NS6detail15normal_iteratorINS8_10device_ptrIiEEEESD_ZNS1_13binary_searchIS3_S5_SD_SD_SD_NS1_21lower_bound_search_opENS9_16wrapped_functionINS0_4lessIvEEbEEEE10hipError_tPvRmT1_T2_T3_mmT4_T5_P12ihipStream_tbEUlRKiE_EESK_SO_SP_mSQ_ST_bEUlT_E_NS1_11comp_targetILNS1_3genE8ELNS1_11target_archE1030ELNS1_3gpuE2ELNS1_3repE0EEENS1_30default_config_static_selectorELNS0_4arch9wavefront6targetE1EEEvSN_
	.p2align	8
	.type	_ZN7rocprim17ROCPRIM_400000_NS6detail17trampoline_kernelINS0_14default_configENS1_27lower_bound_config_selectorIiiEEZNS1_14transform_implILb0ES3_S5_N6thrust23THRUST_200600_302600_NS6detail15normal_iteratorINS8_10device_ptrIiEEEESD_ZNS1_13binary_searchIS3_S5_SD_SD_SD_NS1_21lower_bound_search_opENS9_16wrapped_functionINS0_4lessIvEEbEEEE10hipError_tPvRmT1_T2_T3_mmT4_T5_P12ihipStream_tbEUlRKiE_EESK_SO_SP_mSQ_ST_bEUlT_E_NS1_11comp_targetILNS1_3genE8ELNS1_11target_archE1030ELNS1_3gpuE2ELNS1_3repE0EEENS1_30default_config_static_selectorELNS0_4arch9wavefront6targetE1EEEvSN_,@function
_ZN7rocprim17ROCPRIM_400000_NS6detail17trampoline_kernelINS0_14default_configENS1_27lower_bound_config_selectorIiiEEZNS1_14transform_implILb0ES3_S5_N6thrust23THRUST_200600_302600_NS6detail15normal_iteratorINS8_10device_ptrIiEEEESD_ZNS1_13binary_searchIS3_S5_SD_SD_SD_NS1_21lower_bound_search_opENS9_16wrapped_functionINS0_4lessIvEEbEEEE10hipError_tPvRmT1_T2_T3_mmT4_T5_P12ihipStream_tbEUlRKiE_EESK_SO_SP_mSQ_ST_bEUlT_E_NS1_11comp_targetILNS1_3genE8ELNS1_11target_archE1030ELNS1_3gpuE2ELNS1_3repE0EEENS1_30default_config_static_selectorELNS0_4arch9wavefront6targetE1EEEvSN_: ; @_ZN7rocprim17ROCPRIM_400000_NS6detail17trampoline_kernelINS0_14default_configENS1_27lower_bound_config_selectorIiiEEZNS1_14transform_implILb0ES3_S5_N6thrust23THRUST_200600_302600_NS6detail15normal_iteratorINS8_10device_ptrIiEEEESD_ZNS1_13binary_searchIS3_S5_SD_SD_SD_NS1_21lower_bound_search_opENS9_16wrapped_functionINS0_4lessIvEEbEEEE10hipError_tPvRmT1_T2_T3_mmT4_T5_P12ihipStream_tbEUlRKiE_EESK_SO_SP_mSQ_ST_bEUlT_E_NS1_11comp_targetILNS1_3genE8ELNS1_11target_archE1030ELNS1_3gpuE2ELNS1_3repE0EEENS1_30default_config_static_selectorELNS0_4arch9wavefront6targetE1EEEvSN_
; %bb.0:
	.section	.rodata,"a",@progbits
	.p2align	6, 0x0
	.amdhsa_kernel _ZN7rocprim17ROCPRIM_400000_NS6detail17trampoline_kernelINS0_14default_configENS1_27lower_bound_config_selectorIiiEEZNS1_14transform_implILb0ES3_S5_N6thrust23THRUST_200600_302600_NS6detail15normal_iteratorINS8_10device_ptrIiEEEESD_ZNS1_13binary_searchIS3_S5_SD_SD_SD_NS1_21lower_bound_search_opENS9_16wrapped_functionINS0_4lessIvEEbEEEE10hipError_tPvRmT1_T2_T3_mmT4_T5_P12ihipStream_tbEUlRKiE_EESK_SO_SP_mSQ_ST_bEUlT_E_NS1_11comp_targetILNS1_3genE8ELNS1_11target_archE1030ELNS1_3gpuE2ELNS1_3repE0EEENS1_30default_config_static_selectorELNS0_4arch9wavefront6targetE1EEEvSN_
		.amdhsa_group_segment_fixed_size 0
		.amdhsa_private_segment_fixed_size 0
		.amdhsa_kernarg_size 56
		.amdhsa_user_sgpr_count 6
		.amdhsa_user_sgpr_private_segment_buffer 1
		.amdhsa_user_sgpr_dispatch_ptr 0
		.amdhsa_user_sgpr_queue_ptr 0
		.amdhsa_user_sgpr_kernarg_segment_ptr 1
		.amdhsa_user_sgpr_dispatch_id 0
		.amdhsa_user_sgpr_flat_scratch_init 0
		.amdhsa_user_sgpr_kernarg_preload_length 0
		.amdhsa_user_sgpr_kernarg_preload_offset 0
		.amdhsa_user_sgpr_private_segment_size 0
		.amdhsa_uses_dynamic_stack 0
		.amdhsa_system_sgpr_private_segment_wavefront_offset 0
		.amdhsa_system_sgpr_workgroup_id_x 1
		.amdhsa_system_sgpr_workgroup_id_y 0
		.amdhsa_system_sgpr_workgroup_id_z 0
		.amdhsa_system_sgpr_workgroup_info 0
		.amdhsa_system_vgpr_workitem_id 0
		.amdhsa_next_free_vgpr 1
		.amdhsa_next_free_sgpr 0
		.amdhsa_accum_offset 4
		.amdhsa_reserve_vcc 0
		.amdhsa_reserve_flat_scratch 0
		.amdhsa_float_round_mode_32 0
		.amdhsa_float_round_mode_16_64 0
		.amdhsa_float_denorm_mode_32 3
		.amdhsa_float_denorm_mode_16_64 3
		.amdhsa_dx10_clamp 1
		.amdhsa_ieee_mode 1
		.amdhsa_fp16_overflow 0
		.amdhsa_tg_split 0
		.amdhsa_exception_fp_ieee_invalid_op 0
		.amdhsa_exception_fp_denorm_src 0
		.amdhsa_exception_fp_ieee_div_zero 0
		.amdhsa_exception_fp_ieee_overflow 0
		.amdhsa_exception_fp_ieee_underflow 0
		.amdhsa_exception_fp_ieee_inexact 0
		.amdhsa_exception_int_div_zero 0
	.end_amdhsa_kernel
	.section	.text._ZN7rocprim17ROCPRIM_400000_NS6detail17trampoline_kernelINS0_14default_configENS1_27lower_bound_config_selectorIiiEEZNS1_14transform_implILb0ES3_S5_N6thrust23THRUST_200600_302600_NS6detail15normal_iteratorINS8_10device_ptrIiEEEESD_ZNS1_13binary_searchIS3_S5_SD_SD_SD_NS1_21lower_bound_search_opENS9_16wrapped_functionINS0_4lessIvEEbEEEE10hipError_tPvRmT1_T2_T3_mmT4_T5_P12ihipStream_tbEUlRKiE_EESK_SO_SP_mSQ_ST_bEUlT_E_NS1_11comp_targetILNS1_3genE8ELNS1_11target_archE1030ELNS1_3gpuE2ELNS1_3repE0EEENS1_30default_config_static_selectorELNS0_4arch9wavefront6targetE1EEEvSN_,"axG",@progbits,_ZN7rocprim17ROCPRIM_400000_NS6detail17trampoline_kernelINS0_14default_configENS1_27lower_bound_config_selectorIiiEEZNS1_14transform_implILb0ES3_S5_N6thrust23THRUST_200600_302600_NS6detail15normal_iteratorINS8_10device_ptrIiEEEESD_ZNS1_13binary_searchIS3_S5_SD_SD_SD_NS1_21lower_bound_search_opENS9_16wrapped_functionINS0_4lessIvEEbEEEE10hipError_tPvRmT1_T2_T3_mmT4_T5_P12ihipStream_tbEUlRKiE_EESK_SO_SP_mSQ_ST_bEUlT_E_NS1_11comp_targetILNS1_3genE8ELNS1_11target_archE1030ELNS1_3gpuE2ELNS1_3repE0EEENS1_30default_config_static_selectorELNS0_4arch9wavefront6targetE1EEEvSN_,comdat
.Lfunc_end319:
	.size	_ZN7rocprim17ROCPRIM_400000_NS6detail17trampoline_kernelINS0_14default_configENS1_27lower_bound_config_selectorIiiEEZNS1_14transform_implILb0ES3_S5_N6thrust23THRUST_200600_302600_NS6detail15normal_iteratorINS8_10device_ptrIiEEEESD_ZNS1_13binary_searchIS3_S5_SD_SD_SD_NS1_21lower_bound_search_opENS9_16wrapped_functionINS0_4lessIvEEbEEEE10hipError_tPvRmT1_T2_T3_mmT4_T5_P12ihipStream_tbEUlRKiE_EESK_SO_SP_mSQ_ST_bEUlT_E_NS1_11comp_targetILNS1_3genE8ELNS1_11target_archE1030ELNS1_3gpuE2ELNS1_3repE0EEENS1_30default_config_static_selectorELNS0_4arch9wavefront6targetE1EEEvSN_, .Lfunc_end319-_ZN7rocprim17ROCPRIM_400000_NS6detail17trampoline_kernelINS0_14default_configENS1_27lower_bound_config_selectorIiiEEZNS1_14transform_implILb0ES3_S5_N6thrust23THRUST_200600_302600_NS6detail15normal_iteratorINS8_10device_ptrIiEEEESD_ZNS1_13binary_searchIS3_S5_SD_SD_SD_NS1_21lower_bound_search_opENS9_16wrapped_functionINS0_4lessIvEEbEEEE10hipError_tPvRmT1_T2_T3_mmT4_T5_P12ihipStream_tbEUlRKiE_EESK_SO_SP_mSQ_ST_bEUlT_E_NS1_11comp_targetILNS1_3genE8ELNS1_11target_archE1030ELNS1_3gpuE2ELNS1_3repE0EEENS1_30default_config_static_selectorELNS0_4arch9wavefront6targetE1EEEvSN_
                                        ; -- End function
	.section	.AMDGPU.csdata,"",@progbits
; Kernel info:
; codeLenInByte = 0
; NumSgprs: 4
; NumVgprs: 0
; NumAgprs: 0
; TotalNumVgprs: 0
; ScratchSize: 0
; MemoryBound: 0
; FloatMode: 240
; IeeeMode: 1
; LDSByteSize: 0 bytes/workgroup (compile time only)
; SGPRBlocks: 0
; VGPRBlocks: 0
; NumSGPRsForWavesPerEU: 4
; NumVGPRsForWavesPerEU: 1
; AccumOffset: 4
; Occupancy: 8
; WaveLimiterHint : 0
; COMPUTE_PGM_RSRC2:SCRATCH_EN: 0
; COMPUTE_PGM_RSRC2:USER_SGPR: 6
; COMPUTE_PGM_RSRC2:TRAP_HANDLER: 0
; COMPUTE_PGM_RSRC2:TGID_X_EN: 1
; COMPUTE_PGM_RSRC2:TGID_Y_EN: 0
; COMPUTE_PGM_RSRC2:TGID_Z_EN: 0
; COMPUTE_PGM_RSRC2:TIDIG_COMP_CNT: 0
; COMPUTE_PGM_RSRC3_GFX90A:ACCUM_OFFSET: 0
; COMPUTE_PGM_RSRC3_GFX90A:TG_SPLIT: 0
	.section	.text._ZN6thrust23THRUST_200600_302600_NS11hip_rocprim14__parallel_for6kernelILj256ENS1_10__tabulate7functorINS0_6detail15normal_iteratorINS0_10device_ptrIsEEEENS0_6system6detail7generic6detail22compute_sequence_valueIsvEElEElLj1EEEvT0_T1_SJ_,"axG",@progbits,_ZN6thrust23THRUST_200600_302600_NS11hip_rocprim14__parallel_for6kernelILj256ENS1_10__tabulate7functorINS0_6detail15normal_iteratorINS0_10device_ptrIsEEEENS0_6system6detail7generic6detail22compute_sequence_valueIsvEElEElLj1EEEvT0_T1_SJ_,comdat
	.protected	_ZN6thrust23THRUST_200600_302600_NS11hip_rocprim14__parallel_for6kernelILj256ENS1_10__tabulate7functorINS0_6detail15normal_iteratorINS0_10device_ptrIsEEEENS0_6system6detail7generic6detail22compute_sequence_valueIsvEElEElLj1EEEvT0_T1_SJ_ ; -- Begin function _ZN6thrust23THRUST_200600_302600_NS11hip_rocprim14__parallel_for6kernelILj256ENS1_10__tabulate7functorINS0_6detail15normal_iteratorINS0_10device_ptrIsEEEENS0_6system6detail7generic6detail22compute_sequence_valueIsvEElEElLj1EEEvT0_T1_SJ_
	.globl	_ZN6thrust23THRUST_200600_302600_NS11hip_rocprim14__parallel_for6kernelILj256ENS1_10__tabulate7functorINS0_6detail15normal_iteratorINS0_10device_ptrIsEEEENS0_6system6detail7generic6detail22compute_sequence_valueIsvEElEElLj1EEEvT0_T1_SJ_
	.p2align	8
	.type	_ZN6thrust23THRUST_200600_302600_NS11hip_rocprim14__parallel_for6kernelILj256ENS1_10__tabulate7functorINS0_6detail15normal_iteratorINS0_10device_ptrIsEEEENS0_6system6detail7generic6detail22compute_sequence_valueIsvEElEElLj1EEEvT0_T1_SJ_,@function
_ZN6thrust23THRUST_200600_302600_NS11hip_rocprim14__parallel_for6kernelILj256ENS1_10__tabulate7functorINS0_6detail15normal_iteratorINS0_10device_ptrIsEEEENS0_6system6detail7generic6detail22compute_sequence_valueIsvEElEElLj1EEEvT0_T1_SJ_: ; @_ZN6thrust23THRUST_200600_302600_NS11hip_rocprim14__parallel_for6kernelILj256ENS1_10__tabulate7functorINS0_6detail15normal_iteratorINS0_10device_ptrIsEEEENS0_6system6detail7generic6detail22compute_sequence_valueIsvEElEElLj1EEEvT0_T1_SJ_
; %bb.0:
	s_load_dwordx4 s[8:11], s[4:5], 0x10
	s_lshl_b32 s0, s6, 8
	v_mov_b32_e32 v2, 0x100
	v_mov_b32_e32 v3, 0
	s_waitcnt lgkmcnt(0)
	s_add_u32 s0, s0, s10
	s_addc_u32 s1, 0, s11
	s_sub_u32 s2, s8, s0
	s_subb_u32 s3, s9, s1
	v_cmp_lt_i64_e32 vcc, s[2:3], v[2:3]
	s_and_b64 s[6:7], vcc, exec
	s_cselect_b32 s6, s2, 0x100
	s_cmpk_eq_i32 s6, 0x100
	s_cselect_b64 s[2:3], -1, 0
	v_cmp_gt_u32_e32 vcc, s6, v0
	s_or_b64 s[2:3], s[2:3], vcc
	s_and_saveexec_b64 s[6:7], s[2:3]
	s_cbranch_execz .LBB320_2
; %bb.1:
	s_load_dword s6, s[4:5], 0x8
	s_load_dwordx2 s[2:3], s[4:5], 0x0
	v_mov_b32_e32 v1, s1
	v_add_co_u32_e32 v0, vcc, s0, v0
	s_waitcnt lgkmcnt(0)
	s_lshr_b32 s1, s6, 16
	v_addc_co_u32_e32 v1, vcc, 0, v1, vcc
	v_mov_b32_e32 v2, s6
	v_mad_legacy_u16 v2, s1, v0, v2
	v_lshlrev_b64 v[0:1], 1, v[0:1]
	v_mov_b32_e32 v3, s3
	v_add_co_u32_e32 v0, vcc, s2, v0
	v_addc_co_u32_e32 v1, vcc, v3, v1, vcc
	flat_store_short v[0:1], v2
.LBB320_2:
	s_endpgm
	.section	.rodata,"a",@progbits
	.p2align	6, 0x0
	.amdhsa_kernel _ZN6thrust23THRUST_200600_302600_NS11hip_rocprim14__parallel_for6kernelILj256ENS1_10__tabulate7functorINS0_6detail15normal_iteratorINS0_10device_ptrIsEEEENS0_6system6detail7generic6detail22compute_sequence_valueIsvEElEElLj1EEEvT0_T1_SJ_
		.amdhsa_group_segment_fixed_size 0
		.amdhsa_private_segment_fixed_size 0
		.amdhsa_kernarg_size 32
		.amdhsa_user_sgpr_count 6
		.amdhsa_user_sgpr_private_segment_buffer 1
		.amdhsa_user_sgpr_dispatch_ptr 0
		.amdhsa_user_sgpr_queue_ptr 0
		.amdhsa_user_sgpr_kernarg_segment_ptr 1
		.amdhsa_user_sgpr_dispatch_id 0
		.amdhsa_user_sgpr_flat_scratch_init 0
		.amdhsa_user_sgpr_kernarg_preload_length 0
		.amdhsa_user_sgpr_kernarg_preload_offset 0
		.amdhsa_user_sgpr_private_segment_size 0
		.amdhsa_uses_dynamic_stack 0
		.amdhsa_system_sgpr_private_segment_wavefront_offset 0
		.amdhsa_system_sgpr_workgroup_id_x 1
		.amdhsa_system_sgpr_workgroup_id_y 0
		.amdhsa_system_sgpr_workgroup_id_z 0
		.amdhsa_system_sgpr_workgroup_info 0
		.amdhsa_system_vgpr_workitem_id 0
		.amdhsa_next_free_vgpr 4
		.amdhsa_next_free_sgpr 12
		.amdhsa_accum_offset 4
		.amdhsa_reserve_vcc 1
		.amdhsa_reserve_flat_scratch 0
		.amdhsa_float_round_mode_32 0
		.amdhsa_float_round_mode_16_64 0
		.amdhsa_float_denorm_mode_32 3
		.amdhsa_float_denorm_mode_16_64 3
		.amdhsa_dx10_clamp 1
		.amdhsa_ieee_mode 1
		.amdhsa_fp16_overflow 0
		.amdhsa_tg_split 0
		.amdhsa_exception_fp_ieee_invalid_op 0
		.amdhsa_exception_fp_denorm_src 0
		.amdhsa_exception_fp_ieee_div_zero 0
		.amdhsa_exception_fp_ieee_overflow 0
		.amdhsa_exception_fp_ieee_underflow 0
		.amdhsa_exception_fp_ieee_inexact 0
		.amdhsa_exception_int_div_zero 0
	.end_amdhsa_kernel
	.section	.text._ZN6thrust23THRUST_200600_302600_NS11hip_rocprim14__parallel_for6kernelILj256ENS1_10__tabulate7functorINS0_6detail15normal_iteratorINS0_10device_ptrIsEEEENS0_6system6detail7generic6detail22compute_sequence_valueIsvEElEElLj1EEEvT0_T1_SJ_,"axG",@progbits,_ZN6thrust23THRUST_200600_302600_NS11hip_rocprim14__parallel_for6kernelILj256ENS1_10__tabulate7functorINS0_6detail15normal_iteratorINS0_10device_ptrIsEEEENS0_6system6detail7generic6detail22compute_sequence_valueIsvEElEElLj1EEEvT0_T1_SJ_,comdat
.Lfunc_end320:
	.size	_ZN6thrust23THRUST_200600_302600_NS11hip_rocprim14__parallel_for6kernelILj256ENS1_10__tabulate7functorINS0_6detail15normal_iteratorINS0_10device_ptrIsEEEENS0_6system6detail7generic6detail22compute_sequence_valueIsvEElEElLj1EEEvT0_T1_SJ_, .Lfunc_end320-_ZN6thrust23THRUST_200600_302600_NS11hip_rocprim14__parallel_for6kernelILj256ENS1_10__tabulate7functorINS0_6detail15normal_iteratorINS0_10device_ptrIsEEEENS0_6system6detail7generic6detail22compute_sequence_valueIsvEElEElLj1EEEvT0_T1_SJ_
                                        ; -- End function
	.section	.AMDGPU.csdata,"",@progbits
; Kernel info:
; codeLenInByte = 164
; NumSgprs: 16
; NumVgprs: 4
; NumAgprs: 0
; TotalNumVgprs: 4
; ScratchSize: 0
; MemoryBound: 0
; FloatMode: 240
; IeeeMode: 1
; LDSByteSize: 0 bytes/workgroup (compile time only)
; SGPRBlocks: 1
; VGPRBlocks: 0
; NumSGPRsForWavesPerEU: 16
; NumVGPRsForWavesPerEU: 4
; AccumOffset: 4
; Occupancy: 8
; WaveLimiterHint : 0
; COMPUTE_PGM_RSRC2:SCRATCH_EN: 0
; COMPUTE_PGM_RSRC2:USER_SGPR: 6
; COMPUTE_PGM_RSRC2:TRAP_HANDLER: 0
; COMPUTE_PGM_RSRC2:TGID_X_EN: 1
; COMPUTE_PGM_RSRC2:TGID_Y_EN: 0
; COMPUTE_PGM_RSRC2:TGID_Z_EN: 0
; COMPUTE_PGM_RSRC2:TIDIG_COMP_CNT: 0
; COMPUTE_PGM_RSRC3_GFX90A:ACCUM_OFFSET: 0
; COMPUTE_PGM_RSRC3_GFX90A:TG_SPLIT: 0
	.section	.text._ZN7rocprim17ROCPRIM_400000_NS6detail17trampoline_kernelINS0_14default_configENS1_27lower_bound_config_selectorIsiEEZNS1_14transform_implILb0ES3_S5_N6thrust23THRUST_200600_302600_NS6detail15normal_iteratorINS8_10device_ptrIsEEEENSA_INSB_IiEEEEZNS1_13binary_searchIS3_S5_SD_SD_SF_NS1_21lower_bound_search_opENS9_16wrapped_functionINS0_4lessIvEEbEEEE10hipError_tPvRmT1_T2_T3_mmT4_T5_P12ihipStream_tbEUlRKsE_EESM_SQ_SR_mSS_SV_bEUlT_E_NS1_11comp_targetILNS1_3genE0ELNS1_11target_archE4294967295ELNS1_3gpuE0ELNS1_3repE0EEENS1_30default_config_static_selectorELNS0_4arch9wavefront6targetE1EEEvSP_,"axG",@progbits,_ZN7rocprim17ROCPRIM_400000_NS6detail17trampoline_kernelINS0_14default_configENS1_27lower_bound_config_selectorIsiEEZNS1_14transform_implILb0ES3_S5_N6thrust23THRUST_200600_302600_NS6detail15normal_iteratorINS8_10device_ptrIsEEEENSA_INSB_IiEEEEZNS1_13binary_searchIS3_S5_SD_SD_SF_NS1_21lower_bound_search_opENS9_16wrapped_functionINS0_4lessIvEEbEEEE10hipError_tPvRmT1_T2_T3_mmT4_T5_P12ihipStream_tbEUlRKsE_EESM_SQ_SR_mSS_SV_bEUlT_E_NS1_11comp_targetILNS1_3genE0ELNS1_11target_archE4294967295ELNS1_3gpuE0ELNS1_3repE0EEENS1_30default_config_static_selectorELNS0_4arch9wavefront6targetE1EEEvSP_,comdat
	.protected	_ZN7rocprim17ROCPRIM_400000_NS6detail17trampoline_kernelINS0_14default_configENS1_27lower_bound_config_selectorIsiEEZNS1_14transform_implILb0ES3_S5_N6thrust23THRUST_200600_302600_NS6detail15normal_iteratorINS8_10device_ptrIsEEEENSA_INSB_IiEEEEZNS1_13binary_searchIS3_S5_SD_SD_SF_NS1_21lower_bound_search_opENS9_16wrapped_functionINS0_4lessIvEEbEEEE10hipError_tPvRmT1_T2_T3_mmT4_T5_P12ihipStream_tbEUlRKsE_EESM_SQ_SR_mSS_SV_bEUlT_E_NS1_11comp_targetILNS1_3genE0ELNS1_11target_archE4294967295ELNS1_3gpuE0ELNS1_3repE0EEENS1_30default_config_static_selectorELNS0_4arch9wavefront6targetE1EEEvSP_ ; -- Begin function _ZN7rocprim17ROCPRIM_400000_NS6detail17trampoline_kernelINS0_14default_configENS1_27lower_bound_config_selectorIsiEEZNS1_14transform_implILb0ES3_S5_N6thrust23THRUST_200600_302600_NS6detail15normal_iteratorINS8_10device_ptrIsEEEENSA_INSB_IiEEEEZNS1_13binary_searchIS3_S5_SD_SD_SF_NS1_21lower_bound_search_opENS9_16wrapped_functionINS0_4lessIvEEbEEEE10hipError_tPvRmT1_T2_T3_mmT4_T5_P12ihipStream_tbEUlRKsE_EESM_SQ_SR_mSS_SV_bEUlT_E_NS1_11comp_targetILNS1_3genE0ELNS1_11target_archE4294967295ELNS1_3gpuE0ELNS1_3repE0EEENS1_30default_config_static_selectorELNS0_4arch9wavefront6targetE1EEEvSP_
	.globl	_ZN7rocprim17ROCPRIM_400000_NS6detail17trampoline_kernelINS0_14default_configENS1_27lower_bound_config_selectorIsiEEZNS1_14transform_implILb0ES3_S5_N6thrust23THRUST_200600_302600_NS6detail15normal_iteratorINS8_10device_ptrIsEEEENSA_INSB_IiEEEEZNS1_13binary_searchIS3_S5_SD_SD_SF_NS1_21lower_bound_search_opENS9_16wrapped_functionINS0_4lessIvEEbEEEE10hipError_tPvRmT1_T2_T3_mmT4_T5_P12ihipStream_tbEUlRKsE_EESM_SQ_SR_mSS_SV_bEUlT_E_NS1_11comp_targetILNS1_3genE0ELNS1_11target_archE4294967295ELNS1_3gpuE0ELNS1_3repE0EEENS1_30default_config_static_selectorELNS0_4arch9wavefront6targetE1EEEvSP_
	.p2align	8
	.type	_ZN7rocprim17ROCPRIM_400000_NS6detail17trampoline_kernelINS0_14default_configENS1_27lower_bound_config_selectorIsiEEZNS1_14transform_implILb0ES3_S5_N6thrust23THRUST_200600_302600_NS6detail15normal_iteratorINS8_10device_ptrIsEEEENSA_INSB_IiEEEEZNS1_13binary_searchIS3_S5_SD_SD_SF_NS1_21lower_bound_search_opENS9_16wrapped_functionINS0_4lessIvEEbEEEE10hipError_tPvRmT1_T2_T3_mmT4_T5_P12ihipStream_tbEUlRKsE_EESM_SQ_SR_mSS_SV_bEUlT_E_NS1_11comp_targetILNS1_3genE0ELNS1_11target_archE4294967295ELNS1_3gpuE0ELNS1_3repE0EEENS1_30default_config_static_selectorELNS0_4arch9wavefront6targetE1EEEvSP_,@function
_ZN7rocprim17ROCPRIM_400000_NS6detail17trampoline_kernelINS0_14default_configENS1_27lower_bound_config_selectorIsiEEZNS1_14transform_implILb0ES3_S5_N6thrust23THRUST_200600_302600_NS6detail15normal_iteratorINS8_10device_ptrIsEEEENSA_INSB_IiEEEEZNS1_13binary_searchIS3_S5_SD_SD_SF_NS1_21lower_bound_search_opENS9_16wrapped_functionINS0_4lessIvEEbEEEE10hipError_tPvRmT1_T2_T3_mmT4_T5_P12ihipStream_tbEUlRKsE_EESM_SQ_SR_mSS_SV_bEUlT_E_NS1_11comp_targetILNS1_3genE0ELNS1_11target_archE4294967295ELNS1_3gpuE0ELNS1_3repE0EEENS1_30default_config_static_selectorELNS0_4arch9wavefront6targetE1EEEvSP_: ; @_ZN7rocprim17ROCPRIM_400000_NS6detail17trampoline_kernelINS0_14default_configENS1_27lower_bound_config_selectorIsiEEZNS1_14transform_implILb0ES3_S5_N6thrust23THRUST_200600_302600_NS6detail15normal_iteratorINS8_10device_ptrIsEEEENSA_INSB_IiEEEEZNS1_13binary_searchIS3_S5_SD_SD_SF_NS1_21lower_bound_search_opENS9_16wrapped_functionINS0_4lessIvEEbEEEE10hipError_tPvRmT1_T2_T3_mmT4_T5_P12ihipStream_tbEUlRKsE_EESM_SQ_SR_mSS_SV_bEUlT_E_NS1_11comp_targetILNS1_3genE0ELNS1_11target_archE4294967295ELNS1_3gpuE0ELNS1_3repE0EEENS1_30default_config_static_selectorELNS0_4arch9wavefront6targetE1EEEvSP_
; %bb.0:
	.section	.rodata,"a",@progbits
	.p2align	6, 0x0
	.amdhsa_kernel _ZN7rocprim17ROCPRIM_400000_NS6detail17trampoline_kernelINS0_14default_configENS1_27lower_bound_config_selectorIsiEEZNS1_14transform_implILb0ES3_S5_N6thrust23THRUST_200600_302600_NS6detail15normal_iteratorINS8_10device_ptrIsEEEENSA_INSB_IiEEEEZNS1_13binary_searchIS3_S5_SD_SD_SF_NS1_21lower_bound_search_opENS9_16wrapped_functionINS0_4lessIvEEbEEEE10hipError_tPvRmT1_T2_T3_mmT4_T5_P12ihipStream_tbEUlRKsE_EESM_SQ_SR_mSS_SV_bEUlT_E_NS1_11comp_targetILNS1_3genE0ELNS1_11target_archE4294967295ELNS1_3gpuE0ELNS1_3repE0EEENS1_30default_config_static_selectorELNS0_4arch9wavefront6targetE1EEEvSP_
		.amdhsa_group_segment_fixed_size 0
		.amdhsa_private_segment_fixed_size 0
		.amdhsa_kernarg_size 56
		.amdhsa_user_sgpr_count 6
		.amdhsa_user_sgpr_private_segment_buffer 1
		.amdhsa_user_sgpr_dispatch_ptr 0
		.amdhsa_user_sgpr_queue_ptr 0
		.amdhsa_user_sgpr_kernarg_segment_ptr 1
		.amdhsa_user_sgpr_dispatch_id 0
		.amdhsa_user_sgpr_flat_scratch_init 0
		.amdhsa_user_sgpr_kernarg_preload_length 0
		.amdhsa_user_sgpr_kernarg_preload_offset 0
		.amdhsa_user_sgpr_private_segment_size 0
		.amdhsa_uses_dynamic_stack 0
		.amdhsa_system_sgpr_private_segment_wavefront_offset 0
		.amdhsa_system_sgpr_workgroup_id_x 1
		.amdhsa_system_sgpr_workgroup_id_y 0
		.amdhsa_system_sgpr_workgroup_id_z 0
		.amdhsa_system_sgpr_workgroup_info 0
		.amdhsa_system_vgpr_workitem_id 0
		.amdhsa_next_free_vgpr 1
		.amdhsa_next_free_sgpr 0
		.amdhsa_accum_offset 4
		.amdhsa_reserve_vcc 0
		.amdhsa_reserve_flat_scratch 0
		.amdhsa_float_round_mode_32 0
		.amdhsa_float_round_mode_16_64 0
		.amdhsa_float_denorm_mode_32 3
		.amdhsa_float_denorm_mode_16_64 3
		.amdhsa_dx10_clamp 1
		.amdhsa_ieee_mode 1
		.amdhsa_fp16_overflow 0
		.amdhsa_tg_split 0
		.amdhsa_exception_fp_ieee_invalid_op 0
		.amdhsa_exception_fp_denorm_src 0
		.amdhsa_exception_fp_ieee_div_zero 0
		.amdhsa_exception_fp_ieee_overflow 0
		.amdhsa_exception_fp_ieee_underflow 0
		.amdhsa_exception_fp_ieee_inexact 0
		.amdhsa_exception_int_div_zero 0
	.end_amdhsa_kernel
	.section	.text._ZN7rocprim17ROCPRIM_400000_NS6detail17trampoline_kernelINS0_14default_configENS1_27lower_bound_config_selectorIsiEEZNS1_14transform_implILb0ES3_S5_N6thrust23THRUST_200600_302600_NS6detail15normal_iteratorINS8_10device_ptrIsEEEENSA_INSB_IiEEEEZNS1_13binary_searchIS3_S5_SD_SD_SF_NS1_21lower_bound_search_opENS9_16wrapped_functionINS0_4lessIvEEbEEEE10hipError_tPvRmT1_T2_T3_mmT4_T5_P12ihipStream_tbEUlRKsE_EESM_SQ_SR_mSS_SV_bEUlT_E_NS1_11comp_targetILNS1_3genE0ELNS1_11target_archE4294967295ELNS1_3gpuE0ELNS1_3repE0EEENS1_30default_config_static_selectorELNS0_4arch9wavefront6targetE1EEEvSP_,"axG",@progbits,_ZN7rocprim17ROCPRIM_400000_NS6detail17trampoline_kernelINS0_14default_configENS1_27lower_bound_config_selectorIsiEEZNS1_14transform_implILb0ES3_S5_N6thrust23THRUST_200600_302600_NS6detail15normal_iteratorINS8_10device_ptrIsEEEENSA_INSB_IiEEEEZNS1_13binary_searchIS3_S5_SD_SD_SF_NS1_21lower_bound_search_opENS9_16wrapped_functionINS0_4lessIvEEbEEEE10hipError_tPvRmT1_T2_T3_mmT4_T5_P12ihipStream_tbEUlRKsE_EESM_SQ_SR_mSS_SV_bEUlT_E_NS1_11comp_targetILNS1_3genE0ELNS1_11target_archE4294967295ELNS1_3gpuE0ELNS1_3repE0EEENS1_30default_config_static_selectorELNS0_4arch9wavefront6targetE1EEEvSP_,comdat
.Lfunc_end321:
	.size	_ZN7rocprim17ROCPRIM_400000_NS6detail17trampoline_kernelINS0_14default_configENS1_27lower_bound_config_selectorIsiEEZNS1_14transform_implILb0ES3_S5_N6thrust23THRUST_200600_302600_NS6detail15normal_iteratorINS8_10device_ptrIsEEEENSA_INSB_IiEEEEZNS1_13binary_searchIS3_S5_SD_SD_SF_NS1_21lower_bound_search_opENS9_16wrapped_functionINS0_4lessIvEEbEEEE10hipError_tPvRmT1_T2_T3_mmT4_T5_P12ihipStream_tbEUlRKsE_EESM_SQ_SR_mSS_SV_bEUlT_E_NS1_11comp_targetILNS1_3genE0ELNS1_11target_archE4294967295ELNS1_3gpuE0ELNS1_3repE0EEENS1_30default_config_static_selectorELNS0_4arch9wavefront6targetE1EEEvSP_, .Lfunc_end321-_ZN7rocprim17ROCPRIM_400000_NS6detail17trampoline_kernelINS0_14default_configENS1_27lower_bound_config_selectorIsiEEZNS1_14transform_implILb0ES3_S5_N6thrust23THRUST_200600_302600_NS6detail15normal_iteratorINS8_10device_ptrIsEEEENSA_INSB_IiEEEEZNS1_13binary_searchIS3_S5_SD_SD_SF_NS1_21lower_bound_search_opENS9_16wrapped_functionINS0_4lessIvEEbEEEE10hipError_tPvRmT1_T2_T3_mmT4_T5_P12ihipStream_tbEUlRKsE_EESM_SQ_SR_mSS_SV_bEUlT_E_NS1_11comp_targetILNS1_3genE0ELNS1_11target_archE4294967295ELNS1_3gpuE0ELNS1_3repE0EEENS1_30default_config_static_selectorELNS0_4arch9wavefront6targetE1EEEvSP_
                                        ; -- End function
	.section	.AMDGPU.csdata,"",@progbits
; Kernel info:
; codeLenInByte = 0
; NumSgprs: 4
; NumVgprs: 0
; NumAgprs: 0
; TotalNumVgprs: 0
; ScratchSize: 0
; MemoryBound: 0
; FloatMode: 240
; IeeeMode: 1
; LDSByteSize: 0 bytes/workgroup (compile time only)
; SGPRBlocks: 0
; VGPRBlocks: 0
; NumSGPRsForWavesPerEU: 4
; NumVGPRsForWavesPerEU: 1
; AccumOffset: 4
; Occupancy: 8
; WaveLimiterHint : 0
; COMPUTE_PGM_RSRC2:SCRATCH_EN: 0
; COMPUTE_PGM_RSRC2:USER_SGPR: 6
; COMPUTE_PGM_RSRC2:TRAP_HANDLER: 0
; COMPUTE_PGM_RSRC2:TGID_X_EN: 1
; COMPUTE_PGM_RSRC2:TGID_Y_EN: 0
; COMPUTE_PGM_RSRC2:TGID_Z_EN: 0
; COMPUTE_PGM_RSRC2:TIDIG_COMP_CNT: 0
; COMPUTE_PGM_RSRC3_GFX90A:ACCUM_OFFSET: 0
; COMPUTE_PGM_RSRC3_GFX90A:TG_SPLIT: 0
	.section	.text._ZN7rocprim17ROCPRIM_400000_NS6detail17trampoline_kernelINS0_14default_configENS1_27lower_bound_config_selectorIsiEEZNS1_14transform_implILb0ES3_S5_N6thrust23THRUST_200600_302600_NS6detail15normal_iteratorINS8_10device_ptrIsEEEENSA_INSB_IiEEEEZNS1_13binary_searchIS3_S5_SD_SD_SF_NS1_21lower_bound_search_opENS9_16wrapped_functionINS0_4lessIvEEbEEEE10hipError_tPvRmT1_T2_T3_mmT4_T5_P12ihipStream_tbEUlRKsE_EESM_SQ_SR_mSS_SV_bEUlT_E_NS1_11comp_targetILNS1_3genE5ELNS1_11target_archE942ELNS1_3gpuE9ELNS1_3repE0EEENS1_30default_config_static_selectorELNS0_4arch9wavefront6targetE1EEEvSP_,"axG",@progbits,_ZN7rocprim17ROCPRIM_400000_NS6detail17trampoline_kernelINS0_14default_configENS1_27lower_bound_config_selectorIsiEEZNS1_14transform_implILb0ES3_S5_N6thrust23THRUST_200600_302600_NS6detail15normal_iteratorINS8_10device_ptrIsEEEENSA_INSB_IiEEEEZNS1_13binary_searchIS3_S5_SD_SD_SF_NS1_21lower_bound_search_opENS9_16wrapped_functionINS0_4lessIvEEbEEEE10hipError_tPvRmT1_T2_T3_mmT4_T5_P12ihipStream_tbEUlRKsE_EESM_SQ_SR_mSS_SV_bEUlT_E_NS1_11comp_targetILNS1_3genE5ELNS1_11target_archE942ELNS1_3gpuE9ELNS1_3repE0EEENS1_30default_config_static_selectorELNS0_4arch9wavefront6targetE1EEEvSP_,comdat
	.protected	_ZN7rocprim17ROCPRIM_400000_NS6detail17trampoline_kernelINS0_14default_configENS1_27lower_bound_config_selectorIsiEEZNS1_14transform_implILb0ES3_S5_N6thrust23THRUST_200600_302600_NS6detail15normal_iteratorINS8_10device_ptrIsEEEENSA_INSB_IiEEEEZNS1_13binary_searchIS3_S5_SD_SD_SF_NS1_21lower_bound_search_opENS9_16wrapped_functionINS0_4lessIvEEbEEEE10hipError_tPvRmT1_T2_T3_mmT4_T5_P12ihipStream_tbEUlRKsE_EESM_SQ_SR_mSS_SV_bEUlT_E_NS1_11comp_targetILNS1_3genE5ELNS1_11target_archE942ELNS1_3gpuE9ELNS1_3repE0EEENS1_30default_config_static_selectorELNS0_4arch9wavefront6targetE1EEEvSP_ ; -- Begin function _ZN7rocprim17ROCPRIM_400000_NS6detail17trampoline_kernelINS0_14default_configENS1_27lower_bound_config_selectorIsiEEZNS1_14transform_implILb0ES3_S5_N6thrust23THRUST_200600_302600_NS6detail15normal_iteratorINS8_10device_ptrIsEEEENSA_INSB_IiEEEEZNS1_13binary_searchIS3_S5_SD_SD_SF_NS1_21lower_bound_search_opENS9_16wrapped_functionINS0_4lessIvEEbEEEE10hipError_tPvRmT1_T2_T3_mmT4_T5_P12ihipStream_tbEUlRKsE_EESM_SQ_SR_mSS_SV_bEUlT_E_NS1_11comp_targetILNS1_3genE5ELNS1_11target_archE942ELNS1_3gpuE9ELNS1_3repE0EEENS1_30default_config_static_selectorELNS0_4arch9wavefront6targetE1EEEvSP_
	.globl	_ZN7rocprim17ROCPRIM_400000_NS6detail17trampoline_kernelINS0_14default_configENS1_27lower_bound_config_selectorIsiEEZNS1_14transform_implILb0ES3_S5_N6thrust23THRUST_200600_302600_NS6detail15normal_iteratorINS8_10device_ptrIsEEEENSA_INSB_IiEEEEZNS1_13binary_searchIS3_S5_SD_SD_SF_NS1_21lower_bound_search_opENS9_16wrapped_functionINS0_4lessIvEEbEEEE10hipError_tPvRmT1_T2_T3_mmT4_T5_P12ihipStream_tbEUlRKsE_EESM_SQ_SR_mSS_SV_bEUlT_E_NS1_11comp_targetILNS1_3genE5ELNS1_11target_archE942ELNS1_3gpuE9ELNS1_3repE0EEENS1_30default_config_static_selectorELNS0_4arch9wavefront6targetE1EEEvSP_
	.p2align	8
	.type	_ZN7rocprim17ROCPRIM_400000_NS6detail17trampoline_kernelINS0_14default_configENS1_27lower_bound_config_selectorIsiEEZNS1_14transform_implILb0ES3_S5_N6thrust23THRUST_200600_302600_NS6detail15normal_iteratorINS8_10device_ptrIsEEEENSA_INSB_IiEEEEZNS1_13binary_searchIS3_S5_SD_SD_SF_NS1_21lower_bound_search_opENS9_16wrapped_functionINS0_4lessIvEEbEEEE10hipError_tPvRmT1_T2_T3_mmT4_T5_P12ihipStream_tbEUlRKsE_EESM_SQ_SR_mSS_SV_bEUlT_E_NS1_11comp_targetILNS1_3genE5ELNS1_11target_archE942ELNS1_3gpuE9ELNS1_3repE0EEENS1_30default_config_static_selectorELNS0_4arch9wavefront6targetE1EEEvSP_,@function
_ZN7rocprim17ROCPRIM_400000_NS6detail17trampoline_kernelINS0_14default_configENS1_27lower_bound_config_selectorIsiEEZNS1_14transform_implILb0ES3_S5_N6thrust23THRUST_200600_302600_NS6detail15normal_iteratorINS8_10device_ptrIsEEEENSA_INSB_IiEEEEZNS1_13binary_searchIS3_S5_SD_SD_SF_NS1_21lower_bound_search_opENS9_16wrapped_functionINS0_4lessIvEEbEEEE10hipError_tPvRmT1_T2_T3_mmT4_T5_P12ihipStream_tbEUlRKsE_EESM_SQ_SR_mSS_SV_bEUlT_E_NS1_11comp_targetILNS1_3genE5ELNS1_11target_archE942ELNS1_3gpuE9ELNS1_3repE0EEENS1_30default_config_static_selectorELNS0_4arch9wavefront6targetE1EEEvSP_: ; @_ZN7rocprim17ROCPRIM_400000_NS6detail17trampoline_kernelINS0_14default_configENS1_27lower_bound_config_selectorIsiEEZNS1_14transform_implILb0ES3_S5_N6thrust23THRUST_200600_302600_NS6detail15normal_iteratorINS8_10device_ptrIsEEEENSA_INSB_IiEEEEZNS1_13binary_searchIS3_S5_SD_SD_SF_NS1_21lower_bound_search_opENS9_16wrapped_functionINS0_4lessIvEEbEEEE10hipError_tPvRmT1_T2_T3_mmT4_T5_P12ihipStream_tbEUlRKsE_EESM_SQ_SR_mSS_SV_bEUlT_E_NS1_11comp_targetILNS1_3genE5ELNS1_11target_archE942ELNS1_3gpuE9ELNS1_3repE0EEENS1_30default_config_static_selectorELNS0_4arch9wavefront6targetE1EEEvSP_
; %bb.0:
	.section	.rodata,"a",@progbits
	.p2align	6, 0x0
	.amdhsa_kernel _ZN7rocprim17ROCPRIM_400000_NS6detail17trampoline_kernelINS0_14default_configENS1_27lower_bound_config_selectorIsiEEZNS1_14transform_implILb0ES3_S5_N6thrust23THRUST_200600_302600_NS6detail15normal_iteratorINS8_10device_ptrIsEEEENSA_INSB_IiEEEEZNS1_13binary_searchIS3_S5_SD_SD_SF_NS1_21lower_bound_search_opENS9_16wrapped_functionINS0_4lessIvEEbEEEE10hipError_tPvRmT1_T2_T3_mmT4_T5_P12ihipStream_tbEUlRKsE_EESM_SQ_SR_mSS_SV_bEUlT_E_NS1_11comp_targetILNS1_3genE5ELNS1_11target_archE942ELNS1_3gpuE9ELNS1_3repE0EEENS1_30default_config_static_selectorELNS0_4arch9wavefront6targetE1EEEvSP_
		.amdhsa_group_segment_fixed_size 0
		.amdhsa_private_segment_fixed_size 0
		.amdhsa_kernarg_size 56
		.amdhsa_user_sgpr_count 6
		.amdhsa_user_sgpr_private_segment_buffer 1
		.amdhsa_user_sgpr_dispatch_ptr 0
		.amdhsa_user_sgpr_queue_ptr 0
		.amdhsa_user_sgpr_kernarg_segment_ptr 1
		.amdhsa_user_sgpr_dispatch_id 0
		.amdhsa_user_sgpr_flat_scratch_init 0
		.amdhsa_user_sgpr_kernarg_preload_length 0
		.amdhsa_user_sgpr_kernarg_preload_offset 0
		.amdhsa_user_sgpr_private_segment_size 0
		.amdhsa_uses_dynamic_stack 0
		.amdhsa_system_sgpr_private_segment_wavefront_offset 0
		.amdhsa_system_sgpr_workgroup_id_x 1
		.amdhsa_system_sgpr_workgroup_id_y 0
		.amdhsa_system_sgpr_workgroup_id_z 0
		.amdhsa_system_sgpr_workgroup_info 0
		.amdhsa_system_vgpr_workitem_id 0
		.amdhsa_next_free_vgpr 1
		.amdhsa_next_free_sgpr 0
		.amdhsa_accum_offset 4
		.amdhsa_reserve_vcc 0
		.amdhsa_reserve_flat_scratch 0
		.amdhsa_float_round_mode_32 0
		.amdhsa_float_round_mode_16_64 0
		.amdhsa_float_denorm_mode_32 3
		.amdhsa_float_denorm_mode_16_64 3
		.amdhsa_dx10_clamp 1
		.amdhsa_ieee_mode 1
		.amdhsa_fp16_overflow 0
		.amdhsa_tg_split 0
		.amdhsa_exception_fp_ieee_invalid_op 0
		.amdhsa_exception_fp_denorm_src 0
		.amdhsa_exception_fp_ieee_div_zero 0
		.amdhsa_exception_fp_ieee_overflow 0
		.amdhsa_exception_fp_ieee_underflow 0
		.amdhsa_exception_fp_ieee_inexact 0
		.amdhsa_exception_int_div_zero 0
	.end_amdhsa_kernel
	.section	.text._ZN7rocprim17ROCPRIM_400000_NS6detail17trampoline_kernelINS0_14default_configENS1_27lower_bound_config_selectorIsiEEZNS1_14transform_implILb0ES3_S5_N6thrust23THRUST_200600_302600_NS6detail15normal_iteratorINS8_10device_ptrIsEEEENSA_INSB_IiEEEEZNS1_13binary_searchIS3_S5_SD_SD_SF_NS1_21lower_bound_search_opENS9_16wrapped_functionINS0_4lessIvEEbEEEE10hipError_tPvRmT1_T2_T3_mmT4_T5_P12ihipStream_tbEUlRKsE_EESM_SQ_SR_mSS_SV_bEUlT_E_NS1_11comp_targetILNS1_3genE5ELNS1_11target_archE942ELNS1_3gpuE9ELNS1_3repE0EEENS1_30default_config_static_selectorELNS0_4arch9wavefront6targetE1EEEvSP_,"axG",@progbits,_ZN7rocprim17ROCPRIM_400000_NS6detail17trampoline_kernelINS0_14default_configENS1_27lower_bound_config_selectorIsiEEZNS1_14transform_implILb0ES3_S5_N6thrust23THRUST_200600_302600_NS6detail15normal_iteratorINS8_10device_ptrIsEEEENSA_INSB_IiEEEEZNS1_13binary_searchIS3_S5_SD_SD_SF_NS1_21lower_bound_search_opENS9_16wrapped_functionINS0_4lessIvEEbEEEE10hipError_tPvRmT1_T2_T3_mmT4_T5_P12ihipStream_tbEUlRKsE_EESM_SQ_SR_mSS_SV_bEUlT_E_NS1_11comp_targetILNS1_3genE5ELNS1_11target_archE942ELNS1_3gpuE9ELNS1_3repE0EEENS1_30default_config_static_selectorELNS0_4arch9wavefront6targetE1EEEvSP_,comdat
.Lfunc_end322:
	.size	_ZN7rocprim17ROCPRIM_400000_NS6detail17trampoline_kernelINS0_14default_configENS1_27lower_bound_config_selectorIsiEEZNS1_14transform_implILb0ES3_S5_N6thrust23THRUST_200600_302600_NS6detail15normal_iteratorINS8_10device_ptrIsEEEENSA_INSB_IiEEEEZNS1_13binary_searchIS3_S5_SD_SD_SF_NS1_21lower_bound_search_opENS9_16wrapped_functionINS0_4lessIvEEbEEEE10hipError_tPvRmT1_T2_T3_mmT4_T5_P12ihipStream_tbEUlRKsE_EESM_SQ_SR_mSS_SV_bEUlT_E_NS1_11comp_targetILNS1_3genE5ELNS1_11target_archE942ELNS1_3gpuE9ELNS1_3repE0EEENS1_30default_config_static_selectorELNS0_4arch9wavefront6targetE1EEEvSP_, .Lfunc_end322-_ZN7rocprim17ROCPRIM_400000_NS6detail17trampoline_kernelINS0_14default_configENS1_27lower_bound_config_selectorIsiEEZNS1_14transform_implILb0ES3_S5_N6thrust23THRUST_200600_302600_NS6detail15normal_iteratorINS8_10device_ptrIsEEEENSA_INSB_IiEEEEZNS1_13binary_searchIS3_S5_SD_SD_SF_NS1_21lower_bound_search_opENS9_16wrapped_functionINS0_4lessIvEEbEEEE10hipError_tPvRmT1_T2_T3_mmT4_T5_P12ihipStream_tbEUlRKsE_EESM_SQ_SR_mSS_SV_bEUlT_E_NS1_11comp_targetILNS1_3genE5ELNS1_11target_archE942ELNS1_3gpuE9ELNS1_3repE0EEENS1_30default_config_static_selectorELNS0_4arch9wavefront6targetE1EEEvSP_
                                        ; -- End function
	.section	.AMDGPU.csdata,"",@progbits
; Kernel info:
; codeLenInByte = 0
; NumSgprs: 4
; NumVgprs: 0
; NumAgprs: 0
; TotalNumVgprs: 0
; ScratchSize: 0
; MemoryBound: 0
; FloatMode: 240
; IeeeMode: 1
; LDSByteSize: 0 bytes/workgroup (compile time only)
; SGPRBlocks: 0
; VGPRBlocks: 0
; NumSGPRsForWavesPerEU: 4
; NumVGPRsForWavesPerEU: 1
; AccumOffset: 4
; Occupancy: 8
; WaveLimiterHint : 0
; COMPUTE_PGM_RSRC2:SCRATCH_EN: 0
; COMPUTE_PGM_RSRC2:USER_SGPR: 6
; COMPUTE_PGM_RSRC2:TRAP_HANDLER: 0
; COMPUTE_PGM_RSRC2:TGID_X_EN: 1
; COMPUTE_PGM_RSRC2:TGID_Y_EN: 0
; COMPUTE_PGM_RSRC2:TGID_Z_EN: 0
; COMPUTE_PGM_RSRC2:TIDIG_COMP_CNT: 0
; COMPUTE_PGM_RSRC3_GFX90A:ACCUM_OFFSET: 0
; COMPUTE_PGM_RSRC3_GFX90A:TG_SPLIT: 0
	.section	.text._ZN7rocprim17ROCPRIM_400000_NS6detail17trampoline_kernelINS0_14default_configENS1_27lower_bound_config_selectorIsiEEZNS1_14transform_implILb0ES3_S5_N6thrust23THRUST_200600_302600_NS6detail15normal_iteratorINS8_10device_ptrIsEEEENSA_INSB_IiEEEEZNS1_13binary_searchIS3_S5_SD_SD_SF_NS1_21lower_bound_search_opENS9_16wrapped_functionINS0_4lessIvEEbEEEE10hipError_tPvRmT1_T2_T3_mmT4_T5_P12ihipStream_tbEUlRKsE_EESM_SQ_SR_mSS_SV_bEUlT_E_NS1_11comp_targetILNS1_3genE4ELNS1_11target_archE910ELNS1_3gpuE8ELNS1_3repE0EEENS1_30default_config_static_selectorELNS0_4arch9wavefront6targetE1EEEvSP_,"axG",@progbits,_ZN7rocprim17ROCPRIM_400000_NS6detail17trampoline_kernelINS0_14default_configENS1_27lower_bound_config_selectorIsiEEZNS1_14transform_implILb0ES3_S5_N6thrust23THRUST_200600_302600_NS6detail15normal_iteratorINS8_10device_ptrIsEEEENSA_INSB_IiEEEEZNS1_13binary_searchIS3_S5_SD_SD_SF_NS1_21lower_bound_search_opENS9_16wrapped_functionINS0_4lessIvEEbEEEE10hipError_tPvRmT1_T2_T3_mmT4_T5_P12ihipStream_tbEUlRKsE_EESM_SQ_SR_mSS_SV_bEUlT_E_NS1_11comp_targetILNS1_3genE4ELNS1_11target_archE910ELNS1_3gpuE8ELNS1_3repE0EEENS1_30default_config_static_selectorELNS0_4arch9wavefront6targetE1EEEvSP_,comdat
	.protected	_ZN7rocprim17ROCPRIM_400000_NS6detail17trampoline_kernelINS0_14default_configENS1_27lower_bound_config_selectorIsiEEZNS1_14transform_implILb0ES3_S5_N6thrust23THRUST_200600_302600_NS6detail15normal_iteratorINS8_10device_ptrIsEEEENSA_INSB_IiEEEEZNS1_13binary_searchIS3_S5_SD_SD_SF_NS1_21lower_bound_search_opENS9_16wrapped_functionINS0_4lessIvEEbEEEE10hipError_tPvRmT1_T2_T3_mmT4_T5_P12ihipStream_tbEUlRKsE_EESM_SQ_SR_mSS_SV_bEUlT_E_NS1_11comp_targetILNS1_3genE4ELNS1_11target_archE910ELNS1_3gpuE8ELNS1_3repE0EEENS1_30default_config_static_selectorELNS0_4arch9wavefront6targetE1EEEvSP_ ; -- Begin function _ZN7rocprim17ROCPRIM_400000_NS6detail17trampoline_kernelINS0_14default_configENS1_27lower_bound_config_selectorIsiEEZNS1_14transform_implILb0ES3_S5_N6thrust23THRUST_200600_302600_NS6detail15normal_iteratorINS8_10device_ptrIsEEEENSA_INSB_IiEEEEZNS1_13binary_searchIS3_S5_SD_SD_SF_NS1_21lower_bound_search_opENS9_16wrapped_functionINS0_4lessIvEEbEEEE10hipError_tPvRmT1_T2_T3_mmT4_T5_P12ihipStream_tbEUlRKsE_EESM_SQ_SR_mSS_SV_bEUlT_E_NS1_11comp_targetILNS1_3genE4ELNS1_11target_archE910ELNS1_3gpuE8ELNS1_3repE0EEENS1_30default_config_static_selectorELNS0_4arch9wavefront6targetE1EEEvSP_
	.globl	_ZN7rocprim17ROCPRIM_400000_NS6detail17trampoline_kernelINS0_14default_configENS1_27lower_bound_config_selectorIsiEEZNS1_14transform_implILb0ES3_S5_N6thrust23THRUST_200600_302600_NS6detail15normal_iteratorINS8_10device_ptrIsEEEENSA_INSB_IiEEEEZNS1_13binary_searchIS3_S5_SD_SD_SF_NS1_21lower_bound_search_opENS9_16wrapped_functionINS0_4lessIvEEbEEEE10hipError_tPvRmT1_T2_T3_mmT4_T5_P12ihipStream_tbEUlRKsE_EESM_SQ_SR_mSS_SV_bEUlT_E_NS1_11comp_targetILNS1_3genE4ELNS1_11target_archE910ELNS1_3gpuE8ELNS1_3repE0EEENS1_30default_config_static_selectorELNS0_4arch9wavefront6targetE1EEEvSP_
	.p2align	8
	.type	_ZN7rocprim17ROCPRIM_400000_NS6detail17trampoline_kernelINS0_14default_configENS1_27lower_bound_config_selectorIsiEEZNS1_14transform_implILb0ES3_S5_N6thrust23THRUST_200600_302600_NS6detail15normal_iteratorINS8_10device_ptrIsEEEENSA_INSB_IiEEEEZNS1_13binary_searchIS3_S5_SD_SD_SF_NS1_21lower_bound_search_opENS9_16wrapped_functionINS0_4lessIvEEbEEEE10hipError_tPvRmT1_T2_T3_mmT4_T5_P12ihipStream_tbEUlRKsE_EESM_SQ_SR_mSS_SV_bEUlT_E_NS1_11comp_targetILNS1_3genE4ELNS1_11target_archE910ELNS1_3gpuE8ELNS1_3repE0EEENS1_30default_config_static_selectorELNS0_4arch9wavefront6targetE1EEEvSP_,@function
_ZN7rocprim17ROCPRIM_400000_NS6detail17trampoline_kernelINS0_14default_configENS1_27lower_bound_config_selectorIsiEEZNS1_14transform_implILb0ES3_S5_N6thrust23THRUST_200600_302600_NS6detail15normal_iteratorINS8_10device_ptrIsEEEENSA_INSB_IiEEEEZNS1_13binary_searchIS3_S5_SD_SD_SF_NS1_21lower_bound_search_opENS9_16wrapped_functionINS0_4lessIvEEbEEEE10hipError_tPvRmT1_T2_T3_mmT4_T5_P12ihipStream_tbEUlRKsE_EESM_SQ_SR_mSS_SV_bEUlT_E_NS1_11comp_targetILNS1_3genE4ELNS1_11target_archE910ELNS1_3gpuE8ELNS1_3repE0EEENS1_30default_config_static_selectorELNS0_4arch9wavefront6targetE1EEEvSP_: ; @_ZN7rocprim17ROCPRIM_400000_NS6detail17trampoline_kernelINS0_14default_configENS1_27lower_bound_config_selectorIsiEEZNS1_14transform_implILb0ES3_S5_N6thrust23THRUST_200600_302600_NS6detail15normal_iteratorINS8_10device_ptrIsEEEENSA_INSB_IiEEEEZNS1_13binary_searchIS3_S5_SD_SD_SF_NS1_21lower_bound_search_opENS9_16wrapped_functionINS0_4lessIvEEbEEEE10hipError_tPvRmT1_T2_T3_mmT4_T5_P12ihipStream_tbEUlRKsE_EESM_SQ_SR_mSS_SV_bEUlT_E_NS1_11comp_targetILNS1_3genE4ELNS1_11target_archE910ELNS1_3gpuE8ELNS1_3repE0EEENS1_30default_config_static_selectorELNS0_4arch9wavefront6targetE1EEEvSP_
; %bb.0:
	s_load_dwordx4 s[16:19], s[4:5], 0x0
	s_load_dwordx4 s[0:3], s[4:5], 0x18
	s_load_dwordx2 s[10:11], s[4:5], 0x28
	s_load_dword s15, s[4:5], 0x38
	s_waitcnt lgkmcnt(0)
	s_lshl_b64 s[8:9], s[18:19], 1
	s_add_u32 s7, s16, s8
	s_addc_u32 s14, s17, s9
	s_lshl_b64 s[8:9], s[18:19], 2
	s_add_u32 s12, s0, s8
	s_addc_u32 s13, s1, s9
	s_lshl_b32 s8, s6, 8
	s_add_i32 s15, s15, -1
	s_mov_b32 s9, 0
	s_cmp_lg_u32 s6, s15
	s_mov_b64 s[0:1], -1
	s_cbranch_scc0 .LBB323_6
; %bb.1:
	v_mov_b32_e32 v2, 0
	s_cmp_eq_u64 s[10:11], 0
	s_mov_b64 s[0:1], 0
	s_cbranch_scc1 .LBB323_5
; %bb.2:
	s_lshl_b64 s[16:17], s[8:9], 1
	s_add_u32 s6, s7, s16
	s_addc_u32 s15, s14, s17
	v_lshlrev_b32_e32 v1, 1, v0
	v_mov_b32_e32 v3, s15
	v_add_co_u32_e32 v2, vcc, s6, v1
	v_addc_co_u32_e32 v3, vcc, 0, v3, vcc
	flat_load_ushort v1, v[2:3]
	v_pk_mov_b32 v[2:3], 0, 0
	v_pk_mov_b32 v[4:5], s[10:11], s[10:11] op_sel:[0,1]
	v_mov_b32_e32 v6, s3
.LBB323_3:                              ; =>This Inner Loop Header: Depth=1
	v_sub_co_u32_e32 v8, vcc, v4, v2
	v_subb_co_u32_e32 v9, vcc, v5, v3, vcc
	v_lshrrev_b64 v[10:11], 1, v[8:9]
	v_add_co_u32_e32 v7, vcc, v10, v2
	v_lshrrev_b64 v[8:9], 6, v[8:9]
	v_addc_co_u32_e32 v10, vcc, v11, v3, vcc
	v_add_co_u32_e32 v8, vcc, v7, v8
	v_addc_co_u32_e32 v9, vcc, v10, v9, vcc
	v_lshlrev_b64 v[10:11], 1, v[8:9]
	v_add_co_u32_e32 v10, vcc, s2, v10
	v_addc_co_u32_e32 v11, vcc, v6, v11, vcc
	global_load_ushort v7, v[10:11], off
	v_add_co_u32_e32 v10, vcc, 1, v8
	v_addc_co_u32_e32 v11, vcc, 0, v9, vcc
	s_waitcnt vmcnt(0) lgkmcnt(0)
	v_cmp_lt_i16_e32 vcc, v7, v1
	v_cndmask_b32_e32 v5, v9, v5, vcc
	v_cndmask_b32_e32 v4, v8, v4, vcc
	;; [unrolled: 1-line block ×4, first 2 shown]
	v_cmp_ge_u64_e32 vcc, v[2:3], v[4:5]
	s_or_b64 s[0:1], vcc, s[0:1]
	s_andn2_b64 exec, exec, s[0:1]
	s_cbranch_execnz .LBB323_3
; %bb.4:
	s_or_b64 exec, exec, s[0:1]
.LBB323_5:
	s_lshl_b64 s[0:1], s[8:9], 2
	s_add_u32 s0, s12, s0
	s_addc_u32 s1, s13, s1
	v_lshlrev_b32_e32 v1, 2, v0
	v_mov_b32_e32 v3, s1
	v_add_co_u32_e32 v4, vcc, s0, v1
	v_addc_co_u32_e32 v5, vcc, 0, v3, vcc
	s_mov_b64 s[0:1], 0
	flat_store_dword v[4:5], v2
.LBB323_6:
	s_and_b64 vcc, exec, s[0:1]
	s_cbranch_vccz .LBB323_11
; %bb.7:
	s_load_dword s0, s[4:5], 0x10
                                        ; implicit-def: $vgpr1
	s_waitcnt lgkmcnt(0)
	s_sub_i32 s0, s0, s8
	v_cmp_gt_u32_e32 vcc, s0, v0
	s_and_saveexec_b64 s[4:5], vcc
	s_cbranch_execnz .LBB323_12
; %bb.8:
	s_or_b64 exec, exec, s[4:5]
                                        ; implicit-def: $vgpr2
	s_and_saveexec_b64 s[4:5], vcc
	s_cbranch_execnz .LBB323_13
.LBB323_9:
	s_or_b64 exec, exec, s[4:5]
	s_and_saveexec_b64 s[0:1], vcc
	s_cbranch_execz .LBB323_11
.LBB323_10:
	s_lshl_b64 s[0:1], s[8:9], 2
	s_add_u32 s0, s12, s0
	s_addc_u32 s1, s13, s1
	v_lshlrev_b32_e32 v0, 2, v0
	s_waitcnt vmcnt(0) lgkmcnt(0)
	v_mov_b32_e32 v1, s1
	v_add_co_u32_e32 v0, vcc, s0, v0
	v_addc_co_u32_e32 v1, vcc, 0, v1, vcc
	flat_store_dword v[0:1], v2
.LBB323_11:
	s_endpgm
.LBB323_12:
	s_lshl_b64 s[0:1], s[8:9], 1
	s_add_u32 s0, s7, s0
	s_addc_u32 s1, s14, s1
	v_lshlrev_b32_e32 v1, 1, v0
	v_mov_b32_e32 v3, s1
	v_add_co_u32_e64 v2, s[0:1], s0, v1
	v_addc_co_u32_e64 v3, s[0:1], 0, v3, s[0:1]
	flat_load_ushort v1, v[2:3]
	s_or_b64 exec, exec, s[4:5]
                                        ; implicit-def: $vgpr2
	s_and_saveexec_b64 s[4:5], vcc
	s_cbranch_execz .LBB323_9
.LBB323_13:
	s_cmp_eq_u64 s[10:11], 0
	s_mov_b64 s[6:7], 0
	s_cbranch_scc1 .LBB323_17
; %bb.14:
	v_pk_mov_b32 v[2:3], 0, 0
	v_pk_mov_b32 v[4:5], s[10:11], s[10:11] op_sel:[0,1]
	v_mov_b32_e32 v6, s3
.LBB323_15:                             ; =>This Inner Loop Header: Depth=1
	v_sub_co_u32_e64 v8, s[0:1], v4, v2
	v_subb_co_u32_e64 v9, s[0:1], v5, v3, s[0:1]
	v_lshrrev_b64 v[10:11], 1, v[8:9]
	v_add_co_u32_e64 v7, s[0:1], v10, v2
	v_lshrrev_b64 v[8:9], 6, v[8:9]
	v_addc_co_u32_e64 v10, s[0:1], v11, v3, s[0:1]
	v_add_co_u32_e64 v8, s[0:1], v7, v8
	v_addc_co_u32_e64 v9, s[0:1], v10, v9, s[0:1]
	v_lshlrev_b64 v[10:11], 1, v[8:9]
	v_add_co_u32_e64 v10, s[0:1], s2, v10
	v_addc_co_u32_e64 v11, s[0:1], v6, v11, s[0:1]
	global_load_ushort v7, v[10:11], off
	v_add_co_u32_e64 v10, s[0:1], 1, v8
	v_addc_co_u32_e64 v11, s[0:1], 0, v9, s[0:1]
	s_waitcnt vmcnt(0) lgkmcnt(0)
	v_cmp_lt_i16_e64 s[0:1], v7, v1
	v_cndmask_b32_e64 v5, v9, v5, s[0:1]
	v_cndmask_b32_e64 v4, v8, v4, s[0:1]
	;; [unrolled: 1-line block ×4, first 2 shown]
	v_cmp_ge_u64_e64 s[0:1], v[2:3], v[4:5]
	s_or_b64 s[6:7], s[0:1], s[6:7]
	s_andn2_b64 exec, exec, s[6:7]
	s_cbranch_execnz .LBB323_15
; %bb.16:
	s_or_b64 exec, exec, s[6:7]
	s_or_b64 exec, exec, s[4:5]
	s_and_saveexec_b64 s[0:1], vcc
	s_cbranch_execnz .LBB323_10
	s_branch .LBB323_11
.LBB323_17:
	v_mov_b32_e32 v2, 0
	s_or_b64 exec, exec, s[4:5]
	s_and_saveexec_b64 s[0:1], vcc
	s_cbranch_execnz .LBB323_10
	s_branch .LBB323_11
	.section	.rodata,"a",@progbits
	.p2align	6, 0x0
	.amdhsa_kernel _ZN7rocprim17ROCPRIM_400000_NS6detail17trampoline_kernelINS0_14default_configENS1_27lower_bound_config_selectorIsiEEZNS1_14transform_implILb0ES3_S5_N6thrust23THRUST_200600_302600_NS6detail15normal_iteratorINS8_10device_ptrIsEEEENSA_INSB_IiEEEEZNS1_13binary_searchIS3_S5_SD_SD_SF_NS1_21lower_bound_search_opENS9_16wrapped_functionINS0_4lessIvEEbEEEE10hipError_tPvRmT1_T2_T3_mmT4_T5_P12ihipStream_tbEUlRKsE_EESM_SQ_SR_mSS_SV_bEUlT_E_NS1_11comp_targetILNS1_3genE4ELNS1_11target_archE910ELNS1_3gpuE8ELNS1_3repE0EEENS1_30default_config_static_selectorELNS0_4arch9wavefront6targetE1EEEvSP_
		.amdhsa_group_segment_fixed_size 0
		.amdhsa_private_segment_fixed_size 0
		.amdhsa_kernarg_size 312
		.amdhsa_user_sgpr_count 6
		.amdhsa_user_sgpr_private_segment_buffer 1
		.amdhsa_user_sgpr_dispatch_ptr 0
		.amdhsa_user_sgpr_queue_ptr 0
		.amdhsa_user_sgpr_kernarg_segment_ptr 1
		.amdhsa_user_sgpr_dispatch_id 0
		.amdhsa_user_sgpr_flat_scratch_init 0
		.amdhsa_user_sgpr_kernarg_preload_length 0
		.amdhsa_user_sgpr_kernarg_preload_offset 0
		.amdhsa_user_sgpr_private_segment_size 0
		.amdhsa_uses_dynamic_stack 0
		.amdhsa_system_sgpr_private_segment_wavefront_offset 0
		.amdhsa_system_sgpr_workgroup_id_x 1
		.amdhsa_system_sgpr_workgroup_id_y 0
		.amdhsa_system_sgpr_workgroup_id_z 0
		.amdhsa_system_sgpr_workgroup_info 0
		.amdhsa_system_vgpr_workitem_id 0
		.amdhsa_next_free_vgpr 12
		.amdhsa_next_free_sgpr 20
		.amdhsa_accum_offset 12
		.amdhsa_reserve_vcc 1
		.amdhsa_reserve_flat_scratch 0
		.amdhsa_float_round_mode_32 0
		.amdhsa_float_round_mode_16_64 0
		.amdhsa_float_denorm_mode_32 3
		.amdhsa_float_denorm_mode_16_64 3
		.amdhsa_dx10_clamp 1
		.amdhsa_ieee_mode 1
		.amdhsa_fp16_overflow 0
		.amdhsa_tg_split 0
		.amdhsa_exception_fp_ieee_invalid_op 0
		.amdhsa_exception_fp_denorm_src 0
		.amdhsa_exception_fp_ieee_div_zero 0
		.amdhsa_exception_fp_ieee_overflow 0
		.amdhsa_exception_fp_ieee_underflow 0
		.amdhsa_exception_fp_ieee_inexact 0
		.amdhsa_exception_int_div_zero 0
	.end_amdhsa_kernel
	.section	.text._ZN7rocprim17ROCPRIM_400000_NS6detail17trampoline_kernelINS0_14default_configENS1_27lower_bound_config_selectorIsiEEZNS1_14transform_implILb0ES3_S5_N6thrust23THRUST_200600_302600_NS6detail15normal_iteratorINS8_10device_ptrIsEEEENSA_INSB_IiEEEEZNS1_13binary_searchIS3_S5_SD_SD_SF_NS1_21lower_bound_search_opENS9_16wrapped_functionINS0_4lessIvEEbEEEE10hipError_tPvRmT1_T2_T3_mmT4_T5_P12ihipStream_tbEUlRKsE_EESM_SQ_SR_mSS_SV_bEUlT_E_NS1_11comp_targetILNS1_3genE4ELNS1_11target_archE910ELNS1_3gpuE8ELNS1_3repE0EEENS1_30default_config_static_selectorELNS0_4arch9wavefront6targetE1EEEvSP_,"axG",@progbits,_ZN7rocprim17ROCPRIM_400000_NS6detail17trampoline_kernelINS0_14default_configENS1_27lower_bound_config_selectorIsiEEZNS1_14transform_implILb0ES3_S5_N6thrust23THRUST_200600_302600_NS6detail15normal_iteratorINS8_10device_ptrIsEEEENSA_INSB_IiEEEEZNS1_13binary_searchIS3_S5_SD_SD_SF_NS1_21lower_bound_search_opENS9_16wrapped_functionINS0_4lessIvEEbEEEE10hipError_tPvRmT1_T2_T3_mmT4_T5_P12ihipStream_tbEUlRKsE_EESM_SQ_SR_mSS_SV_bEUlT_E_NS1_11comp_targetILNS1_3genE4ELNS1_11target_archE910ELNS1_3gpuE8ELNS1_3repE0EEENS1_30default_config_static_selectorELNS0_4arch9wavefront6targetE1EEEvSP_,comdat
.Lfunc_end323:
	.size	_ZN7rocprim17ROCPRIM_400000_NS6detail17trampoline_kernelINS0_14default_configENS1_27lower_bound_config_selectorIsiEEZNS1_14transform_implILb0ES3_S5_N6thrust23THRUST_200600_302600_NS6detail15normal_iteratorINS8_10device_ptrIsEEEENSA_INSB_IiEEEEZNS1_13binary_searchIS3_S5_SD_SD_SF_NS1_21lower_bound_search_opENS9_16wrapped_functionINS0_4lessIvEEbEEEE10hipError_tPvRmT1_T2_T3_mmT4_T5_P12ihipStream_tbEUlRKsE_EESM_SQ_SR_mSS_SV_bEUlT_E_NS1_11comp_targetILNS1_3genE4ELNS1_11target_archE910ELNS1_3gpuE8ELNS1_3repE0EEENS1_30default_config_static_selectorELNS0_4arch9wavefront6targetE1EEEvSP_, .Lfunc_end323-_ZN7rocprim17ROCPRIM_400000_NS6detail17trampoline_kernelINS0_14default_configENS1_27lower_bound_config_selectorIsiEEZNS1_14transform_implILb0ES3_S5_N6thrust23THRUST_200600_302600_NS6detail15normal_iteratorINS8_10device_ptrIsEEEENSA_INSB_IiEEEEZNS1_13binary_searchIS3_S5_SD_SD_SF_NS1_21lower_bound_search_opENS9_16wrapped_functionINS0_4lessIvEEbEEEE10hipError_tPvRmT1_T2_T3_mmT4_T5_P12ihipStream_tbEUlRKsE_EESM_SQ_SR_mSS_SV_bEUlT_E_NS1_11comp_targetILNS1_3genE4ELNS1_11target_archE910ELNS1_3gpuE8ELNS1_3repE0EEENS1_30default_config_static_selectorELNS0_4arch9wavefront6targetE1EEEvSP_
                                        ; -- End function
	.section	.AMDGPU.csdata,"",@progbits
; Kernel info:
; codeLenInByte = 720
; NumSgprs: 24
; NumVgprs: 12
; NumAgprs: 0
; TotalNumVgprs: 12
; ScratchSize: 0
; MemoryBound: 0
; FloatMode: 240
; IeeeMode: 1
; LDSByteSize: 0 bytes/workgroup (compile time only)
; SGPRBlocks: 2
; VGPRBlocks: 1
; NumSGPRsForWavesPerEU: 24
; NumVGPRsForWavesPerEU: 12
; AccumOffset: 12
; Occupancy: 8
; WaveLimiterHint : 0
; COMPUTE_PGM_RSRC2:SCRATCH_EN: 0
; COMPUTE_PGM_RSRC2:USER_SGPR: 6
; COMPUTE_PGM_RSRC2:TRAP_HANDLER: 0
; COMPUTE_PGM_RSRC2:TGID_X_EN: 1
; COMPUTE_PGM_RSRC2:TGID_Y_EN: 0
; COMPUTE_PGM_RSRC2:TGID_Z_EN: 0
; COMPUTE_PGM_RSRC2:TIDIG_COMP_CNT: 0
; COMPUTE_PGM_RSRC3_GFX90A:ACCUM_OFFSET: 2
; COMPUTE_PGM_RSRC3_GFX90A:TG_SPLIT: 0
	.section	.text._ZN7rocprim17ROCPRIM_400000_NS6detail17trampoline_kernelINS0_14default_configENS1_27lower_bound_config_selectorIsiEEZNS1_14transform_implILb0ES3_S5_N6thrust23THRUST_200600_302600_NS6detail15normal_iteratorINS8_10device_ptrIsEEEENSA_INSB_IiEEEEZNS1_13binary_searchIS3_S5_SD_SD_SF_NS1_21lower_bound_search_opENS9_16wrapped_functionINS0_4lessIvEEbEEEE10hipError_tPvRmT1_T2_T3_mmT4_T5_P12ihipStream_tbEUlRKsE_EESM_SQ_SR_mSS_SV_bEUlT_E_NS1_11comp_targetILNS1_3genE3ELNS1_11target_archE908ELNS1_3gpuE7ELNS1_3repE0EEENS1_30default_config_static_selectorELNS0_4arch9wavefront6targetE1EEEvSP_,"axG",@progbits,_ZN7rocprim17ROCPRIM_400000_NS6detail17trampoline_kernelINS0_14default_configENS1_27lower_bound_config_selectorIsiEEZNS1_14transform_implILb0ES3_S5_N6thrust23THRUST_200600_302600_NS6detail15normal_iteratorINS8_10device_ptrIsEEEENSA_INSB_IiEEEEZNS1_13binary_searchIS3_S5_SD_SD_SF_NS1_21lower_bound_search_opENS9_16wrapped_functionINS0_4lessIvEEbEEEE10hipError_tPvRmT1_T2_T3_mmT4_T5_P12ihipStream_tbEUlRKsE_EESM_SQ_SR_mSS_SV_bEUlT_E_NS1_11comp_targetILNS1_3genE3ELNS1_11target_archE908ELNS1_3gpuE7ELNS1_3repE0EEENS1_30default_config_static_selectorELNS0_4arch9wavefront6targetE1EEEvSP_,comdat
	.protected	_ZN7rocprim17ROCPRIM_400000_NS6detail17trampoline_kernelINS0_14default_configENS1_27lower_bound_config_selectorIsiEEZNS1_14transform_implILb0ES3_S5_N6thrust23THRUST_200600_302600_NS6detail15normal_iteratorINS8_10device_ptrIsEEEENSA_INSB_IiEEEEZNS1_13binary_searchIS3_S5_SD_SD_SF_NS1_21lower_bound_search_opENS9_16wrapped_functionINS0_4lessIvEEbEEEE10hipError_tPvRmT1_T2_T3_mmT4_T5_P12ihipStream_tbEUlRKsE_EESM_SQ_SR_mSS_SV_bEUlT_E_NS1_11comp_targetILNS1_3genE3ELNS1_11target_archE908ELNS1_3gpuE7ELNS1_3repE0EEENS1_30default_config_static_selectorELNS0_4arch9wavefront6targetE1EEEvSP_ ; -- Begin function _ZN7rocprim17ROCPRIM_400000_NS6detail17trampoline_kernelINS0_14default_configENS1_27lower_bound_config_selectorIsiEEZNS1_14transform_implILb0ES3_S5_N6thrust23THRUST_200600_302600_NS6detail15normal_iteratorINS8_10device_ptrIsEEEENSA_INSB_IiEEEEZNS1_13binary_searchIS3_S5_SD_SD_SF_NS1_21lower_bound_search_opENS9_16wrapped_functionINS0_4lessIvEEbEEEE10hipError_tPvRmT1_T2_T3_mmT4_T5_P12ihipStream_tbEUlRKsE_EESM_SQ_SR_mSS_SV_bEUlT_E_NS1_11comp_targetILNS1_3genE3ELNS1_11target_archE908ELNS1_3gpuE7ELNS1_3repE0EEENS1_30default_config_static_selectorELNS0_4arch9wavefront6targetE1EEEvSP_
	.globl	_ZN7rocprim17ROCPRIM_400000_NS6detail17trampoline_kernelINS0_14default_configENS1_27lower_bound_config_selectorIsiEEZNS1_14transform_implILb0ES3_S5_N6thrust23THRUST_200600_302600_NS6detail15normal_iteratorINS8_10device_ptrIsEEEENSA_INSB_IiEEEEZNS1_13binary_searchIS3_S5_SD_SD_SF_NS1_21lower_bound_search_opENS9_16wrapped_functionINS0_4lessIvEEbEEEE10hipError_tPvRmT1_T2_T3_mmT4_T5_P12ihipStream_tbEUlRKsE_EESM_SQ_SR_mSS_SV_bEUlT_E_NS1_11comp_targetILNS1_3genE3ELNS1_11target_archE908ELNS1_3gpuE7ELNS1_3repE0EEENS1_30default_config_static_selectorELNS0_4arch9wavefront6targetE1EEEvSP_
	.p2align	8
	.type	_ZN7rocprim17ROCPRIM_400000_NS6detail17trampoline_kernelINS0_14default_configENS1_27lower_bound_config_selectorIsiEEZNS1_14transform_implILb0ES3_S5_N6thrust23THRUST_200600_302600_NS6detail15normal_iteratorINS8_10device_ptrIsEEEENSA_INSB_IiEEEEZNS1_13binary_searchIS3_S5_SD_SD_SF_NS1_21lower_bound_search_opENS9_16wrapped_functionINS0_4lessIvEEbEEEE10hipError_tPvRmT1_T2_T3_mmT4_T5_P12ihipStream_tbEUlRKsE_EESM_SQ_SR_mSS_SV_bEUlT_E_NS1_11comp_targetILNS1_3genE3ELNS1_11target_archE908ELNS1_3gpuE7ELNS1_3repE0EEENS1_30default_config_static_selectorELNS0_4arch9wavefront6targetE1EEEvSP_,@function
_ZN7rocprim17ROCPRIM_400000_NS6detail17trampoline_kernelINS0_14default_configENS1_27lower_bound_config_selectorIsiEEZNS1_14transform_implILb0ES3_S5_N6thrust23THRUST_200600_302600_NS6detail15normal_iteratorINS8_10device_ptrIsEEEENSA_INSB_IiEEEEZNS1_13binary_searchIS3_S5_SD_SD_SF_NS1_21lower_bound_search_opENS9_16wrapped_functionINS0_4lessIvEEbEEEE10hipError_tPvRmT1_T2_T3_mmT4_T5_P12ihipStream_tbEUlRKsE_EESM_SQ_SR_mSS_SV_bEUlT_E_NS1_11comp_targetILNS1_3genE3ELNS1_11target_archE908ELNS1_3gpuE7ELNS1_3repE0EEENS1_30default_config_static_selectorELNS0_4arch9wavefront6targetE1EEEvSP_: ; @_ZN7rocprim17ROCPRIM_400000_NS6detail17trampoline_kernelINS0_14default_configENS1_27lower_bound_config_selectorIsiEEZNS1_14transform_implILb0ES3_S5_N6thrust23THRUST_200600_302600_NS6detail15normal_iteratorINS8_10device_ptrIsEEEENSA_INSB_IiEEEEZNS1_13binary_searchIS3_S5_SD_SD_SF_NS1_21lower_bound_search_opENS9_16wrapped_functionINS0_4lessIvEEbEEEE10hipError_tPvRmT1_T2_T3_mmT4_T5_P12ihipStream_tbEUlRKsE_EESM_SQ_SR_mSS_SV_bEUlT_E_NS1_11comp_targetILNS1_3genE3ELNS1_11target_archE908ELNS1_3gpuE7ELNS1_3repE0EEENS1_30default_config_static_selectorELNS0_4arch9wavefront6targetE1EEEvSP_
; %bb.0:
	.section	.rodata,"a",@progbits
	.p2align	6, 0x0
	.amdhsa_kernel _ZN7rocprim17ROCPRIM_400000_NS6detail17trampoline_kernelINS0_14default_configENS1_27lower_bound_config_selectorIsiEEZNS1_14transform_implILb0ES3_S5_N6thrust23THRUST_200600_302600_NS6detail15normal_iteratorINS8_10device_ptrIsEEEENSA_INSB_IiEEEEZNS1_13binary_searchIS3_S5_SD_SD_SF_NS1_21lower_bound_search_opENS9_16wrapped_functionINS0_4lessIvEEbEEEE10hipError_tPvRmT1_T2_T3_mmT4_T5_P12ihipStream_tbEUlRKsE_EESM_SQ_SR_mSS_SV_bEUlT_E_NS1_11comp_targetILNS1_3genE3ELNS1_11target_archE908ELNS1_3gpuE7ELNS1_3repE0EEENS1_30default_config_static_selectorELNS0_4arch9wavefront6targetE1EEEvSP_
		.amdhsa_group_segment_fixed_size 0
		.amdhsa_private_segment_fixed_size 0
		.amdhsa_kernarg_size 56
		.amdhsa_user_sgpr_count 6
		.amdhsa_user_sgpr_private_segment_buffer 1
		.amdhsa_user_sgpr_dispatch_ptr 0
		.amdhsa_user_sgpr_queue_ptr 0
		.amdhsa_user_sgpr_kernarg_segment_ptr 1
		.amdhsa_user_sgpr_dispatch_id 0
		.amdhsa_user_sgpr_flat_scratch_init 0
		.amdhsa_user_sgpr_kernarg_preload_length 0
		.amdhsa_user_sgpr_kernarg_preload_offset 0
		.amdhsa_user_sgpr_private_segment_size 0
		.amdhsa_uses_dynamic_stack 0
		.amdhsa_system_sgpr_private_segment_wavefront_offset 0
		.amdhsa_system_sgpr_workgroup_id_x 1
		.amdhsa_system_sgpr_workgroup_id_y 0
		.amdhsa_system_sgpr_workgroup_id_z 0
		.amdhsa_system_sgpr_workgroup_info 0
		.amdhsa_system_vgpr_workitem_id 0
		.amdhsa_next_free_vgpr 1
		.amdhsa_next_free_sgpr 0
		.amdhsa_accum_offset 4
		.amdhsa_reserve_vcc 0
		.amdhsa_reserve_flat_scratch 0
		.amdhsa_float_round_mode_32 0
		.amdhsa_float_round_mode_16_64 0
		.amdhsa_float_denorm_mode_32 3
		.amdhsa_float_denorm_mode_16_64 3
		.amdhsa_dx10_clamp 1
		.amdhsa_ieee_mode 1
		.amdhsa_fp16_overflow 0
		.amdhsa_tg_split 0
		.amdhsa_exception_fp_ieee_invalid_op 0
		.amdhsa_exception_fp_denorm_src 0
		.amdhsa_exception_fp_ieee_div_zero 0
		.amdhsa_exception_fp_ieee_overflow 0
		.amdhsa_exception_fp_ieee_underflow 0
		.amdhsa_exception_fp_ieee_inexact 0
		.amdhsa_exception_int_div_zero 0
	.end_amdhsa_kernel
	.section	.text._ZN7rocprim17ROCPRIM_400000_NS6detail17trampoline_kernelINS0_14default_configENS1_27lower_bound_config_selectorIsiEEZNS1_14transform_implILb0ES3_S5_N6thrust23THRUST_200600_302600_NS6detail15normal_iteratorINS8_10device_ptrIsEEEENSA_INSB_IiEEEEZNS1_13binary_searchIS3_S5_SD_SD_SF_NS1_21lower_bound_search_opENS9_16wrapped_functionINS0_4lessIvEEbEEEE10hipError_tPvRmT1_T2_T3_mmT4_T5_P12ihipStream_tbEUlRKsE_EESM_SQ_SR_mSS_SV_bEUlT_E_NS1_11comp_targetILNS1_3genE3ELNS1_11target_archE908ELNS1_3gpuE7ELNS1_3repE0EEENS1_30default_config_static_selectorELNS0_4arch9wavefront6targetE1EEEvSP_,"axG",@progbits,_ZN7rocprim17ROCPRIM_400000_NS6detail17trampoline_kernelINS0_14default_configENS1_27lower_bound_config_selectorIsiEEZNS1_14transform_implILb0ES3_S5_N6thrust23THRUST_200600_302600_NS6detail15normal_iteratorINS8_10device_ptrIsEEEENSA_INSB_IiEEEEZNS1_13binary_searchIS3_S5_SD_SD_SF_NS1_21lower_bound_search_opENS9_16wrapped_functionINS0_4lessIvEEbEEEE10hipError_tPvRmT1_T2_T3_mmT4_T5_P12ihipStream_tbEUlRKsE_EESM_SQ_SR_mSS_SV_bEUlT_E_NS1_11comp_targetILNS1_3genE3ELNS1_11target_archE908ELNS1_3gpuE7ELNS1_3repE0EEENS1_30default_config_static_selectorELNS0_4arch9wavefront6targetE1EEEvSP_,comdat
.Lfunc_end324:
	.size	_ZN7rocprim17ROCPRIM_400000_NS6detail17trampoline_kernelINS0_14default_configENS1_27lower_bound_config_selectorIsiEEZNS1_14transform_implILb0ES3_S5_N6thrust23THRUST_200600_302600_NS6detail15normal_iteratorINS8_10device_ptrIsEEEENSA_INSB_IiEEEEZNS1_13binary_searchIS3_S5_SD_SD_SF_NS1_21lower_bound_search_opENS9_16wrapped_functionINS0_4lessIvEEbEEEE10hipError_tPvRmT1_T2_T3_mmT4_T5_P12ihipStream_tbEUlRKsE_EESM_SQ_SR_mSS_SV_bEUlT_E_NS1_11comp_targetILNS1_3genE3ELNS1_11target_archE908ELNS1_3gpuE7ELNS1_3repE0EEENS1_30default_config_static_selectorELNS0_4arch9wavefront6targetE1EEEvSP_, .Lfunc_end324-_ZN7rocprim17ROCPRIM_400000_NS6detail17trampoline_kernelINS0_14default_configENS1_27lower_bound_config_selectorIsiEEZNS1_14transform_implILb0ES3_S5_N6thrust23THRUST_200600_302600_NS6detail15normal_iteratorINS8_10device_ptrIsEEEENSA_INSB_IiEEEEZNS1_13binary_searchIS3_S5_SD_SD_SF_NS1_21lower_bound_search_opENS9_16wrapped_functionINS0_4lessIvEEbEEEE10hipError_tPvRmT1_T2_T3_mmT4_T5_P12ihipStream_tbEUlRKsE_EESM_SQ_SR_mSS_SV_bEUlT_E_NS1_11comp_targetILNS1_3genE3ELNS1_11target_archE908ELNS1_3gpuE7ELNS1_3repE0EEENS1_30default_config_static_selectorELNS0_4arch9wavefront6targetE1EEEvSP_
                                        ; -- End function
	.section	.AMDGPU.csdata,"",@progbits
; Kernel info:
; codeLenInByte = 0
; NumSgprs: 4
; NumVgprs: 0
; NumAgprs: 0
; TotalNumVgprs: 0
; ScratchSize: 0
; MemoryBound: 0
; FloatMode: 240
; IeeeMode: 1
; LDSByteSize: 0 bytes/workgroup (compile time only)
; SGPRBlocks: 0
; VGPRBlocks: 0
; NumSGPRsForWavesPerEU: 4
; NumVGPRsForWavesPerEU: 1
; AccumOffset: 4
; Occupancy: 8
; WaveLimiterHint : 0
; COMPUTE_PGM_RSRC2:SCRATCH_EN: 0
; COMPUTE_PGM_RSRC2:USER_SGPR: 6
; COMPUTE_PGM_RSRC2:TRAP_HANDLER: 0
; COMPUTE_PGM_RSRC2:TGID_X_EN: 1
; COMPUTE_PGM_RSRC2:TGID_Y_EN: 0
; COMPUTE_PGM_RSRC2:TGID_Z_EN: 0
; COMPUTE_PGM_RSRC2:TIDIG_COMP_CNT: 0
; COMPUTE_PGM_RSRC3_GFX90A:ACCUM_OFFSET: 0
; COMPUTE_PGM_RSRC3_GFX90A:TG_SPLIT: 0
	.section	.text._ZN7rocprim17ROCPRIM_400000_NS6detail17trampoline_kernelINS0_14default_configENS1_27lower_bound_config_selectorIsiEEZNS1_14transform_implILb0ES3_S5_N6thrust23THRUST_200600_302600_NS6detail15normal_iteratorINS8_10device_ptrIsEEEENSA_INSB_IiEEEEZNS1_13binary_searchIS3_S5_SD_SD_SF_NS1_21lower_bound_search_opENS9_16wrapped_functionINS0_4lessIvEEbEEEE10hipError_tPvRmT1_T2_T3_mmT4_T5_P12ihipStream_tbEUlRKsE_EESM_SQ_SR_mSS_SV_bEUlT_E_NS1_11comp_targetILNS1_3genE2ELNS1_11target_archE906ELNS1_3gpuE6ELNS1_3repE0EEENS1_30default_config_static_selectorELNS0_4arch9wavefront6targetE1EEEvSP_,"axG",@progbits,_ZN7rocprim17ROCPRIM_400000_NS6detail17trampoline_kernelINS0_14default_configENS1_27lower_bound_config_selectorIsiEEZNS1_14transform_implILb0ES3_S5_N6thrust23THRUST_200600_302600_NS6detail15normal_iteratorINS8_10device_ptrIsEEEENSA_INSB_IiEEEEZNS1_13binary_searchIS3_S5_SD_SD_SF_NS1_21lower_bound_search_opENS9_16wrapped_functionINS0_4lessIvEEbEEEE10hipError_tPvRmT1_T2_T3_mmT4_T5_P12ihipStream_tbEUlRKsE_EESM_SQ_SR_mSS_SV_bEUlT_E_NS1_11comp_targetILNS1_3genE2ELNS1_11target_archE906ELNS1_3gpuE6ELNS1_3repE0EEENS1_30default_config_static_selectorELNS0_4arch9wavefront6targetE1EEEvSP_,comdat
	.protected	_ZN7rocprim17ROCPRIM_400000_NS6detail17trampoline_kernelINS0_14default_configENS1_27lower_bound_config_selectorIsiEEZNS1_14transform_implILb0ES3_S5_N6thrust23THRUST_200600_302600_NS6detail15normal_iteratorINS8_10device_ptrIsEEEENSA_INSB_IiEEEEZNS1_13binary_searchIS3_S5_SD_SD_SF_NS1_21lower_bound_search_opENS9_16wrapped_functionINS0_4lessIvEEbEEEE10hipError_tPvRmT1_T2_T3_mmT4_T5_P12ihipStream_tbEUlRKsE_EESM_SQ_SR_mSS_SV_bEUlT_E_NS1_11comp_targetILNS1_3genE2ELNS1_11target_archE906ELNS1_3gpuE6ELNS1_3repE0EEENS1_30default_config_static_selectorELNS0_4arch9wavefront6targetE1EEEvSP_ ; -- Begin function _ZN7rocprim17ROCPRIM_400000_NS6detail17trampoline_kernelINS0_14default_configENS1_27lower_bound_config_selectorIsiEEZNS1_14transform_implILb0ES3_S5_N6thrust23THRUST_200600_302600_NS6detail15normal_iteratorINS8_10device_ptrIsEEEENSA_INSB_IiEEEEZNS1_13binary_searchIS3_S5_SD_SD_SF_NS1_21lower_bound_search_opENS9_16wrapped_functionINS0_4lessIvEEbEEEE10hipError_tPvRmT1_T2_T3_mmT4_T5_P12ihipStream_tbEUlRKsE_EESM_SQ_SR_mSS_SV_bEUlT_E_NS1_11comp_targetILNS1_3genE2ELNS1_11target_archE906ELNS1_3gpuE6ELNS1_3repE0EEENS1_30default_config_static_selectorELNS0_4arch9wavefront6targetE1EEEvSP_
	.globl	_ZN7rocprim17ROCPRIM_400000_NS6detail17trampoline_kernelINS0_14default_configENS1_27lower_bound_config_selectorIsiEEZNS1_14transform_implILb0ES3_S5_N6thrust23THRUST_200600_302600_NS6detail15normal_iteratorINS8_10device_ptrIsEEEENSA_INSB_IiEEEEZNS1_13binary_searchIS3_S5_SD_SD_SF_NS1_21lower_bound_search_opENS9_16wrapped_functionINS0_4lessIvEEbEEEE10hipError_tPvRmT1_T2_T3_mmT4_T5_P12ihipStream_tbEUlRKsE_EESM_SQ_SR_mSS_SV_bEUlT_E_NS1_11comp_targetILNS1_3genE2ELNS1_11target_archE906ELNS1_3gpuE6ELNS1_3repE0EEENS1_30default_config_static_selectorELNS0_4arch9wavefront6targetE1EEEvSP_
	.p2align	8
	.type	_ZN7rocprim17ROCPRIM_400000_NS6detail17trampoline_kernelINS0_14default_configENS1_27lower_bound_config_selectorIsiEEZNS1_14transform_implILb0ES3_S5_N6thrust23THRUST_200600_302600_NS6detail15normal_iteratorINS8_10device_ptrIsEEEENSA_INSB_IiEEEEZNS1_13binary_searchIS3_S5_SD_SD_SF_NS1_21lower_bound_search_opENS9_16wrapped_functionINS0_4lessIvEEbEEEE10hipError_tPvRmT1_T2_T3_mmT4_T5_P12ihipStream_tbEUlRKsE_EESM_SQ_SR_mSS_SV_bEUlT_E_NS1_11comp_targetILNS1_3genE2ELNS1_11target_archE906ELNS1_3gpuE6ELNS1_3repE0EEENS1_30default_config_static_selectorELNS0_4arch9wavefront6targetE1EEEvSP_,@function
_ZN7rocprim17ROCPRIM_400000_NS6detail17trampoline_kernelINS0_14default_configENS1_27lower_bound_config_selectorIsiEEZNS1_14transform_implILb0ES3_S5_N6thrust23THRUST_200600_302600_NS6detail15normal_iteratorINS8_10device_ptrIsEEEENSA_INSB_IiEEEEZNS1_13binary_searchIS3_S5_SD_SD_SF_NS1_21lower_bound_search_opENS9_16wrapped_functionINS0_4lessIvEEbEEEE10hipError_tPvRmT1_T2_T3_mmT4_T5_P12ihipStream_tbEUlRKsE_EESM_SQ_SR_mSS_SV_bEUlT_E_NS1_11comp_targetILNS1_3genE2ELNS1_11target_archE906ELNS1_3gpuE6ELNS1_3repE0EEENS1_30default_config_static_selectorELNS0_4arch9wavefront6targetE1EEEvSP_: ; @_ZN7rocprim17ROCPRIM_400000_NS6detail17trampoline_kernelINS0_14default_configENS1_27lower_bound_config_selectorIsiEEZNS1_14transform_implILb0ES3_S5_N6thrust23THRUST_200600_302600_NS6detail15normal_iteratorINS8_10device_ptrIsEEEENSA_INSB_IiEEEEZNS1_13binary_searchIS3_S5_SD_SD_SF_NS1_21lower_bound_search_opENS9_16wrapped_functionINS0_4lessIvEEbEEEE10hipError_tPvRmT1_T2_T3_mmT4_T5_P12ihipStream_tbEUlRKsE_EESM_SQ_SR_mSS_SV_bEUlT_E_NS1_11comp_targetILNS1_3genE2ELNS1_11target_archE906ELNS1_3gpuE6ELNS1_3repE0EEENS1_30default_config_static_selectorELNS0_4arch9wavefront6targetE1EEEvSP_
; %bb.0:
	.section	.rodata,"a",@progbits
	.p2align	6, 0x0
	.amdhsa_kernel _ZN7rocprim17ROCPRIM_400000_NS6detail17trampoline_kernelINS0_14default_configENS1_27lower_bound_config_selectorIsiEEZNS1_14transform_implILb0ES3_S5_N6thrust23THRUST_200600_302600_NS6detail15normal_iteratorINS8_10device_ptrIsEEEENSA_INSB_IiEEEEZNS1_13binary_searchIS3_S5_SD_SD_SF_NS1_21lower_bound_search_opENS9_16wrapped_functionINS0_4lessIvEEbEEEE10hipError_tPvRmT1_T2_T3_mmT4_T5_P12ihipStream_tbEUlRKsE_EESM_SQ_SR_mSS_SV_bEUlT_E_NS1_11comp_targetILNS1_3genE2ELNS1_11target_archE906ELNS1_3gpuE6ELNS1_3repE0EEENS1_30default_config_static_selectorELNS0_4arch9wavefront6targetE1EEEvSP_
		.amdhsa_group_segment_fixed_size 0
		.amdhsa_private_segment_fixed_size 0
		.amdhsa_kernarg_size 56
		.amdhsa_user_sgpr_count 6
		.amdhsa_user_sgpr_private_segment_buffer 1
		.amdhsa_user_sgpr_dispatch_ptr 0
		.amdhsa_user_sgpr_queue_ptr 0
		.amdhsa_user_sgpr_kernarg_segment_ptr 1
		.amdhsa_user_sgpr_dispatch_id 0
		.amdhsa_user_sgpr_flat_scratch_init 0
		.amdhsa_user_sgpr_kernarg_preload_length 0
		.amdhsa_user_sgpr_kernarg_preload_offset 0
		.amdhsa_user_sgpr_private_segment_size 0
		.amdhsa_uses_dynamic_stack 0
		.amdhsa_system_sgpr_private_segment_wavefront_offset 0
		.amdhsa_system_sgpr_workgroup_id_x 1
		.amdhsa_system_sgpr_workgroup_id_y 0
		.amdhsa_system_sgpr_workgroup_id_z 0
		.amdhsa_system_sgpr_workgroup_info 0
		.amdhsa_system_vgpr_workitem_id 0
		.amdhsa_next_free_vgpr 1
		.amdhsa_next_free_sgpr 0
		.amdhsa_accum_offset 4
		.amdhsa_reserve_vcc 0
		.amdhsa_reserve_flat_scratch 0
		.amdhsa_float_round_mode_32 0
		.amdhsa_float_round_mode_16_64 0
		.amdhsa_float_denorm_mode_32 3
		.amdhsa_float_denorm_mode_16_64 3
		.amdhsa_dx10_clamp 1
		.amdhsa_ieee_mode 1
		.amdhsa_fp16_overflow 0
		.amdhsa_tg_split 0
		.amdhsa_exception_fp_ieee_invalid_op 0
		.amdhsa_exception_fp_denorm_src 0
		.amdhsa_exception_fp_ieee_div_zero 0
		.amdhsa_exception_fp_ieee_overflow 0
		.amdhsa_exception_fp_ieee_underflow 0
		.amdhsa_exception_fp_ieee_inexact 0
		.amdhsa_exception_int_div_zero 0
	.end_amdhsa_kernel
	.section	.text._ZN7rocprim17ROCPRIM_400000_NS6detail17trampoline_kernelINS0_14default_configENS1_27lower_bound_config_selectorIsiEEZNS1_14transform_implILb0ES3_S5_N6thrust23THRUST_200600_302600_NS6detail15normal_iteratorINS8_10device_ptrIsEEEENSA_INSB_IiEEEEZNS1_13binary_searchIS3_S5_SD_SD_SF_NS1_21lower_bound_search_opENS9_16wrapped_functionINS0_4lessIvEEbEEEE10hipError_tPvRmT1_T2_T3_mmT4_T5_P12ihipStream_tbEUlRKsE_EESM_SQ_SR_mSS_SV_bEUlT_E_NS1_11comp_targetILNS1_3genE2ELNS1_11target_archE906ELNS1_3gpuE6ELNS1_3repE0EEENS1_30default_config_static_selectorELNS0_4arch9wavefront6targetE1EEEvSP_,"axG",@progbits,_ZN7rocprim17ROCPRIM_400000_NS6detail17trampoline_kernelINS0_14default_configENS1_27lower_bound_config_selectorIsiEEZNS1_14transform_implILb0ES3_S5_N6thrust23THRUST_200600_302600_NS6detail15normal_iteratorINS8_10device_ptrIsEEEENSA_INSB_IiEEEEZNS1_13binary_searchIS3_S5_SD_SD_SF_NS1_21lower_bound_search_opENS9_16wrapped_functionINS0_4lessIvEEbEEEE10hipError_tPvRmT1_T2_T3_mmT4_T5_P12ihipStream_tbEUlRKsE_EESM_SQ_SR_mSS_SV_bEUlT_E_NS1_11comp_targetILNS1_3genE2ELNS1_11target_archE906ELNS1_3gpuE6ELNS1_3repE0EEENS1_30default_config_static_selectorELNS0_4arch9wavefront6targetE1EEEvSP_,comdat
.Lfunc_end325:
	.size	_ZN7rocprim17ROCPRIM_400000_NS6detail17trampoline_kernelINS0_14default_configENS1_27lower_bound_config_selectorIsiEEZNS1_14transform_implILb0ES3_S5_N6thrust23THRUST_200600_302600_NS6detail15normal_iteratorINS8_10device_ptrIsEEEENSA_INSB_IiEEEEZNS1_13binary_searchIS3_S5_SD_SD_SF_NS1_21lower_bound_search_opENS9_16wrapped_functionINS0_4lessIvEEbEEEE10hipError_tPvRmT1_T2_T3_mmT4_T5_P12ihipStream_tbEUlRKsE_EESM_SQ_SR_mSS_SV_bEUlT_E_NS1_11comp_targetILNS1_3genE2ELNS1_11target_archE906ELNS1_3gpuE6ELNS1_3repE0EEENS1_30default_config_static_selectorELNS0_4arch9wavefront6targetE1EEEvSP_, .Lfunc_end325-_ZN7rocprim17ROCPRIM_400000_NS6detail17trampoline_kernelINS0_14default_configENS1_27lower_bound_config_selectorIsiEEZNS1_14transform_implILb0ES3_S5_N6thrust23THRUST_200600_302600_NS6detail15normal_iteratorINS8_10device_ptrIsEEEENSA_INSB_IiEEEEZNS1_13binary_searchIS3_S5_SD_SD_SF_NS1_21lower_bound_search_opENS9_16wrapped_functionINS0_4lessIvEEbEEEE10hipError_tPvRmT1_T2_T3_mmT4_T5_P12ihipStream_tbEUlRKsE_EESM_SQ_SR_mSS_SV_bEUlT_E_NS1_11comp_targetILNS1_3genE2ELNS1_11target_archE906ELNS1_3gpuE6ELNS1_3repE0EEENS1_30default_config_static_selectorELNS0_4arch9wavefront6targetE1EEEvSP_
                                        ; -- End function
	.section	.AMDGPU.csdata,"",@progbits
; Kernel info:
; codeLenInByte = 0
; NumSgprs: 4
; NumVgprs: 0
; NumAgprs: 0
; TotalNumVgprs: 0
; ScratchSize: 0
; MemoryBound: 0
; FloatMode: 240
; IeeeMode: 1
; LDSByteSize: 0 bytes/workgroup (compile time only)
; SGPRBlocks: 0
; VGPRBlocks: 0
; NumSGPRsForWavesPerEU: 4
; NumVGPRsForWavesPerEU: 1
; AccumOffset: 4
; Occupancy: 8
; WaveLimiterHint : 0
; COMPUTE_PGM_RSRC2:SCRATCH_EN: 0
; COMPUTE_PGM_RSRC2:USER_SGPR: 6
; COMPUTE_PGM_RSRC2:TRAP_HANDLER: 0
; COMPUTE_PGM_RSRC2:TGID_X_EN: 1
; COMPUTE_PGM_RSRC2:TGID_Y_EN: 0
; COMPUTE_PGM_RSRC2:TGID_Z_EN: 0
; COMPUTE_PGM_RSRC2:TIDIG_COMP_CNT: 0
; COMPUTE_PGM_RSRC3_GFX90A:ACCUM_OFFSET: 0
; COMPUTE_PGM_RSRC3_GFX90A:TG_SPLIT: 0
	.section	.text._ZN7rocprim17ROCPRIM_400000_NS6detail17trampoline_kernelINS0_14default_configENS1_27lower_bound_config_selectorIsiEEZNS1_14transform_implILb0ES3_S5_N6thrust23THRUST_200600_302600_NS6detail15normal_iteratorINS8_10device_ptrIsEEEENSA_INSB_IiEEEEZNS1_13binary_searchIS3_S5_SD_SD_SF_NS1_21lower_bound_search_opENS9_16wrapped_functionINS0_4lessIvEEbEEEE10hipError_tPvRmT1_T2_T3_mmT4_T5_P12ihipStream_tbEUlRKsE_EESM_SQ_SR_mSS_SV_bEUlT_E_NS1_11comp_targetILNS1_3genE10ELNS1_11target_archE1201ELNS1_3gpuE5ELNS1_3repE0EEENS1_30default_config_static_selectorELNS0_4arch9wavefront6targetE1EEEvSP_,"axG",@progbits,_ZN7rocprim17ROCPRIM_400000_NS6detail17trampoline_kernelINS0_14default_configENS1_27lower_bound_config_selectorIsiEEZNS1_14transform_implILb0ES3_S5_N6thrust23THRUST_200600_302600_NS6detail15normal_iteratorINS8_10device_ptrIsEEEENSA_INSB_IiEEEEZNS1_13binary_searchIS3_S5_SD_SD_SF_NS1_21lower_bound_search_opENS9_16wrapped_functionINS0_4lessIvEEbEEEE10hipError_tPvRmT1_T2_T3_mmT4_T5_P12ihipStream_tbEUlRKsE_EESM_SQ_SR_mSS_SV_bEUlT_E_NS1_11comp_targetILNS1_3genE10ELNS1_11target_archE1201ELNS1_3gpuE5ELNS1_3repE0EEENS1_30default_config_static_selectorELNS0_4arch9wavefront6targetE1EEEvSP_,comdat
	.protected	_ZN7rocprim17ROCPRIM_400000_NS6detail17trampoline_kernelINS0_14default_configENS1_27lower_bound_config_selectorIsiEEZNS1_14transform_implILb0ES3_S5_N6thrust23THRUST_200600_302600_NS6detail15normal_iteratorINS8_10device_ptrIsEEEENSA_INSB_IiEEEEZNS1_13binary_searchIS3_S5_SD_SD_SF_NS1_21lower_bound_search_opENS9_16wrapped_functionINS0_4lessIvEEbEEEE10hipError_tPvRmT1_T2_T3_mmT4_T5_P12ihipStream_tbEUlRKsE_EESM_SQ_SR_mSS_SV_bEUlT_E_NS1_11comp_targetILNS1_3genE10ELNS1_11target_archE1201ELNS1_3gpuE5ELNS1_3repE0EEENS1_30default_config_static_selectorELNS0_4arch9wavefront6targetE1EEEvSP_ ; -- Begin function _ZN7rocprim17ROCPRIM_400000_NS6detail17trampoline_kernelINS0_14default_configENS1_27lower_bound_config_selectorIsiEEZNS1_14transform_implILb0ES3_S5_N6thrust23THRUST_200600_302600_NS6detail15normal_iteratorINS8_10device_ptrIsEEEENSA_INSB_IiEEEEZNS1_13binary_searchIS3_S5_SD_SD_SF_NS1_21lower_bound_search_opENS9_16wrapped_functionINS0_4lessIvEEbEEEE10hipError_tPvRmT1_T2_T3_mmT4_T5_P12ihipStream_tbEUlRKsE_EESM_SQ_SR_mSS_SV_bEUlT_E_NS1_11comp_targetILNS1_3genE10ELNS1_11target_archE1201ELNS1_3gpuE5ELNS1_3repE0EEENS1_30default_config_static_selectorELNS0_4arch9wavefront6targetE1EEEvSP_
	.globl	_ZN7rocprim17ROCPRIM_400000_NS6detail17trampoline_kernelINS0_14default_configENS1_27lower_bound_config_selectorIsiEEZNS1_14transform_implILb0ES3_S5_N6thrust23THRUST_200600_302600_NS6detail15normal_iteratorINS8_10device_ptrIsEEEENSA_INSB_IiEEEEZNS1_13binary_searchIS3_S5_SD_SD_SF_NS1_21lower_bound_search_opENS9_16wrapped_functionINS0_4lessIvEEbEEEE10hipError_tPvRmT1_T2_T3_mmT4_T5_P12ihipStream_tbEUlRKsE_EESM_SQ_SR_mSS_SV_bEUlT_E_NS1_11comp_targetILNS1_3genE10ELNS1_11target_archE1201ELNS1_3gpuE5ELNS1_3repE0EEENS1_30default_config_static_selectorELNS0_4arch9wavefront6targetE1EEEvSP_
	.p2align	8
	.type	_ZN7rocprim17ROCPRIM_400000_NS6detail17trampoline_kernelINS0_14default_configENS1_27lower_bound_config_selectorIsiEEZNS1_14transform_implILb0ES3_S5_N6thrust23THRUST_200600_302600_NS6detail15normal_iteratorINS8_10device_ptrIsEEEENSA_INSB_IiEEEEZNS1_13binary_searchIS3_S5_SD_SD_SF_NS1_21lower_bound_search_opENS9_16wrapped_functionINS0_4lessIvEEbEEEE10hipError_tPvRmT1_T2_T3_mmT4_T5_P12ihipStream_tbEUlRKsE_EESM_SQ_SR_mSS_SV_bEUlT_E_NS1_11comp_targetILNS1_3genE10ELNS1_11target_archE1201ELNS1_3gpuE5ELNS1_3repE0EEENS1_30default_config_static_selectorELNS0_4arch9wavefront6targetE1EEEvSP_,@function
_ZN7rocprim17ROCPRIM_400000_NS6detail17trampoline_kernelINS0_14default_configENS1_27lower_bound_config_selectorIsiEEZNS1_14transform_implILb0ES3_S5_N6thrust23THRUST_200600_302600_NS6detail15normal_iteratorINS8_10device_ptrIsEEEENSA_INSB_IiEEEEZNS1_13binary_searchIS3_S5_SD_SD_SF_NS1_21lower_bound_search_opENS9_16wrapped_functionINS0_4lessIvEEbEEEE10hipError_tPvRmT1_T2_T3_mmT4_T5_P12ihipStream_tbEUlRKsE_EESM_SQ_SR_mSS_SV_bEUlT_E_NS1_11comp_targetILNS1_3genE10ELNS1_11target_archE1201ELNS1_3gpuE5ELNS1_3repE0EEENS1_30default_config_static_selectorELNS0_4arch9wavefront6targetE1EEEvSP_: ; @_ZN7rocprim17ROCPRIM_400000_NS6detail17trampoline_kernelINS0_14default_configENS1_27lower_bound_config_selectorIsiEEZNS1_14transform_implILb0ES3_S5_N6thrust23THRUST_200600_302600_NS6detail15normal_iteratorINS8_10device_ptrIsEEEENSA_INSB_IiEEEEZNS1_13binary_searchIS3_S5_SD_SD_SF_NS1_21lower_bound_search_opENS9_16wrapped_functionINS0_4lessIvEEbEEEE10hipError_tPvRmT1_T2_T3_mmT4_T5_P12ihipStream_tbEUlRKsE_EESM_SQ_SR_mSS_SV_bEUlT_E_NS1_11comp_targetILNS1_3genE10ELNS1_11target_archE1201ELNS1_3gpuE5ELNS1_3repE0EEENS1_30default_config_static_selectorELNS0_4arch9wavefront6targetE1EEEvSP_
; %bb.0:
	.section	.rodata,"a",@progbits
	.p2align	6, 0x0
	.amdhsa_kernel _ZN7rocprim17ROCPRIM_400000_NS6detail17trampoline_kernelINS0_14default_configENS1_27lower_bound_config_selectorIsiEEZNS1_14transform_implILb0ES3_S5_N6thrust23THRUST_200600_302600_NS6detail15normal_iteratorINS8_10device_ptrIsEEEENSA_INSB_IiEEEEZNS1_13binary_searchIS3_S5_SD_SD_SF_NS1_21lower_bound_search_opENS9_16wrapped_functionINS0_4lessIvEEbEEEE10hipError_tPvRmT1_T2_T3_mmT4_T5_P12ihipStream_tbEUlRKsE_EESM_SQ_SR_mSS_SV_bEUlT_E_NS1_11comp_targetILNS1_3genE10ELNS1_11target_archE1201ELNS1_3gpuE5ELNS1_3repE0EEENS1_30default_config_static_selectorELNS0_4arch9wavefront6targetE1EEEvSP_
		.amdhsa_group_segment_fixed_size 0
		.amdhsa_private_segment_fixed_size 0
		.amdhsa_kernarg_size 56
		.amdhsa_user_sgpr_count 6
		.amdhsa_user_sgpr_private_segment_buffer 1
		.amdhsa_user_sgpr_dispatch_ptr 0
		.amdhsa_user_sgpr_queue_ptr 0
		.amdhsa_user_sgpr_kernarg_segment_ptr 1
		.amdhsa_user_sgpr_dispatch_id 0
		.amdhsa_user_sgpr_flat_scratch_init 0
		.amdhsa_user_sgpr_kernarg_preload_length 0
		.amdhsa_user_sgpr_kernarg_preload_offset 0
		.amdhsa_user_sgpr_private_segment_size 0
		.amdhsa_uses_dynamic_stack 0
		.amdhsa_system_sgpr_private_segment_wavefront_offset 0
		.amdhsa_system_sgpr_workgroup_id_x 1
		.amdhsa_system_sgpr_workgroup_id_y 0
		.amdhsa_system_sgpr_workgroup_id_z 0
		.amdhsa_system_sgpr_workgroup_info 0
		.amdhsa_system_vgpr_workitem_id 0
		.amdhsa_next_free_vgpr 1
		.amdhsa_next_free_sgpr 0
		.amdhsa_accum_offset 4
		.amdhsa_reserve_vcc 0
		.amdhsa_reserve_flat_scratch 0
		.amdhsa_float_round_mode_32 0
		.amdhsa_float_round_mode_16_64 0
		.amdhsa_float_denorm_mode_32 3
		.amdhsa_float_denorm_mode_16_64 3
		.amdhsa_dx10_clamp 1
		.amdhsa_ieee_mode 1
		.amdhsa_fp16_overflow 0
		.amdhsa_tg_split 0
		.amdhsa_exception_fp_ieee_invalid_op 0
		.amdhsa_exception_fp_denorm_src 0
		.amdhsa_exception_fp_ieee_div_zero 0
		.amdhsa_exception_fp_ieee_overflow 0
		.amdhsa_exception_fp_ieee_underflow 0
		.amdhsa_exception_fp_ieee_inexact 0
		.amdhsa_exception_int_div_zero 0
	.end_amdhsa_kernel
	.section	.text._ZN7rocprim17ROCPRIM_400000_NS6detail17trampoline_kernelINS0_14default_configENS1_27lower_bound_config_selectorIsiEEZNS1_14transform_implILb0ES3_S5_N6thrust23THRUST_200600_302600_NS6detail15normal_iteratorINS8_10device_ptrIsEEEENSA_INSB_IiEEEEZNS1_13binary_searchIS3_S5_SD_SD_SF_NS1_21lower_bound_search_opENS9_16wrapped_functionINS0_4lessIvEEbEEEE10hipError_tPvRmT1_T2_T3_mmT4_T5_P12ihipStream_tbEUlRKsE_EESM_SQ_SR_mSS_SV_bEUlT_E_NS1_11comp_targetILNS1_3genE10ELNS1_11target_archE1201ELNS1_3gpuE5ELNS1_3repE0EEENS1_30default_config_static_selectorELNS0_4arch9wavefront6targetE1EEEvSP_,"axG",@progbits,_ZN7rocprim17ROCPRIM_400000_NS6detail17trampoline_kernelINS0_14default_configENS1_27lower_bound_config_selectorIsiEEZNS1_14transform_implILb0ES3_S5_N6thrust23THRUST_200600_302600_NS6detail15normal_iteratorINS8_10device_ptrIsEEEENSA_INSB_IiEEEEZNS1_13binary_searchIS3_S5_SD_SD_SF_NS1_21lower_bound_search_opENS9_16wrapped_functionINS0_4lessIvEEbEEEE10hipError_tPvRmT1_T2_T3_mmT4_T5_P12ihipStream_tbEUlRKsE_EESM_SQ_SR_mSS_SV_bEUlT_E_NS1_11comp_targetILNS1_3genE10ELNS1_11target_archE1201ELNS1_3gpuE5ELNS1_3repE0EEENS1_30default_config_static_selectorELNS0_4arch9wavefront6targetE1EEEvSP_,comdat
.Lfunc_end326:
	.size	_ZN7rocprim17ROCPRIM_400000_NS6detail17trampoline_kernelINS0_14default_configENS1_27lower_bound_config_selectorIsiEEZNS1_14transform_implILb0ES3_S5_N6thrust23THRUST_200600_302600_NS6detail15normal_iteratorINS8_10device_ptrIsEEEENSA_INSB_IiEEEEZNS1_13binary_searchIS3_S5_SD_SD_SF_NS1_21lower_bound_search_opENS9_16wrapped_functionINS0_4lessIvEEbEEEE10hipError_tPvRmT1_T2_T3_mmT4_T5_P12ihipStream_tbEUlRKsE_EESM_SQ_SR_mSS_SV_bEUlT_E_NS1_11comp_targetILNS1_3genE10ELNS1_11target_archE1201ELNS1_3gpuE5ELNS1_3repE0EEENS1_30default_config_static_selectorELNS0_4arch9wavefront6targetE1EEEvSP_, .Lfunc_end326-_ZN7rocprim17ROCPRIM_400000_NS6detail17trampoline_kernelINS0_14default_configENS1_27lower_bound_config_selectorIsiEEZNS1_14transform_implILb0ES3_S5_N6thrust23THRUST_200600_302600_NS6detail15normal_iteratorINS8_10device_ptrIsEEEENSA_INSB_IiEEEEZNS1_13binary_searchIS3_S5_SD_SD_SF_NS1_21lower_bound_search_opENS9_16wrapped_functionINS0_4lessIvEEbEEEE10hipError_tPvRmT1_T2_T3_mmT4_T5_P12ihipStream_tbEUlRKsE_EESM_SQ_SR_mSS_SV_bEUlT_E_NS1_11comp_targetILNS1_3genE10ELNS1_11target_archE1201ELNS1_3gpuE5ELNS1_3repE0EEENS1_30default_config_static_selectorELNS0_4arch9wavefront6targetE1EEEvSP_
                                        ; -- End function
	.section	.AMDGPU.csdata,"",@progbits
; Kernel info:
; codeLenInByte = 0
; NumSgprs: 4
; NumVgprs: 0
; NumAgprs: 0
; TotalNumVgprs: 0
; ScratchSize: 0
; MemoryBound: 0
; FloatMode: 240
; IeeeMode: 1
; LDSByteSize: 0 bytes/workgroup (compile time only)
; SGPRBlocks: 0
; VGPRBlocks: 0
; NumSGPRsForWavesPerEU: 4
; NumVGPRsForWavesPerEU: 1
; AccumOffset: 4
; Occupancy: 8
; WaveLimiterHint : 0
; COMPUTE_PGM_RSRC2:SCRATCH_EN: 0
; COMPUTE_PGM_RSRC2:USER_SGPR: 6
; COMPUTE_PGM_RSRC2:TRAP_HANDLER: 0
; COMPUTE_PGM_RSRC2:TGID_X_EN: 1
; COMPUTE_PGM_RSRC2:TGID_Y_EN: 0
; COMPUTE_PGM_RSRC2:TGID_Z_EN: 0
; COMPUTE_PGM_RSRC2:TIDIG_COMP_CNT: 0
; COMPUTE_PGM_RSRC3_GFX90A:ACCUM_OFFSET: 0
; COMPUTE_PGM_RSRC3_GFX90A:TG_SPLIT: 0
	.section	.text._ZN7rocprim17ROCPRIM_400000_NS6detail17trampoline_kernelINS0_14default_configENS1_27lower_bound_config_selectorIsiEEZNS1_14transform_implILb0ES3_S5_N6thrust23THRUST_200600_302600_NS6detail15normal_iteratorINS8_10device_ptrIsEEEENSA_INSB_IiEEEEZNS1_13binary_searchIS3_S5_SD_SD_SF_NS1_21lower_bound_search_opENS9_16wrapped_functionINS0_4lessIvEEbEEEE10hipError_tPvRmT1_T2_T3_mmT4_T5_P12ihipStream_tbEUlRKsE_EESM_SQ_SR_mSS_SV_bEUlT_E_NS1_11comp_targetILNS1_3genE10ELNS1_11target_archE1200ELNS1_3gpuE4ELNS1_3repE0EEENS1_30default_config_static_selectorELNS0_4arch9wavefront6targetE1EEEvSP_,"axG",@progbits,_ZN7rocprim17ROCPRIM_400000_NS6detail17trampoline_kernelINS0_14default_configENS1_27lower_bound_config_selectorIsiEEZNS1_14transform_implILb0ES3_S5_N6thrust23THRUST_200600_302600_NS6detail15normal_iteratorINS8_10device_ptrIsEEEENSA_INSB_IiEEEEZNS1_13binary_searchIS3_S5_SD_SD_SF_NS1_21lower_bound_search_opENS9_16wrapped_functionINS0_4lessIvEEbEEEE10hipError_tPvRmT1_T2_T3_mmT4_T5_P12ihipStream_tbEUlRKsE_EESM_SQ_SR_mSS_SV_bEUlT_E_NS1_11comp_targetILNS1_3genE10ELNS1_11target_archE1200ELNS1_3gpuE4ELNS1_3repE0EEENS1_30default_config_static_selectorELNS0_4arch9wavefront6targetE1EEEvSP_,comdat
	.protected	_ZN7rocprim17ROCPRIM_400000_NS6detail17trampoline_kernelINS0_14default_configENS1_27lower_bound_config_selectorIsiEEZNS1_14transform_implILb0ES3_S5_N6thrust23THRUST_200600_302600_NS6detail15normal_iteratorINS8_10device_ptrIsEEEENSA_INSB_IiEEEEZNS1_13binary_searchIS3_S5_SD_SD_SF_NS1_21lower_bound_search_opENS9_16wrapped_functionINS0_4lessIvEEbEEEE10hipError_tPvRmT1_T2_T3_mmT4_T5_P12ihipStream_tbEUlRKsE_EESM_SQ_SR_mSS_SV_bEUlT_E_NS1_11comp_targetILNS1_3genE10ELNS1_11target_archE1200ELNS1_3gpuE4ELNS1_3repE0EEENS1_30default_config_static_selectorELNS0_4arch9wavefront6targetE1EEEvSP_ ; -- Begin function _ZN7rocprim17ROCPRIM_400000_NS6detail17trampoline_kernelINS0_14default_configENS1_27lower_bound_config_selectorIsiEEZNS1_14transform_implILb0ES3_S5_N6thrust23THRUST_200600_302600_NS6detail15normal_iteratorINS8_10device_ptrIsEEEENSA_INSB_IiEEEEZNS1_13binary_searchIS3_S5_SD_SD_SF_NS1_21lower_bound_search_opENS9_16wrapped_functionINS0_4lessIvEEbEEEE10hipError_tPvRmT1_T2_T3_mmT4_T5_P12ihipStream_tbEUlRKsE_EESM_SQ_SR_mSS_SV_bEUlT_E_NS1_11comp_targetILNS1_3genE10ELNS1_11target_archE1200ELNS1_3gpuE4ELNS1_3repE0EEENS1_30default_config_static_selectorELNS0_4arch9wavefront6targetE1EEEvSP_
	.globl	_ZN7rocprim17ROCPRIM_400000_NS6detail17trampoline_kernelINS0_14default_configENS1_27lower_bound_config_selectorIsiEEZNS1_14transform_implILb0ES3_S5_N6thrust23THRUST_200600_302600_NS6detail15normal_iteratorINS8_10device_ptrIsEEEENSA_INSB_IiEEEEZNS1_13binary_searchIS3_S5_SD_SD_SF_NS1_21lower_bound_search_opENS9_16wrapped_functionINS0_4lessIvEEbEEEE10hipError_tPvRmT1_T2_T3_mmT4_T5_P12ihipStream_tbEUlRKsE_EESM_SQ_SR_mSS_SV_bEUlT_E_NS1_11comp_targetILNS1_3genE10ELNS1_11target_archE1200ELNS1_3gpuE4ELNS1_3repE0EEENS1_30default_config_static_selectorELNS0_4arch9wavefront6targetE1EEEvSP_
	.p2align	8
	.type	_ZN7rocprim17ROCPRIM_400000_NS6detail17trampoline_kernelINS0_14default_configENS1_27lower_bound_config_selectorIsiEEZNS1_14transform_implILb0ES3_S5_N6thrust23THRUST_200600_302600_NS6detail15normal_iteratorINS8_10device_ptrIsEEEENSA_INSB_IiEEEEZNS1_13binary_searchIS3_S5_SD_SD_SF_NS1_21lower_bound_search_opENS9_16wrapped_functionINS0_4lessIvEEbEEEE10hipError_tPvRmT1_T2_T3_mmT4_T5_P12ihipStream_tbEUlRKsE_EESM_SQ_SR_mSS_SV_bEUlT_E_NS1_11comp_targetILNS1_3genE10ELNS1_11target_archE1200ELNS1_3gpuE4ELNS1_3repE0EEENS1_30default_config_static_selectorELNS0_4arch9wavefront6targetE1EEEvSP_,@function
_ZN7rocprim17ROCPRIM_400000_NS6detail17trampoline_kernelINS0_14default_configENS1_27lower_bound_config_selectorIsiEEZNS1_14transform_implILb0ES3_S5_N6thrust23THRUST_200600_302600_NS6detail15normal_iteratorINS8_10device_ptrIsEEEENSA_INSB_IiEEEEZNS1_13binary_searchIS3_S5_SD_SD_SF_NS1_21lower_bound_search_opENS9_16wrapped_functionINS0_4lessIvEEbEEEE10hipError_tPvRmT1_T2_T3_mmT4_T5_P12ihipStream_tbEUlRKsE_EESM_SQ_SR_mSS_SV_bEUlT_E_NS1_11comp_targetILNS1_3genE10ELNS1_11target_archE1200ELNS1_3gpuE4ELNS1_3repE0EEENS1_30default_config_static_selectorELNS0_4arch9wavefront6targetE1EEEvSP_: ; @_ZN7rocprim17ROCPRIM_400000_NS6detail17trampoline_kernelINS0_14default_configENS1_27lower_bound_config_selectorIsiEEZNS1_14transform_implILb0ES3_S5_N6thrust23THRUST_200600_302600_NS6detail15normal_iteratorINS8_10device_ptrIsEEEENSA_INSB_IiEEEEZNS1_13binary_searchIS3_S5_SD_SD_SF_NS1_21lower_bound_search_opENS9_16wrapped_functionINS0_4lessIvEEbEEEE10hipError_tPvRmT1_T2_T3_mmT4_T5_P12ihipStream_tbEUlRKsE_EESM_SQ_SR_mSS_SV_bEUlT_E_NS1_11comp_targetILNS1_3genE10ELNS1_11target_archE1200ELNS1_3gpuE4ELNS1_3repE0EEENS1_30default_config_static_selectorELNS0_4arch9wavefront6targetE1EEEvSP_
; %bb.0:
	.section	.rodata,"a",@progbits
	.p2align	6, 0x0
	.amdhsa_kernel _ZN7rocprim17ROCPRIM_400000_NS6detail17trampoline_kernelINS0_14default_configENS1_27lower_bound_config_selectorIsiEEZNS1_14transform_implILb0ES3_S5_N6thrust23THRUST_200600_302600_NS6detail15normal_iteratorINS8_10device_ptrIsEEEENSA_INSB_IiEEEEZNS1_13binary_searchIS3_S5_SD_SD_SF_NS1_21lower_bound_search_opENS9_16wrapped_functionINS0_4lessIvEEbEEEE10hipError_tPvRmT1_T2_T3_mmT4_T5_P12ihipStream_tbEUlRKsE_EESM_SQ_SR_mSS_SV_bEUlT_E_NS1_11comp_targetILNS1_3genE10ELNS1_11target_archE1200ELNS1_3gpuE4ELNS1_3repE0EEENS1_30default_config_static_selectorELNS0_4arch9wavefront6targetE1EEEvSP_
		.amdhsa_group_segment_fixed_size 0
		.amdhsa_private_segment_fixed_size 0
		.amdhsa_kernarg_size 56
		.amdhsa_user_sgpr_count 6
		.amdhsa_user_sgpr_private_segment_buffer 1
		.amdhsa_user_sgpr_dispatch_ptr 0
		.amdhsa_user_sgpr_queue_ptr 0
		.amdhsa_user_sgpr_kernarg_segment_ptr 1
		.amdhsa_user_sgpr_dispatch_id 0
		.amdhsa_user_sgpr_flat_scratch_init 0
		.amdhsa_user_sgpr_kernarg_preload_length 0
		.amdhsa_user_sgpr_kernarg_preload_offset 0
		.amdhsa_user_sgpr_private_segment_size 0
		.amdhsa_uses_dynamic_stack 0
		.amdhsa_system_sgpr_private_segment_wavefront_offset 0
		.amdhsa_system_sgpr_workgroup_id_x 1
		.amdhsa_system_sgpr_workgroup_id_y 0
		.amdhsa_system_sgpr_workgroup_id_z 0
		.amdhsa_system_sgpr_workgroup_info 0
		.amdhsa_system_vgpr_workitem_id 0
		.amdhsa_next_free_vgpr 1
		.amdhsa_next_free_sgpr 0
		.amdhsa_accum_offset 4
		.amdhsa_reserve_vcc 0
		.amdhsa_reserve_flat_scratch 0
		.amdhsa_float_round_mode_32 0
		.amdhsa_float_round_mode_16_64 0
		.amdhsa_float_denorm_mode_32 3
		.amdhsa_float_denorm_mode_16_64 3
		.amdhsa_dx10_clamp 1
		.amdhsa_ieee_mode 1
		.amdhsa_fp16_overflow 0
		.amdhsa_tg_split 0
		.amdhsa_exception_fp_ieee_invalid_op 0
		.amdhsa_exception_fp_denorm_src 0
		.amdhsa_exception_fp_ieee_div_zero 0
		.amdhsa_exception_fp_ieee_overflow 0
		.amdhsa_exception_fp_ieee_underflow 0
		.amdhsa_exception_fp_ieee_inexact 0
		.amdhsa_exception_int_div_zero 0
	.end_amdhsa_kernel
	.section	.text._ZN7rocprim17ROCPRIM_400000_NS6detail17trampoline_kernelINS0_14default_configENS1_27lower_bound_config_selectorIsiEEZNS1_14transform_implILb0ES3_S5_N6thrust23THRUST_200600_302600_NS6detail15normal_iteratorINS8_10device_ptrIsEEEENSA_INSB_IiEEEEZNS1_13binary_searchIS3_S5_SD_SD_SF_NS1_21lower_bound_search_opENS9_16wrapped_functionINS0_4lessIvEEbEEEE10hipError_tPvRmT1_T2_T3_mmT4_T5_P12ihipStream_tbEUlRKsE_EESM_SQ_SR_mSS_SV_bEUlT_E_NS1_11comp_targetILNS1_3genE10ELNS1_11target_archE1200ELNS1_3gpuE4ELNS1_3repE0EEENS1_30default_config_static_selectorELNS0_4arch9wavefront6targetE1EEEvSP_,"axG",@progbits,_ZN7rocprim17ROCPRIM_400000_NS6detail17trampoline_kernelINS0_14default_configENS1_27lower_bound_config_selectorIsiEEZNS1_14transform_implILb0ES3_S5_N6thrust23THRUST_200600_302600_NS6detail15normal_iteratorINS8_10device_ptrIsEEEENSA_INSB_IiEEEEZNS1_13binary_searchIS3_S5_SD_SD_SF_NS1_21lower_bound_search_opENS9_16wrapped_functionINS0_4lessIvEEbEEEE10hipError_tPvRmT1_T2_T3_mmT4_T5_P12ihipStream_tbEUlRKsE_EESM_SQ_SR_mSS_SV_bEUlT_E_NS1_11comp_targetILNS1_3genE10ELNS1_11target_archE1200ELNS1_3gpuE4ELNS1_3repE0EEENS1_30default_config_static_selectorELNS0_4arch9wavefront6targetE1EEEvSP_,comdat
.Lfunc_end327:
	.size	_ZN7rocprim17ROCPRIM_400000_NS6detail17trampoline_kernelINS0_14default_configENS1_27lower_bound_config_selectorIsiEEZNS1_14transform_implILb0ES3_S5_N6thrust23THRUST_200600_302600_NS6detail15normal_iteratorINS8_10device_ptrIsEEEENSA_INSB_IiEEEEZNS1_13binary_searchIS3_S5_SD_SD_SF_NS1_21lower_bound_search_opENS9_16wrapped_functionINS0_4lessIvEEbEEEE10hipError_tPvRmT1_T2_T3_mmT4_T5_P12ihipStream_tbEUlRKsE_EESM_SQ_SR_mSS_SV_bEUlT_E_NS1_11comp_targetILNS1_3genE10ELNS1_11target_archE1200ELNS1_3gpuE4ELNS1_3repE0EEENS1_30default_config_static_selectorELNS0_4arch9wavefront6targetE1EEEvSP_, .Lfunc_end327-_ZN7rocprim17ROCPRIM_400000_NS6detail17trampoline_kernelINS0_14default_configENS1_27lower_bound_config_selectorIsiEEZNS1_14transform_implILb0ES3_S5_N6thrust23THRUST_200600_302600_NS6detail15normal_iteratorINS8_10device_ptrIsEEEENSA_INSB_IiEEEEZNS1_13binary_searchIS3_S5_SD_SD_SF_NS1_21lower_bound_search_opENS9_16wrapped_functionINS0_4lessIvEEbEEEE10hipError_tPvRmT1_T2_T3_mmT4_T5_P12ihipStream_tbEUlRKsE_EESM_SQ_SR_mSS_SV_bEUlT_E_NS1_11comp_targetILNS1_3genE10ELNS1_11target_archE1200ELNS1_3gpuE4ELNS1_3repE0EEENS1_30default_config_static_selectorELNS0_4arch9wavefront6targetE1EEEvSP_
                                        ; -- End function
	.section	.AMDGPU.csdata,"",@progbits
; Kernel info:
; codeLenInByte = 0
; NumSgprs: 4
; NumVgprs: 0
; NumAgprs: 0
; TotalNumVgprs: 0
; ScratchSize: 0
; MemoryBound: 0
; FloatMode: 240
; IeeeMode: 1
; LDSByteSize: 0 bytes/workgroup (compile time only)
; SGPRBlocks: 0
; VGPRBlocks: 0
; NumSGPRsForWavesPerEU: 4
; NumVGPRsForWavesPerEU: 1
; AccumOffset: 4
; Occupancy: 8
; WaveLimiterHint : 0
; COMPUTE_PGM_RSRC2:SCRATCH_EN: 0
; COMPUTE_PGM_RSRC2:USER_SGPR: 6
; COMPUTE_PGM_RSRC2:TRAP_HANDLER: 0
; COMPUTE_PGM_RSRC2:TGID_X_EN: 1
; COMPUTE_PGM_RSRC2:TGID_Y_EN: 0
; COMPUTE_PGM_RSRC2:TGID_Z_EN: 0
; COMPUTE_PGM_RSRC2:TIDIG_COMP_CNT: 0
; COMPUTE_PGM_RSRC3_GFX90A:ACCUM_OFFSET: 0
; COMPUTE_PGM_RSRC3_GFX90A:TG_SPLIT: 0
	.section	.text._ZN7rocprim17ROCPRIM_400000_NS6detail17trampoline_kernelINS0_14default_configENS1_27lower_bound_config_selectorIsiEEZNS1_14transform_implILb0ES3_S5_N6thrust23THRUST_200600_302600_NS6detail15normal_iteratorINS8_10device_ptrIsEEEENSA_INSB_IiEEEEZNS1_13binary_searchIS3_S5_SD_SD_SF_NS1_21lower_bound_search_opENS9_16wrapped_functionINS0_4lessIvEEbEEEE10hipError_tPvRmT1_T2_T3_mmT4_T5_P12ihipStream_tbEUlRKsE_EESM_SQ_SR_mSS_SV_bEUlT_E_NS1_11comp_targetILNS1_3genE9ELNS1_11target_archE1100ELNS1_3gpuE3ELNS1_3repE0EEENS1_30default_config_static_selectorELNS0_4arch9wavefront6targetE1EEEvSP_,"axG",@progbits,_ZN7rocprim17ROCPRIM_400000_NS6detail17trampoline_kernelINS0_14default_configENS1_27lower_bound_config_selectorIsiEEZNS1_14transform_implILb0ES3_S5_N6thrust23THRUST_200600_302600_NS6detail15normal_iteratorINS8_10device_ptrIsEEEENSA_INSB_IiEEEEZNS1_13binary_searchIS3_S5_SD_SD_SF_NS1_21lower_bound_search_opENS9_16wrapped_functionINS0_4lessIvEEbEEEE10hipError_tPvRmT1_T2_T3_mmT4_T5_P12ihipStream_tbEUlRKsE_EESM_SQ_SR_mSS_SV_bEUlT_E_NS1_11comp_targetILNS1_3genE9ELNS1_11target_archE1100ELNS1_3gpuE3ELNS1_3repE0EEENS1_30default_config_static_selectorELNS0_4arch9wavefront6targetE1EEEvSP_,comdat
	.protected	_ZN7rocprim17ROCPRIM_400000_NS6detail17trampoline_kernelINS0_14default_configENS1_27lower_bound_config_selectorIsiEEZNS1_14transform_implILb0ES3_S5_N6thrust23THRUST_200600_302600_NS6detail15normal_iteratorINS8_10device_ptrIsEEEENSA_INSB_IiEEEEZNS1_13binary_searchIS3_S5_SD_SD_SF_NS1_21lower_bound_search_opENS9_16wrapped_functionINS0_4lessIvEEbEEEE10hipError_tPvRmT1_T2_T3_mmT4_T5_P12ihipStream_tbEUlRKsE_EESM_SQ_SR_mSS_SV_bEUlT_E_NS1_11comp_targetILNS1_3genE9ELNS1_11target_archE1100ELNS1_3gpuE3ELNS1_3repE0EEENS1_30default_config_static_selectorELNS0_4arch9wavefront6targetE1EEEvSP_ ; -- Begin function _ZN7rocprim17ROCPRIM_400000_NS6detail17trampoline_kernelINS0_14default_configENS1_27lower_bound_config_selectorIsiEEZNS1_14transform_implILb0ES3_S5_N6thrust23THRUST_200600_302600_NS6detail15normal_iteratorINS8_10device_ptrIsEEEENSA_INSB_IiEEEEZNS1_13binary_searchIS3_S5_SD_SD_SF_NS1_21lower_bound_search_opENS9_16wrapped_functionINS0_4lessIvEEbEEEE10hipError_tPvRmT1_T2_T3_mmT4_T5_P12ihipStream_tbEUlRKsE_EESM_SQ_SR_mSS_SV_bEUlT_E_NS1_11comp_targetILNS1_3genE9ELNS1_11target_archE1100ELNS1_3gpuE3ELNS1_3repE0EEENS1_30default_config_static_selectorELNS0_4arch9wavefront6targetE1EEEvSP_
	.globl	_ZN7rocprim17ROCPRIM_400000_NS6detail17trampoline_kernelINS0_14default_configENS1_27lower_bound_config_selectorIsiEEZNS1_14transform_implILb0ES3_S5_N6thrust23THRUST_200600_302600_NS6detail15normal_iteratorINS8_10device_ptrIsEEEENSA_INSB_IiEEEEZNS1_13binary_searchIS3_S5_SD_SD_SF_NS1_21lower_bound_search_opENS9_16wrapped_functionINS0_4lessIvEEbEEEE10hipError_tPvRmT1_T2_T3_mmT4_T5_P12ihipStream_tbEUlRKsE_EESM_SQ_SR_mSS_SV_bEUlT_E_NS1_11comp_targetILNS1_3genE9ELNS1_11target_archE1100ELNS1_3gpuE3ELNS1_3repE0EEENS1_30default_config_static_selectorELNS0_4arch9wavefront6targetE1EEEvSP_
	.p2align	8
	.type	_ZN7rocprim17ROCPRIM_400000_NS6detail17trampoline_kernelINS0_14default_configENS1_27lower_bound_config_selectorIsiEEZNS1_14transform_implILb0ES3_S5_N6thrust23THRUST_200600_302600_NS6detail15normal_iteratorINS8_10device_ptrIsEEEENSA_INSB_IiEEEEZNS1_13binary_searchIS3_S5_SD_SD_SF_NS1_21lower_bound_search_opENS9_16wrapped_functionINS0_4lessIvEEbEEEE10hipError_tPvRmT1_T2_T3_mmT4_T5_P12ihipStream_tbEUlRKsE_EESM_SQ_SR_mSS_SV_bEUlT_E_NS1_11comp_targetILNS1_3genE9ELNS1_11target_archE1100ELNS1_3gpuE3ELNS1_3repE0EEENS1_30default_config_static_selectorELNS0_4arch9wavefront6targetE1EEEvSP_,@function
_ZN7rocprim17ROCPRIM_400000_NS6detail17trampoline_kernelINS0_14default_configENS1_27lower_bound_config_selectorIsiEEZNS1_14transform_implILb0ES3_S5_N6thrust23THRUST_200600_302600_NS6detail15normal_iteratorINS8_10device_ptrIsEEEENSA_INSB_IiEEEEZNS1_13binary_searchIS3_S5_SD_SD_SF_NS1_21lower_bound_search_opENS9_16wrapped_functionINS0_4lessIvEEbEEEE10hipError_tPvRmT1_T2_T3_mmT4_T5_P12ihipStream_tbEUlRKsE_EESM_SQ_SR_mSS_SV_bEUlT_E_NS1_11comp_targetILNS1_3genE9ELNS1_11target_archE1100ELNS1_3gpuE3ELNS1_3repE0EEENS1_30default_config_static_selectorELNS0_4arch9wavefront6targetE1EEEvSP_: ; @_ZN7rocprim17ROCPRIM_400000_NS6detail17trampoline_kernelINS0_14default_configENS1_27lower_bound_config_selectorIsiEEZNS1_14transform_implILb0ES3_S5_N6thrust23THRUST_200600_302600_NS6detail15normal_iteratorINS8_10device_ptrIsEEEENSA_INSB_IiEEEEZNS1_13binary_searchIS3_S5_SD_SD_SF_NS1_21lower_bound_search_opENS9_16wrapped_functionINS0_4lessIvEEbEEEE10hipError_tPvRmT1_T2_T3_mmT4_T5_P12ihipStream_tbEUlRKsE_EESM_SQ_SR_mSS_SV_bEUlT_E_NS1_11comp_targetILNS1_3genE9ELNS1_11target_archE1100ELNS1_3gpuE3ELNS1_3repE0EEENS1_30default_config_static_selectorELNS0_4arch9wavefront6targetE1EEEvSP_
; %bb.0:
	.section	.rodata,"a",@progbits
	.p2align	6, 0x0
	.amdhsa_kernel _ZN7rocprim17ROCPRIM_400000_NS6detail17trampoline_kernelINS0_14default_configENS1_27lower_bound_config_selectorIsiEEZNS1_14transform_implILb0ES3_S5_N6thrust23THRUST_200600_302600_NS6detail15normal_iteratorINS8_10device_ptrIsEEEENSA_INSB_IiEEEEZNS1_13binary_searchIS3_S5_SD_SD_SF_NS1_21lower_bound_search_opENS9_16wrapped_functionINS0_4lessIvEEbEEEE10hipError_tPvRmT1_T2_T3_mmT4_T5_P12ihipStream_tbEUlRKsE_EESM_SQ_SR_mSS_SV_bEUlT_E_NS1_11comp_targetILNS1_3genE9ELNS1_11target_archE1100ELNS1_3gpuE3ELNS1_3repE0EEENS1_30default_config_static_selectorELNS0_4arch9wavefront6targetE1EEEvSP_
		.amdhsa_group_segment_fixed_size 0
		.amdhsa_private_segment_fixed_size 0
		.amdhsa_kernarg_size 56
		.amdhsa_user_sgpr_count 6
		.amdhsa_user_sgpr_private_segment_buffer 1
		.amdhsa_user_sgpr_dispatch_ptr 0
		.amdhsa_user_sgpr_queue_ptr 0
		.amdhsa_user_sgpr_kernarg_segment_ptr 1
		.amdhsa_user_sgpr_dispatch_id 0
		.amdhsa_user_sgpr_flat_scratch_init 0
		.amdhsa_user_sgpr_kernarg_preload_length 0
		.amdhsa_user_sgpr_kernarg_preload_offset 0
		.amdhsa_user_sgpr_private_segment_size 0
		.amdhsa_uses_dynamic_stack 0
		.amdhsa_system_sgpr_private_segment_wavefront_offset 0
		.amdhsa_system_sgpr_workgroup_id_x 1
		.amdhsa_system_sgpr_workgroup_id_y 0
		.amdhsa_system_sgpr_workgroup_id_z 0
		.amdhsa_system_sgpr_workgroup_info 0
		.amdhsa_system_vgpr_workitem_id 0
		.amdhsa_next_free_vgpr 1
		.amdhsa_next_free_sgpr 0
		.amdhsa_accum_offset 4
		.amdhsa_reserve_vcc 0
		.amdhsa_reserve_flat_scratch 0
		.amdhsa_float_round_mode_32 0
		.amdhsa_float_round_mode_16_64 0
		.amdhsa_float_denorm_mode_32 3
		.amdhsa_float_denorm_mode_16_64 3
		.amdhsa_dx10_clamp 1
		.amdhsa_ieee_mode 1
		.amdhsa_fp16_overflow 0
		.amdhsa_tg_split 0
		.amdhsa_exception_fp_ieee_invalid_op 0
		.amdhsa_exception_fp_denorm_src 0
		.amdhsa_exception_fp_ieee_div_zero 0
		.amdhsa_exception_fp_ieee_overflow 0
		.amdhsa_exception_fp_ieee_underflow 0
		.amdhsa_exception_fp_ieee_inexact 0
		.amdhsa_exception_int_div_zero 0
	.end_amdhsa_kernel
	.section	.text._ZN7rocprim17ROCPRIM_400000_NS6detail17trampoline_kernelINS0_14default_configENS1_27lower_bound_config_selectorIsiEEZNS1_14transform_implILb0ES3_S5_N6thrust23THRUST_200600_302600_NS6detail15normal_iteratorINS8_10device_ptrIsEEEENSA_INSB_IiEEEEZNS1_13binary_searchIS3_S5_SD_SD_SF_NS1_21lower_bound_search_opENS9_16wrapped_functionINS0_4lessIvEEbEEEE10hipError_tPvRmT1_T2_T3_mmT4_T5_P12ihipStream_tbEUlRKsE_EESM_SQ_SR_mSS_SV_bEUlT_E_NS1_11comp_targetILNS1_3genE9ELNS1_11target_archE1100ELNS1_3gpuE3ELNS1_3repE0EEENS1_30default_config_static_selectorELNS0_4arch9wavefront6targetE1EEEvSP_,"axG",@progbits,_ZN7rocprim17ROCPRIM_400000_NS6detail17trampoline_kernelINS0_14default_configENS1_27lower_bound_config_selectorIsiEEZNS1_14transform_implILb0ES3_S5_N6thrust23THRUST_200600_302600_NS6detail15normal_iteratorINS8_10device_ptrIsEEEENSA_INSB_IiEEEEZNS1_13binary_searchIS3_S5_SD_SD_SF_NS1_21lower_bound_search_opENS9_16wrapped_functionINS0_4lessIvEEbEEEE10hipError_tPvRmT1_T2_T3_mmT4_T5_P12ihipStream_tbEUlRKsE_EESM_SQ_SR_mSS_SV_bEUlT_E_NS1_11comp_targetILNS1_3genE9ELNS1_11target_archE1100ELNS1_3gpuE3ELNS1_3repE0EEENS1_30default_config_static_selectorELNS0_4arch9wavefront6targetE1EEEvSP_,comdat
.Lfunc_end328:
	.size	_ZN7rocprim17ROCPRIM_400000_NS6detail17trampoline_kernelINS0_14default_configENS1_27lower_bound_config_selectorIsiEEZNS1_14transform_implILb0ES3_S5_N6thrust23THRUST_200600_302600_NS6detail15normal_iteratorINS8_10device_ptrIsEEEENSA_INSB_IiEEEEZNS1_13binary_searchIS3_S5_SD_SD_SF_NS1_21lower_bound_search_opENS9_16wrapped_functionINS0_4lessIvEEbEEEE10hipError_tPvRmT1_T2_T3_mmT4_T5_P12ihipStream_tbEUlRKsE_EESM_SQ_SR_mSS_SV_bEUlT_E_NS1_11comp_targetILNS1_3genE9ELNS1_11target_archE1100ELNS1_3gpuE3ELNS1_3repE0EEENS1_30default_config_static_selectorELNS0_4arch9wavefront6targetE1EEEvSP_, .Lfunc_end328-_ZN7rocprim17ROCPRIM_400000_NS6detail17trampoline_kernelINS0_14default_configENS1_27lower_bound_config_selectorIsiEEZNS1_14transform_implILb0ES3_S5_N6thrust23THRUST_200600_302600_NS6detail15normal_iteratorINS8_10device_ptrIsEEEENSA_INSB_IiEEEEZNS1_13binary_searchIS3_S5_SD_SD_SF_NS1_21lower_bound_search_opENS9_16wrapped_functionINS0_4lessIvEEbEEEE10hipError_tPvRmT1_T2_T3_mmT4_T5_P12ihipStream_tbEUlRKsE_EESM_SQ_SR_mSS_SV_bEUlT_E_NS1_11comp_targetILNS1_3genE9ELNS1_11target_archE1100ELNS1_3gpuE3ELNS1_3repE0EEENS1_30default_config_static_selectorELNS0_4arch9wavefront6targetE1EEEvSP_
                                        ; -- End function
	.section	.AMDGPU.csdata,"",@progbits
; Kernel info:
; codeLenInByte = 0
; NumSgprs: 4
; NumVgprs: 0
; NumAgprs: 0
; TotalNumVgprs: 0
; ScratchSize: 0
; MemoryBound: 0
; FloatMode: 240
; IeeeMode: 1
; LDSByteSize: 0 bytes/workgroup (compile time only)
; SGPRBlocks: 0
; VGPRBlocks: 0
; NumSGPRsForWavesPerEU: 4
; NumVGPRsForWavesPerEU: 1
; AccumOffset: 4
; Occupancy: 8
; WaveLimiterHint : 0
; COMPUTE_PGM_RSRC2:SCRATCH_EN: 0
; COMPUTE_PGM_RSRC2:USER_SGPR: 6
; COMPUTE_PGM_RSRC2:TRAP_HANDLER: 0
; COMPUTE_PGM_RSRC2:TGID_X_EN: 1
; COMPUTE_PGM_RSRC2:TGID_Y_EN: 0
; COMPUTE_PGM_RSRC2:TGID_Z_EN: 0
; COMPUTE_PGM_RSRC2:TIDIG_COMP_CNT: 0
; COMPUTE_PGM_RSRC3_GFX90A:ACCUM_OFFSET: 0
; COMPUTE_PGM_RSRC3_GFX90A:TG_SPLIT: 0
	.section	.text._ZN7rocprim17ROCPRIM_400000_NS6detail17trampoline_kernelINS0_14default_configENS1_27lower_bound_config_selectorIsiEEZNS1_14transform_implILb0ES3_S5_N6thrust23THRUST_200600_302600_NS6detail15normal_iteratorINS8_10device_ptrIsEEEENSA_INSB_IiEEEEZNS1_13binary_searchIS3_S5_SD_SD_SF_NS1_21lower_bound_search_opENS9_16wrapped_functionINS0_4lessIvEEbEEEE10hipError_tPvRmT1_T2_T3_mmT4_T5_P12ihipStream_tbEUlRKsE_EESM_SQ_SR_mSS_SV_bEUlT_E_NS1_11comp_targetILNS1_3genE8ELNS1_11target_archE1030ELNS1_3gpuE2ELNS1_3repE0EEENS1_30default_config_static_selectorELNS0_4arch9wavefront6targetE1EEEvSP_,"axG",@progbits,_ZN7rocprim17ROCPRIM_400000_NS6detail17trampoline_kernelINS0_14default_configENS1_27lower_bound_config_selectorIsiEEZNS1_14transform_implILb0ES3_S5_N6thrust23THRUST_200600_302600_NS6detail15normal_iteratorINS8_10device_ptrIsEEEENSA_INSB_IiEEEEZNS1_13binary_searchIS3_S5_SD_SD_SF_NS1_21lower_bound_search_opENS9_16wrapped_functionINS0_4lessIvEEbEEEE10hipError_tPvRmT1_T2_T3_mmT4_T5_P12ihipStream_tbEUlRKsE_EESM_SQ_SR_mSS_SV_bEUlT_E_NS1_11comp_targetILNS1_3genE8ELNS1_11target_archE1030ELNS1_3gpuE2ELNS1_3repE0EEENS1_30default_config_static_selectorELNS0_4arch9wavefront6targetE1EEEvSP_,comdat
	.protected	_ZN7rocprim17ROCPRIM_400000_NS6detail17trampoline_kernelINS0_14default_configENS1_27lower_bound_config_selectorIsiEEZNS1_14transform_implILb0ES3_S5_N6thrust23THRUST_200600_302600_NS6detail15normal_iteratorINS8_10device_ptrIsEEEENSA_INSB_IiEEEEZNS1_13binary_searchIS3_S5_SD_SD_SF_NS1_21lower_bound_search_opENS9_16wrapped_functionINS0_4lessIvEEbEEEE10hipError_tPvRmT1_T2_T3_mmT4_T5_P12ihipStream_tbEUlRKsE_EESM_SQ_SR_mSS_SV_bEUlT_E_NS1_11comp_targetILNS1_3genE8ELNS1_11target_archE1030ELNS1_3gpuE2ELNS1_3repE0EEENS1_30default_config_static_selectorELNS0_4arch9wavefront6targetE1EEEvSP_ ; -- Begin function _ZN7rocprim17ROCPRIM_400000_NS6detail17trampoline_kernelINS0_14default_configENS1_27lower_bound_config_selectorIsiEEZNS1_14transform_implILb0ES3_S5_N6thrust23THRUST_200600_302600_NS6detail15normal_iteratorINS8_10device_ptrIsEEEENSA_INSB_IiEEEEZNS1_13binary_searchIS3_S5_SD_SD_SF_NS1_21lower_bound_search_opENS9_16wrapped_functionINS0_4lessIvEEbEEEE10hipError_tPvRmT1_T2_T3_mmT4_T5_P12ihipStream_tbEUlRKsE_EESM_SQ_SR_mSS_SV_bEUlT_E_NS1_11comp_targetILNS1_3genE8ELNS1_11target_archE1030ELNS1_3gpuE2ELNS1_3repE0EEENS1_30default_config_static_selectorELNS0_4arch9wavefront6targetE1EEEvSP_
	.globl	_ZN7rocprim17ROCPRIM_400000_NS6detail17trampoline_kernelINS0_14default_configENS1_27lower_bound_config_selectorIsiEEZNS1_14transform_implILb0ES3_S5_N6thrust23THRUST_200600_302600_NS6detail15normal_iteratorINS8_10device_ptrIsEEEENSA_INSB_IiEEEEZNS1_13binary_searchIS3_S5_SD_SD_SF_NS1_21lower_bound_search_opENS9_16wrapped_functionINS0_4lessIvEEbEEEE10hipError_tPvRmT1_T2_T3_mmT4_T5_P12ihipStream_tbEUlRKsE_EESM_SQ_SR_mSS_SV_bEUlT_E_NS1_11comp_targetILNS1_3genE8ELNS1_11target_archE1030ELNS1_3gpuE2ELNS1_3repE0EEENS1_30default_config_static_selectorELNS0_4arch9wavefront6targetE1EEEvSP_
	.p2align	8
	.type	_ZN7rocprim17ROCPRIM_400000_NS6detail17trampoline_kernelINS0_14default_configENS1_27lower_bound_config_selectorIsiEEZNS1_14transform_implILb0ES3_S5_N6thrust23THRUST_200600_302600_NS6detail15normal_iteratorINS8_10device_ptrIsEEEENSA_INSB_IiEEEEZNS1_13binary_searchIS3_S5_SD_SD_SF_NS1_21lower_bound_search_opENS9_16wrapped_functionINS0_4lessIvEEbEEEE10hipError_tPvRmT1_T2_T3_mmT4_T5_P12ihipStream_tbEUlRKsE_EESM_SQ_SR_mSS_SV_bEUlT_E_NS1_11comp_targetILNS1_3genE8ELNS1_11target_archE1030ELNS1_3gpuE2ELNS1_3repE0EEENS1_30default_config_static_selectorELNS0_4arch9wavefront6targetE1EEEvSP_,@function
_ZN7rocprim17ROCPRIM_400000_NS6detail17trampoline_kernelINS0_14default_configENS1_27lower_bound_config_selectorIsiEEZNS1_14transform_implILb0ES3_S5_N6thrust23THRUST_200600_302600_NS6detail15normal_iteratorINS8_10device_ptrIsEEEENSA_INSB_IiEEEEZNS1_13binary_searchIS3_S5_SD_SD_SF_NS1_21lower_bound_search_opENS9_16wrapped_functionINS0_4lessIvEEbEEEE10hipError_tPvRmT1_T2_T3_mmT4_T5_P12ihipStream_tbEUlRKsE_EESM_SQ_SR_mSS_SV_bEUlT_E_NS1_11comp_targetILNS1_3genE8ELNS1_11target_archE1030ELNS1_3gpuE2ELNS1_3repE0EEENS1_30default_config_static_selectorELNS0_4arch9wavefront6targetE1EEEvSP_: ; @_ZN7rocprim17ROCPRIM_400000_NS6detail17trampoline_kernelINS0_14default_configENS1_27lower_bound_config_selectorIsiEEZNS1_14transform_implILb0ES3_S5_N6thrust23THRUST_200600_302600_NS6detail15normal_iteratorINS8_10device_ptrIsEEEENSA_INSB_IiEEEEZNS1_13binary_searchIS3_S5_SD_SD_SF_NS1_21lower_bound_search_opENS9_16wrapped_functionINS0_4lessIvEEbEEEE10hipError_tPvRmT1_T2_T3_mmT4_T5_P12ihipStream_tbEUlRKsE_EESM_SQ_SR_mSS_SV_bEUlT_E_NS1_11comp_targetILNS1_3genE8ELNS1_11target_archE1030ELNS1_3gpuE2ELNS1_3repE0EEENS1_30default_config_static_selectorELNS0_4arch9wavefront6targetE1EEEvSP_
; %bb.0:
	.section	.rodata,"a",@progbits
	.p2align	6, 0x0
	.amdhsa_kernel _ZN7rocprim17ROCPRIM_400000_NS6detail17trampoline_kernelINS0_14default_configENS1_27lower_bound_config_selectorIsiEEZNS1_14transform_implILb0ES3_S5_N6thrust23THRUST_200600_302600_NS6detail15normal_iteratorINS8_10device_ptrIsEEEENSA_INSB_IiEEEEZNS1_13binary_searchIS3_S5_SD_SD_SF_NS1_21lower_bound_search_opENS9_16wrapped_functionINS0_4lessIvEEbEEEE10hipError_tPvRmT1_T2_T3_mmT4_T5_P12ihipStream_tbEUlRKsE_EESM_SQ_SR_mSS_SV_bEUlT_E_NS1_11comp_targetILNS1_3genE8ELNS1_11target_archE1030ELNS1_3gpuE2ELNS1_3repE0EEENS1_30default_config_static_selectorELNS0_4arch9wavefront6targetE1EEEvSP_
		.amdhsa_group_segment_fixed_size 0
		.amdhsa_private_segment_fixed_size 0
		.amdhsa_kernarg_size 56
		.amdhsa_user_sgpr_count 6
		.amdhsa_user_sgpr_private_segment_buffer 1
		.amdhsa_user_sgpr_dispatch_ptr 0
		.amdhsa_user_sgpr_queue_ptr 0
		.amdhsa_user_sgpr_kernarg_segment_ptr 1
		.amdhsa_user_sgpr_dispatch_id 0
		.amdhsa_user_sgpr_flat_scratch_init 0
		.amdhsa_user_sgpr_kernarg_preload_length 0
		.amdhsa_user_sgpr_kernarg_preload_offset 0
		.amdhsa_user_sgpr_private_segment_size 0
		.amdhsa_uses_dynamic_stack 0
		.amdhsa_system_sgpr_private_segment_wavefront_offset 0
		.amdhsa_system_sgpr_workgroup_id_x 1
		.amdhsa_system_sgpr_workgroup_id_y 0
		.amdhsa_system_sgpr_workgroup_id_z 0
		.amdhsa_system_sgpr_workgroup_info 0
		.amdhsa_system_vgpr_workitem_id 0
		.amdhsa_next_free_vgpr 1
		.amdhsa_next_free_sgpr 0
		.amdhsa_accum_offset 4
		.amdhsa_reserve_vcc 0
		.amdhsa_reserve_flat_scratch 0
		.amdhsa_float_round_mode_32 0
		.amdhsa_float_round_mode_16_64 0
		.amdhsa_float_denorm_mode_32 3
		.amdhsa_float_denorm_mode_16_64 3
		.amdhsa_dx10_clamp 1
		.amdhsa_ieee_mode 1
		.amdhsa_fp16_overflow 0
		.amdhsa_tg_split 0
		.amdhsa_exception_fp_ieee_invalid_op 0
		.amdhsa_exception_fp_denorm_src 0
		.amdhsa_exception_fp_ieee_div_zero 0
		.amdhsa_exception_fp_ieee_overflow 0
		.amdhsa_exception_fp_ieee_underflow 0
		.amdhsa_exception_fp_ieee_inexact 0
		.amdhsa_exception_int_div_zero 0
	.end_amdhsa_kernel
	.section	.text._ZN7rocprim17ROCPRIM_400000_NS6detail17trampoline_kernelINS0_14default_configENS1_27lower_bound_config_selectorIsiEEZNS1_14transform_implILb0ES3_S5_N6thrust23THRUST_200600_302600_NS6detail15normal_iteratorINS8_10device_ptrIsEEEENSA_INSB_IiEEEEZNS1_13binary_searchIS3_S5_SD_SD_SF_NS1_21lower_bound_search_opENS9_16wrapped_functionINS0_4lessIvEEbEEEE10hipError_tPvRmT1_T2_T3_mmT4_T5_P12ihipStream_tbEUlRKsE_EESM_SQ_SR_mSS_SV_bEUlT_E_NS1_11comp_targetILNS1_3genE8ELNS1_11target_archE1030ELNS1_3gpuE2ELNS1_3repE0EEENS1_30default_config_static_selectorELNS0_4arch9wavefront6targetE1EEEvSP_,"axG",@progbits,_ZN7rocprim17ROCPRIM_400000_NS6detail17trampoline_kernelINS0_14default_configENS1_27lower_bound_config_selectorIsiEEZNS1_14transform_implILb0ES3_S5_N6thrust23THRUST_200600_302600_NS6detail15normal_iteratorINS8_10device_ptrIsEEEENSA_INSB_IiEEEEZNS1_13binary_searchIS3_S5_SD_SD_SF_NS1_21lower_bound_search_opENS9_16wrapped_functionINS0_4lessIvEEbEEEE10hipError_tPvRmT1_T2_T3_mmT4_T5_P12ihipStream_tbEUlRKsE_EESM_SQ_SR_mSS_SV_bEUlT_E_NS1_11comp_targetILNS1_3genE8ELNS1_11target_archE1030ELNS1_3gpuE2ELNS1_3repE0EEENS1_30default_config_static_selectorELNS0_4arch9wavefront6targetE1EEEvSP_,comdat
.Lfunc_end329:
	.size	_ZN7rocprim17ROCPRIM_400000_NS6detail17trampoline_kernelINS0_14default_configENS1_27lower_bound_config_selectorIsiEEZNS1_14transform_implILb0ES3_S5_N6thrust23THRUST_200600_302600_NS6detail15normal_iteratorINS8_10device_ptrIsEEEENSA_INSB_IiEEEEZNS1_13binary_searchIS3_S5_SD_SD_SF_NS1_21lower_bound_search_opENS9_16wrapped_functionINS0_4lessIvEEbEEEE10hipError_tPvRmT1_T2_T3_mmT4_T5_P12ihipStream_tbEUlRKsE_EESM_SQ_SR_mSS_SV_bEUlT_E_NS1_11comp_targetILNS1_3genE8ELNS1_11target_archE1030ELNS1_3gpuE2ELNS1_3repE0EEENS1_30default_config_static_selectorELNS0_4arch9wavefront6targetE1EEEvSP_, .Lfunc_end329-_ZN7rocprim17ROCPRIM_400000_NS6detail17trampoline_kernelINS0_14default_configENS1_27lower_bound_config_selectorIsiEEZNS1_14transform_implILb0ES3_S5_N6thrust23THRUST_200600_302600_NS6detail15normal_iteratorINS8_10device_ptrIsEEEENSA_INSB_IiEEEEZNS1_13binary_searchIS3_S5_SD_SD_SF_NS1_21lower_bound_search_opENS9_16wrapped_functionINS0_4lessIvEEbEEEE10hipError_tPvRmT1_T2_T3_mmT4_T5_P12ihipStream_tbEUlRKsE_EESM_SQ_SR_mSS_SV_bEUlT_E_NS1_11comp_targetILNS1_3genE8ELNS1_11target_archE1030ELNS1_3gpuE2ELNS1_3repE0EEENS1_30default_config_static_selectorELNS0_4arch9wavefront6targetE1EEEvSP_
                                        ; -- End function
	.section	.AMDGPU.csdata,"",@progbits
; Kernel info:
; codeLenInByte = 0
; NumSgprs: 4
; NumVgprs: 0
; NumAgprs: 0
; TotalNumVgprs: 0
; ScratchSize: 0
; MemoryBound: 0
; FloatMode: 240
; IeeeMode: 1
; LDSByteSize: 0 bytes/workgroup (compile time only)
; SGPRBlocks: 0
; VGPRBlocks: 0
; NumSGPRsForWavesPerEU: 4
; NumVGPRsForWavesPerEU: 1
; AccumOffset: 4
; Occupancy: 8
; WaveLimiterHint : 0
; COMPUTE_PGM_RSRC2:SCRATCH_EN: 0
; COMPUTE_PGM_RSRC2:USER_SGPR: 6
; COMPUTE_PGM_RSRC2:TRAP_HANDLER: 0
; COMPUTE_PGM_RSRC2:TGID_X_EN: 1
; COMPUTE_PGM_RSRC2:TGID_Y_EN: 0
; COMPUTE_PGM_RSRC2:TGID_Z_EN: 0
; COMPUTE_PGM_RSRC2:TIDIG_COMP_CNT: 0
; COMPUTE_PGM_RSRC3_GFX90A:ACCUM_OFFSET: 0
; COMPUTE_PGM_RSRC3_GFX90A:TG_SPLIT: 0
	.section	.text._ZN7rocprim17ROCPRIM_400000_NS6detail17trampoline_kernelINS0_14default_configENS1_27upper_bound_config_selectorIdiEEZNS1_14transform_implILb0ES3_S5_N6thrust23THRUST_200600_302600_NS6detail15normal_iteratorINS8_10device_ptrIdEEEENSA_INSB_IiEEEEZNS1_13binary_searchIS3_S5_SD_SD_SF_NS1_21upper_bound_search_opENS9_16wrapped_functionINS0_4lessIvEEbEEEE10hipError_tPvRmT1_T2_T3_mmT4_T5_P12ihipStream_tbEUlRKdE_EESM_SQ_SR_mSS_SV_bEUlT_E_NS1_11comp_targetILNS1_3genE0ELNS1_11target_archE4294967295ELNS1_3gpuE0ELNS1_3repE0EEENS1_30default_config_static_selectorELNS0_4arch9wavefront6targetE1EEEvSP_,"axG",@progbits,_ZN7rocprim17ROCPRIM_400000_NS6detail17trampoline_kernelINS0_14default_configENS1_27upper_bound_config_selectorIdiEEZNS1_14transform_implILb0ES3_S5_N6thrust23THRUST_200600_302600_NS6detail15normal_iteratorINS8_10device_ptrIdEEEENSA_INSB_IiEEEEZNS1_13binary_searchIS3_S5_SD_SD_SF_NS1_21upper_bound_search_opENS9_16wrapped_functionINS0_4lessIvEEbEEEE10hipError_tPvRmT1_T2_T3_mmT4_T5_P12ihipStream_tbEUlRKdE_EESM_SQ_SR_mSS_SV_bEUlT_E_NS1_11comp_targetILNS1_3genE0ELNS1_11target_archE4294967295ELNS1_3gpuE0ELNS1_3repE0EEENS1_30default_config_static_selectorELNS0_4arch9wavefront6targetE1EEEvSP_,comdat
	.protected	_ZN7rocprim17ROCPRIM_400000_NS6detail17trampoline_kernelINS0_14default_configENS1_27upper_bound_config_selectorIdiEEZNS1_14transform_implILb0ES3_S5_N6thrust23THRUST_200600_302600_NS6detail15normal_iteratorINS8_10device_ptrIdEEEENSA_INSB_IiEEEEZNS1_13binary_searchIS3_S5_SD_SD_SF_NS1_21upper_bound_search_opENS9_16wrapped_functionINS0_4lessIvEEbEEEE10hipError_tPvRmT1_T2_T3_mmT4_T5_P12ihipStream_tbEUlRKdE_EESM_SQ_SR_mSS_SV_bEUlT_E_NS1_11comp_targetILNS1_3genE0ELNS1_11target_archE4294967295ELNS1_3gpuE0ELNS1_3repE0EEENS1_30default_config_static_selectorELNS0_4arch9wavefront6targetE1EEEvSP_ ; -- Begin function _ZN7rocprim17ROCPRIM_400000_NS6detail17trampoline_kernelINS0_14default_configENS1_27upper_bound_config_selectorIdiEEZNS1_14transform_implILb0ES3_S5_N6thrust23THRUST_200600_302600_NS6detail15normal_iteratorINS8_10device_ptrIdEEEENSA_INSB_IiEEEEZNS1_13binary_searchIS3_S5_SD_SD_SF_NS1_21upper_bound_search_opENS9_16wrapped_functionINS0_4lessIvEEbEEEE10hipError_tPvRmT1_T2_T3_mmT4_T5_P12ihipStream_tbEUlRKdE_EESM_SQ_SR_mSS_SV_bEUlT_E_NS1_11comp_targetILNS1_3genE0ELNS1_11target_archE4294967295ELNS1_3gpuE0ELNS1_3repE0EEENS1_30default_config_static_selectorELNS0_4arch9wavefront6targetE1EEEvSP_
	.globl	_ZN7rocprim17ROCPRIM_400000_NS6detail17trampoline_kernelINS0_14default_configENS1_27upper_bound_config_selectorIdiEEZNS1_14transform_implILb0ES3_S5_N6thrust23THRUST_200600_302600_NS6detail15normal_iteratorINS8_10device_ptrIdEEEENSA_INSB_IiEEEEZNS1_13binary_searchIS3_S5_SD_SD_SF_NS1_21upper_bound_search_opENS9_16wrapped_functionINS0_4lessIvEEbEEEE10hipError_tPvRmT1_T2_T3_mmT4_T5_P12ihipStream_tbEUlRKdE_EESM_SQ_SR_mSS_SV_bEUlT_E_NS1_11comp_targetILNS1_3genE0ELNS1_11target_archE4294967295ELNS1_3gpuE0ELNS1_3repE0EEENS1_30default_config_static_selectorELNS0_4arch9wavefront6targetE1EEEvSP_
	.p2align	8
	.type	_ZN7rocprim17ROCPRIM_400000_NS6detail17trampoline_kernelINS0_14default_configENS1_27upper_bound_config_selectorIdiEEZNS1_14transform_implILb0ES3_S5_N6thrust23THRUST_200600_302600_NS6detail15normal_iteratorINS8_10device_ptrIdEEEENSA_INSB_IiEEEEZNS1_13binary_searchIS3_S5_SD_SD_SF_NS1_21upper_bound_search_opENS9_16wrapped_functionINS0_4lessIvEEbEEEE10hipError_tPvRmT1_T2_T3_mmT4_T5_P12ihipStream_tbEUlRKdE_EESM_SQ_SR_mSS_SV_bEUlT_E_NS1_11comp_targetILNS1_3genE0ELNS1_11target_archE4294967295ELNS1_3gpuE0ELNS1_3repE0EEENS1_30default_config_static_selectorELNS0_4arch9wavefront6targetE1EEEvSP_,@function
_ZN7rocprim17ROCPRIM_400000_NS6detail17trampoline_kernelINS0_14default_configENS1_27upper_bound_config_selectorIdiEEZNS1_14transform_implILb0ES3_S5_N6thrust23THRUST_200600_302600_NS6detail15normal_iteratorINS8_10device_ptrIdEEEENSA_INSB_IiEEEEZNS1_13binary_searchIS3_S5_SD_SD_SF_NS1_21upper_bound_search_opENS9_16wrapped_functionINS0_4lessIvEEbEEEE10hipError_tPvRmT1_T2_T3_mmT4_T5_P12ihipStream_tbEUlRKdE_EESM_SQ_SR_mSS_SV_bEUlT_E_NS1_11comp_targetILNS1_3genE0ELNS1_11target_archE4294967295ELNS1_3gpuE0ELNS1_3repE0EEENS1_30default_config_static_selectorELNS0_4arch9wavefront6targetE1EEEvSP_: ; @_ZN7rocprim17ROCPRIM_400000_NS6detail17trampoline_kernelINS0_14default_configENS1_27upper_bound_config_selectorIdiEEZNS1_14transform_implILb0ES3_S5_N6thrust23THRUST_200600_302600_NS6detail15normal_iteratorINS8_10device_ptrIdEEEENSA_INSB_IiEEEEZNS1_13binary_searchIS3_S5_SD_SD_SF_NS1_21upper_bound_search_opENS9_16wrapped_functionINS0_4lessIvEEbEEEE10hipError_tPvRmT1_T2_T3_mmT4_T5_P12ihipStream_tbEUlRKdE_EESM_SQ_SR_mSS_SV_bEUlT_E_NS1_11comp_targetILNS1_3genE0ELNS1_11target_archE4294967295ELNS1_3gpuE0ELNS1_3repE0EEENS1_30default_config_static_selectorELNS0_4arch9wavefront6targetE1EEEvSP_
; %bb.0:
	.section	.rodata,"a",@progbits
	.p2align	6, 0x0
	.amdhsa_kernel _ZN7rocprim17ROCPRIM_400000_NS6detail17trampoline_kernelINS0_14default_configENS1_27upper_bound_config_selectorIdiEEZNS1_14transform_implILb0ES3_S5_N6thrust23THRUST_200600_302600_NS6detail15normal_iteratorINS8_10device_ptrIdEEEENSA_INSB_IiEEEEZNS1_13binary_searchIS3_S5_SD_SD_SF_NS1_21upper_bound_search_opENS9_16wrapped_functionINS0_4lessIvEEbEEEE10hipError_tPvRmT1_T2_T3_mmT4_T5_P12ihipStream_tbEUlRKdE_EESM_SQ_SR_mSS_SV_bEUlT_E_NS1_11comp_targetILNS1_3genE0ELNS1_11target_archE4294967295ELNS1_3gpuE0ELNS1_3repE0EEENS1_30default_config_static_selectorELNS0_4arch9wavefront6targetE1EEEvSP_
		.amdhsa_group_segment_fixed_size 0
		.amdhsa_private_segment_fixed_size 0
		.amdhsa_kernarg_size 56
		.amdhsa_user_sgpr_count 6
		.amdhsa_user_sgpr_private_segment_buffer 1
		.amdhsa_user_sgpr_dispatch_ptr 0
		.amdhsa_user_sgpr_queue_ptr 0
		.amdhsa_user_sgpr_kernarg_segment_ptr 1
		.amdhsa_user_sgpr_dispatch_id 0
		.amdhsa_user_sgpr_flat_scratch_init 0
		.amdhsa_user_sgpr_kernarg_preload_length 0
		.amdhsa_user_sgpr_kernarg_preload_offset 0
		.amdhsa_user_sgpr_private_segment_size 0
		.amdhsa_uses_dynamic_stack 0
		.amdhsa_system_sgpr_private_segment_wavefront_offset 0
		.amdhsa_system_sgpr_workgroup_id_x 1
		.amdhsa_system_sgpr_workgroup_id_y 0
		.amdhsa_system_sgpr_workgroup_id_z 0
		.amdhsa_system_sgpr_workgroup_info 0
		.amdhsa_system_vgpr_workitem_id 0
		.amdhsa_next_free_vgpr 1
		.amdhsa_next_free_sgpr 0
		.amdhsa_accum_offset 4
		.amdhsa_reserve_vcc 0
		.amdhsa_reserve_flat_scratch 0
		.amdhsa_float_round_mode_32 0
		.amdhsa_float_round_mode_16_64 0
		.amdhsa_float_denorm_mode_32 3
		.amdhsa_float_denorm_mode_16_64 3
		.amdhsa_dx10_clamp 1
		.amdhsa_ieee_mode 1
		.amdhsa_fp16_overflow 0
		.amdhsa_tg_split 0
		.amdhsa_exception_fp_ieee_invalid_op 0
		.amdhsa_exception_fp_denorm_src 0
		.amdhsa_exception_fp_ieee_div_zero 0
		.amdhsa_exception_fp_ieee_overflow 0
		.amdhsa_exception_fp_ieee_underflow 0
		.amdhsa_exception_fp_ieee_inexact 0
		.amdhsa_exception_int_div_zero 0
	.end_amdhsa_kernel
	.section	.text._ZN7rocprim17ROCPRIM_400000_NS6detail17trampoline_kernelINS0_14default_configENS1_27upper_bound_config_selectorIdiEEZNS1_14transform_implILb0ES3_S5_N6thrust23THRUST_200600_302600_NS6detail15normal_iteratorINS8_10device_ptrIdEEEENSA_INSB_IiEEEEZNS1_13binary_searchIS3_S5_SD_SD_SF_NS1_21upper_bound_search_opENS9_16wrapped_functionINS0_4lessIvEEbEEEE10hipError_tPvRmT1_T2_T3_mmT4_T5_P12ihipStream_tbEUlRKdE_EESM_SQ_SR_mSS_SV_bEUlT_E_NS1_11comp_targetILNS1_3genE0ELNS1_11target_archE4294967295ELNS1_3gpuE0ELNS1_3repE0EEENS1_30default_config_static_selectorELNS0_4arch9wavefront6targetE1EEEvSP_,"axG",@progbits,_ZN7rocprim17ROCPRIM_400000_NS6detail17trampoline_kernelINS0_14default_configENS1_27upper_bound_config_selectorIdiEEZNS1_14transform_implILb0ES3_S5_N6thrust23THRUST_200600_302600_NS6detail15normal_iteratorINS8_10device_ptrIdEEEENSA_INSB_IiEEEEZNS1_13binary_searchIS3_S5_SD_SD_SF_NS1_21upper_bound_search_opENS9_16wrapped_functionINS0_4lessIvEEbEEEE10hipError_tPvRmT1_T2_T3_mmT4_T5_P12ihipStream_tbEUlRKdE_EESM_SQ_SR_mSS_SV_bEUlT_E_NS1_11comp_targetILNS1_3genE0ELNS1_11target_archE4294967295ELNS1_3gpuE0ELNS1_3repE0EEENS1_30default_config_static_selectorELNS0_4arch9wavefront6targetE1EEEvSP_,comdat
.Lfunc_end330:
	.size	_ZN7rocprim17ROCPRIM_400000_NS6detail17trampoline_kernelINS0_14default_configENS1_27upper_bound_config_selectorIdiEEZNS1_14transform_implILb0ES3_S5_N6thrust23THRUST_200600_302600_NS6detail15normal_iteratorINS8_10device_ptrIdEEEENSA_INSB_IiEEEEZNS1_13binary_searchIS3_S5_SD_SD_SF_NS1_21upper_bound_search_opENS9_16wrapped_functionINS0_4lessIvEEbEEEE10hipError_tPvRmT1_T2_T3_mmT4_T5_P12ihipStream_tbEUlRKdE_EESM_SQ_SR_mSS_SV_bEUlT_E_NS1_11comp_targetILNS1_3genE0ELNS1_11target_archE4294967295ELNS1_3gpuE0ELNS1_3repE0EEENS1_30default_config_static_selectorELNS0_4arch9wavefront6targetE1EEEvSP_, .Lfunc_end330-_ZN7rocprim17ROCPRIM_400000_NS6detail17trampoline_kernelINS0_14default_configENS1_27upper_bound_config_selectorIdiEEZNS1_14transform_implILb0ES3_S5_N6thrust23THRUST_200600_302600_NS6detail15normal_iteratorINS8_10device_ptrIdEEEENSA_INSB_IiEEEEZNS1_13binary_searchIS3_S5_SD_SD_SF_NS1_21upper_bound_search_opENS9_16wrapped_functionINS0_4lessIvEEbEEEE10hipError_tPvRmT1_T2_T3_mmT4_T5_P12ihipStream_tbEUlRKdE_EESM_SQ_SR_mSS_SV_bEUlT_E_NS1_11comp_targetILNS1_3genE0ELNS1_11target_archE4294967295ELNS1_3gpuE0ELNS1_3repE0EEENS1_30default_config_static_selectorELNS0_4arch9wavefront6targetE1EEEvSP_
                                        ; -- End function
	.section	.AMDGPU.csdata,"",@progbits
; Kernel info:
; codeLenInByte = 0
; NumSgprs: 4
; NumVgprs: 0
; NumAgprs: 0
; TotalNumVgprs: 0
; ScratchSize: 0
; MemoryBound: 0
; FloatMode: 240
; IeeeMode: 1
; LDSByteSize: 0 bytes/workgroup (compile time only)
; SGPRBlocks: 0
; VGPRBlocks: 0
; NumSGPRsForWavesPerEU: 4
; NumVGPRsForWavesPerEU: 1
; AccumOffset: 4
; Occupancy: 8
; WaveLimiterHint : 0
; COMPUTE_PGM_RSRC2:SCRATCH_EN: 0
; COMPUTE_PGM_RSRC2:USER_SGPR: 6
; COMPUTE_PGM_RSRC2:TRAP_HANDLER: 0
; COMPUTE_PGM_RSRC2:TGID_X_EN: 1
; COMPUTE_PGM_RSRC2:TGID_Y_EN: 0
; COMPUTE_PGM_RSRC2:TGID_Z_EN: 0
; COMPUTE_PGM_RSRC2:TIDIG_COMP_CNT: 0
; COMPUTE_PGM_RSRC3_GFX90A:ACCUM_OFFSET: 0
; COMPUTE_PGM_RSRC3_GFX90A:TG_SPLIT: 0
	.section	.text._ZN7rocprim17ROCPRIM_400000_NS6detail17trampoline_kernelINS0_14default_configENS1_27upper_bound_config_selectorIdiEEZNS1_14transform_implILb0ES3_S5_N6thrust23THRUST_200600_302600_NS6detail15normal_iteratorINS8_10device_ptrIdEEEENSA_INSB_IiEEEEZNS1_13binary_searchIS3_S5_SD_SD_SF_NS1_21upper_bound_search_opENS9_16wrapped_functionINS0_4lessIvEEbEEEE10hipError_tPvRmT1_T2_T3_mmT4_T5_P12ihipStream_tbEUlRKdE_EESM_SQ_SR_mSS_SV_bEUlT_E_NS1_11comp_targetILNS1_3genE5ELNS1_11target_archE942ELNS1_3gpuE9ELNS1_3repE0EEENS1_30default_config_static_selectorELNS0_4arch9wavefront6targetE1EEEvSP_,"axG",@progbits,_ZN7rocprim17ROCPRIM_400000_NS6detail17trampoline_kernelINS0_14default_configENS1_27upper_bound_config_selectorIdiEEZNS1_14transform_implILb0ES3_S5_N6thrust23THRUST_200600_302600_NS6detail15normal_iteratorINS8_10device_ptrIdEEEENSA_INSB_IiEEEEZNS1_13binary_searchIS3_S5_SD_SD_SF_NS1_21upper_bound_search_opENS9_16wrapped_functionINS0_4lessIvEEbEEEE10hipError_tPvRmT1_T2_T3_mmT4_T5_P12ihipStream_tbEUlRKdE_EESM_SQ_SR_mSS_SV_bEUlT_E_NS1_11comp_targetILNS1_3genE5ELNS1_11target_archE942ELNS1_3gpuE9ELNS1_3repE0EEENS1_30default_config_static_selectorELNS0_4arch9wavefront6targetE1EEEvSP_,comdat
	.protected	_ZN7rocprim17ROCPRIM_400000_NS6detail17trampoline_kernelINS0_14default_configENS1_27upper_bound_config_selectorIdiEEZNS1_14transform_implILb0ES3_S5_N6thrust23THRUST_200600_302600_NS6detail15normal_iteratorINS8_10device_ptrIdEEEENSA_INSB_IiEEEEZNS1_13binary_searchIS3_S5_SD_SD_SF_NS1_21upper_bound_search_opENS9_16wrapped_functionINS0_4lessIvEEbEEEE10hipError_tPvRmT1_T2_T3_mmT4_T5_P12ihipStream_tbEUlRKdE_EESM_SQ_SR_mSS_SV_bEUlT_E_NS1_11comp_targetILNS1_3genE5ELNS1_11target_archE942ELNS1_3gpuE9ELNS1_3repE0EEENS1_30default_config_static_selectorELNS0_4arch9wavefront6targetE1EEEvSP_ ; -- Begin function _ZN7rocprim17ROCPRIM_400000_NS6detail17trampoline_kernelINS0_14default_configENS1_27upper_bound_config_selectorIdiEEZNS1_14transform_implILb0ES3_S5_N6thrust23THRUST_200600_302600_NS6detail15normal_iteratorINS8_10device_ptrIdEEEENSA_INSB_IiEEEEZNS1_13binary_searchIS3_S5_SD_SD_SF_NS1_21upper_bound_search_opENS9_16wrapped_functionINS0_4lessIvEEbEEEE10hipError_tPvRmT1_T2_T3_mmT4_T5_P12ihipStream_tbEUlRKdE_EESM_SQ_SR_mSS_SV_bEUlT_E_NS1_11comp_targetILNS1_3genE5ELNS1_11target_archE942ELNS1_3gpuE9ELNS1_3repE0EEENS1_30default_config_static_selectorELNS0_4arch9wavefront6targetE1EEEvSP_
	.globl	_ZN7rocprim17ROCPRIM_400000_NS6detail17trampoline_kernelINS0_14default_configENS1_27upper_bound_config_selectorIdiEEZNS1_14transform_implILb0ES3_S5_N6thrust23THRUST_200600_302600_NS6detail15normal_iteratorINS8_10device_ptrIdEEEENSA_INSB_IiEEEEZNS1_13binary_searchIS3_S5_SD_SD_SF_NS1_21upper_bound_search_opENS9_16wrapped_functionINS0_4lessIvEEbEEEE10hipError_tPvRmT1_T2_T3_mmT4_T5_P12ihipStream_tbEUlRKdE_EESM_SQ_SR_mSS_SV_bEUlT_E_NS1_11comp_targetILNS1_3genE5ELNS1_11target_archE942ELNS1_3gpuE9ELNS1_3repE0EEENS1_30default_config_static_selectorELNS0_4arch9wavefront6targetE1EEEvSP_
	.p2align	8
	.type	_ZN7rocprim17ROCPRIM_400000_NS6detail17trampoline_kernelINS0_14default_configENS1_27upper_bound_config_selectorIdiEEZNS1_14transform_implILb0ES3_S5_N6thrust23THRUST_200600_302600_NS6detail15normal_iteratorINS8_10device_ptrIdEEEENSA_INSB_IiEEEEZNS1_13binary_searchIS3_S5_SD_SD_SF_NS1_21upper_bound_search_opENS9_16wrapped_functionINS0_4lessIvEEbEEEE10hipError_tPvRmT1_T2_T3_mmT4_T5_P12ihipStream_tbEUlRKdE_EESM_SQ_SR_mSS_SV_bEUlT_E_NS1_11comp_targetILNS1_3genE5ELNS1_11target_archE942ELNS1_3gpuE9ELNS1_3repE0EEENS1_30default_config_static_selectorELNS0_4arch9wavefront6targetE1EEEvSP_,@function
_ZN7rocprim17ROCPRIM_400000_NS6detail17trampoline_kernelINS0_14default_configENS1_27upper_bound_config_selectorIdiEEZNS1_14transform_implILb0ES3_S5_N6thrust23THRUST_200600_302600_NS6detail15normal_iteratorINS8_10device_ptrIdEEEENSA_INSB_IiEEEEZNS1_13binary_searchIS3_S5_SD_SD_SF_NS1_21upper_bound_search_opENS9_16wrapped_functionINS0_4lessIvEEbEEEE10hipError_tPvRmT1_T2_T3_mmT4_T5_P12ihipStream_tbEUlRKdE_EESM_SQ_SR_mSS_SV_bEUlT_E_NS1_11comp_targetILNS1_3genE5ELNS1_11target_archE942ELNS1_3gpuE9ELNS1_3repE0EEENS1_30default_config_static_selectorELNS0_4arch9wavefront6targetE1EEEvSP_: ; @_ZN7rocprim17ROCPRIM_400000_NS6detail17trampoline_kernelINS0_14default_configENS1_27upper_bound_config_selectorIdiEEZNS1_14transform_implILb0ES3_S5_N6thrust23THRUST_200600_302600_NS6detail15normal_iteratorINS8_10device_ptrIdEEEENSA_INSB_IiEEEEZNS1_13binary_searchIS3_S5_SD_SD_SF_NS1_21upper_bound_search_opENS9_16wrapped_functionINS0_4lessIvEEbEEEE10hipError_tPvRmT1_T2_T3_mmT4_T5_P12ihipStream_tbEUlRKdE_EESM_SQ_SR_mSS_SV_bEUlT_E_NS1_11comp_targetILNS1_3genE5ELNS1_11target_archE942ELNS1_3gpuE9ELNS1_3repE0EEENS1_30default_config_static_selectorELNS0_4arch9wavefront6targetE1EEEvSP_
; %bb.0:
	.section	.rodata,"a",@progbits
	.p2align	6, 0x0
	.amdhsa_kernel _ZN7rocprim17ROCPRIM_400000_NS6detail17trampoline_kernelINS0_14default_configENS1_27upper_bound_config_selectorIdiEEZNS1_14transform_implILb0ES3_S5_N6thrust23THRUST_200600_302600_NS6detail15normal_iteratorINS8_10device_ptrIdEEEENSA_INSB_IiEEEEZNS1_13binary_searchIS3_S5_SD_SD_SF_NS1_21upper_bound_search_opENS9_16wrapped_functionINS0_4lessIvEEbEEEE10hipError_tPvRmT1_T2_T3_mmT4_T5_P12ihipStream_tbEUlRKdE_EESM_SQ_SR_mSS_SV_bEUlT_E_NS1_11comp_targetILNS1_3genE5ELNS1_11target_archE942ELNS1_3gpuE9ELNS1_3repE0EEENS1_30default_config_static_selectorELNS0_4arch9wavefront6targetE1EEEvSP_
		.amdhsa_group_segment_fixed_size 0
		.amdhsa_private_segment_fixed_size 0
		.amdhsa_kernarg_size 56
		.amdhsa_user_sgpr_count 6
		.amdhsa_user_sgpr_private_segment_buffer 1
		.amdhsa_user_sgpr_dispatch_ptr 0
		.amdhsa_user_sgpr_queue_ptr 0
		.amdhsa_user_sgpr_kernarg_segment_ptr 1
		.amdhsa_user_sgpr_dispatch_id 0
		.amdhsa_user_sgpr_flat_scratch_init 0
		.amdhsa_user_sgpr_kernarg_preload_length 0
		.amdhsa_user_sgpr_kernarg_preload_offset 0
		.amdhsa_user_sgpr_private_segment_size 0
		.amdhsa_uses_dynamic_stack 0
		.amdhsa_system_sgpr_private_segment_wavefront_offset 0
		.amdhsa_system_sgpr_workgroup_id_x 1
		.amdhsa_system_sgpr_workgroup_id_y 0
		.amdhsa_system_sgpr_workgroup_id_z 0
		.amdhsa_system_sgpr_workgroup_info 0
		.amdhsa_system_vgpr_workitem_id 0
		.amdhsa_next_free_vgpr 1
		.amdhsa_next_free_sgpr 0
		.amdhsa_accum_offset 4
		.amdhsa_reserve_vcc 0
		.amdhsa_reserve_flat_scratch 0
		.amdhsa_float_round_mode_32 0
		.amdhsa_float_round_mode_16_64 0
		.amdhsa_float_denorm_mode_32 3
		.amdhsa_float_denorm_mode_16_64 3
		.amdhsa_dx10_clamp 1
		.amdhsa_ieee_mode 1
		.amdhsa_fp16_overflow 0
		.amdhsa_tg_split 0
		.amdhsa_exception_fp_ieee_invalid_op 0
		.amdhsa_exception_fp_denorm_src 0
		.amdhsa_exception_fp_ieee_div_zero 0
		.amdhsa_exception_fp_ieee_overflow 0
		.amdhsa_exception_fp_ieee_underflow 0
		.amdhsa_exception_fp_ieee_inexact 0
		.amdhsa_exception_int_div_zero 0
	.end_amdhsa_kernel
	.section	.text._ZN7rocprim17ROCPRIM_400000_NS6detail17trampoline_kernelINS0_14default_configENS1_27upper_bound_config_selectorIdiEEZNS1_14transform_implILb0ES3_S5_N6thrust23THRUST_200600_302600_NS6detail15normal_iteratorINS8_10device_ptrIdEEEENSA_INSB_IiEEEEZNS1_13binary_searchIS3_S5_SD_SD_SF_NS1_21upper_bound_search_opENS9_16wrapped_functionINS0_4lessIvEEbEEEE10hipError_tPvRmT1_T2_T3_mmT4_T5_P12ihipStream_tbEUlRKdE_EESM_SQ_SR_mSS_SV_bEUlT_E_NS1_11comp_targetILNS1_3genE5ELNS1_11target_archE942ELNS1_3gpuE9ELNS1_3repE0EEENS1_30default_config_static_selectorELNS0_4arch9wavefront6targetE1EEEvSP_,"axG",@progbits,_ZN7rocprim17ROCPRIM_400000_NS6detail17trampoline_kernelINS0_14default_configENS1_27upper_bound_config_selectorIdiEEZNS1_14transform_implILb0ES3_S5_N6thrust23THRUST_200600_302600_NS6detail15normal_iteratorINS8_10device_ptrIdEEEENSA_INSB_IiEEEEZNS1_13binary_searchIS3_S5_SD_SD_SF_NS1_21upper_bound_search_opENS9_16wrapped_functionINS0_4lessIvEEbEEEE10hipError_tPvRmT1_T2_T3_mmT4_T5_P12ihipStream_tbEUlRKdE_EESM_SQ_SR_mSS_SV_bEUlT_E_NS1_11comp_targetILNS1_3genE5ELNS1_11target_archE942ELNS1_3gpuE9ELNS1_3repE0EEENS1_30default_config_static_selectorELNS0_4arch9wavefront6targetE1EEEvSP_,comdat
.Lfunc_end331:
	.size	_ZN7rocprim17ROCPRIM_400000_NS6detail17trampoline_kernelINS0_14default_configENS1_27upper_bound_config_selectorIdiEEZNS1_14transform_implILb0ES3_S5_N6thrust23THRUST_200600_302600_NS6detail15normal_iteratorINS8_10device_ptrIdEEEENSA_INSB_IiEEEEZNS1_13binary_searchIS3_S5_SD_SD_SF_NS1_21upper_bound_search_opENS9_16wrapped_functionINS0_4lessIvEEbEEEE10hipError_tPvRmT1_T2_T3_mmT4_T5_P12ihipStream_tbEUlRKdE_EESM_SQ_SR_mSS_SV_bEUlT_E_NS1_11comp_targetILNS1_3genE5ELNS1_11target_archE942ELNS1_3gpuE9ELNS1_3repE0EEENS1_30default_config_static_selectorELNS0_4arch9wavefront6targetE1EEEvSP_, .Lfunc_end331-_ZN7rocprim17ROCPRIM_400000_NS6detail17trampoline_kernelINS0_14default_configENS1_27upper_bound_config_selectorIdiEEZNS1_14transform_implILb0ES3_S5_N6thrust23THRUST_200600_302600_NS6detail15normal_iteratorINS8_10device_ptrIdEEEENSA_INSB_IiEEEEZNS1_13binary_searchIS3_S5_SD_SD_SF_NS1_21upper_bound_search_opENS9_16wrapped_functionINS0_4lessIvEEbEEEE10hipError_tPvRmT1_T2_T3_mmT4_T5_P12ihipStream_tbEUlRKdE_EESM_SQ_SR_mSS_SV_bEUlT_E_NS1_11comp_targetILNS1_3genE5ELNS1_11target_archE942ELNS1_3gpuE9ELNS1_3repE0EEENS1_30default_config_static_selectorELNS0_4arch9wavefront6targetE1EEEvSP_
                                        ; -- End function
	.section	.AMDGPU.csdata,"",@progbits
; Kernel info:
; codeLenInByte = 0
; NumSgprs: 4
; NumVgprs: 0
; NumAgprs: 0
; TotalNumVgprs: 0
; ScratchSize: 0
; MemoryBound: 0
; FloatMode: 240
; IeeeMode: 1
; LDSByteSize: 0 bytes/workgroup (compile time only)
; SGPRBlocks: 0
; VGPRBlocks: 0
; NumSGPRsForWavesPerEU: 4
; NumVGPRsForWavesPerEU: 1
; AccumOffset: 4
; Occupancy: 8
; WaveLimiterHint : 0
; COMPUTE_PGM_RSRC2:SCRATCH_EN: 0
; COMPUTE_PGM_RSRC2:USER_SGPR: 6
; COMPUTE_PGM_RSRC2:TRAP_HANDLER: 0
; COMPUTE_PGM_RSRC2:TGID_X_EN: 1
; COMPUTE_PGM_RSRC2:TGID_Y_EN: 0
; COMPUTE_PGM_RSRC2:TGID_Z_EN: 0
; COMPUTE_PGM_RSRC2:TIDIG_COMP_CNT: 0
; COMPUTE_PGM_RSRC3_GFX90A:ACCUM_OFFSET: 0
; COMPUTE_PGM_RSRC3_GFX90A:TG_SPLIT: 0
	.section	.text._ZN7rocprim17ROCPRIM_400000_NS6detail17trampoline_kernelINS0_14default_configENS1_27upper_bound_config_selectorIdiEEZNS1_14transform_implILb0ES3_S5_N6thrust23THRUST_200600_302600_NS6detail15normal_iteratorINS8_10device_ptrIdEEEENSA_INSB_IiEEEEZNS1_13binary_searchIS3_S5_SD_SD_SF_NS1_21upper_bound_search_opENS9_16wrapped_functionINS0_4lessIvEEbEEEE10hipError_tPvRmT1_T2_T3_mmT4_T5_P12ihipStream_tbEUlRKdE_EESM_SQ_SR_mSS_SV_bEUlT_E_NS1_11comp_targetILNS1_3genE4ELNS1_11target_archE910ELNS1_3gpuE8ELNS1_3repE0EEENS1_30default_config_static_selectorELNS0_4arch9wavefront6targetE1EEEvSP_,"axG",@progbits,_ZN7rocprim17ROCPRIM_400000_NS6detail17trampoline_kernelINS0_14default_configENS1_27upper_bound_config_selectorIdiEEZNS1_14transform_implILb0ES3_S5_N6thrust23THRUST_200600_302600_NS6detail15normal_iteratorINS8_10device_ptrIdEEEENSA_INSB_IiEEEEZNS1_13binary_searchIS3_S5_SD_SD_SF_NS1_21upper_bound_search_opENS9_16wrapped_functionINS0_4lessIvEEbEEEE10hipError_tPvRmT1_T2_T3_mmT4_T5_P12ihipStream_tbEUlRKdE_EESM_SQ_SR_mSS_SV_bEUlT_E_NS1_11comp_targetILNS1_3genE4ELNS1_11target_archE910ELNS1_3gpuE8ELNS1_3repE0EEENS1_30default_config_static_selectorELNS0_4arch9wavefront6targetE1EEEvSP_,comdat
	.protected	_ZN7rocprim17ROCPRIM_400000_NS6detail17trampoline_kernelINS0_14default_configENS1_27upper_bound_config_selectorIdiEEZNS1_14transform_implILb0ES3_S5_N6thrust23THRUST_200600_302600_NS6detail15normal_iteratorINS8_10device_ptrIdEEEENSA_INSB_IiEEEEZNS1_13binary_searchIS3_S5_SD_SD_SF_NS1_21upper_bound_search_opENS9_16wrapped_functionINS0_4lessIvEEbEEEE10hipError_tPvRmT1_T2_T3_mmT4_T5_P12ihipStream_tbEUlRKdE_EESM_SQ_SR_mSS_SV_bEUlT_E_NS1_11comp_targetILNS1_3genE4ELNS1_11target_archE910ELNS1_3gpuE8ELNS1_3repE0EEENS1_30default_config_static_selectorELNS0_4arch9wavefront6targetE1EEEvSP_ ; -- Begin function _ZN7rocprim17ROCPRIM_400000_NS6detail17trampoline_kernelINS0_14default_configENS1_27upper_bound_config_selectorIdiEEZNS1_14transform_implILb0ES3_S5_N6thrust23THRUST_200600_302600_NS6detail15normal_iteratorINS8_10device_ptrIdEEEENSA_INSB_IiEEEEZNS1_13binary_searchIS3_S5_SD_SD_SF_NS1_21upper_bound_search_opENS9_16wrapped_functionINS0_4lessIvEEbEEEE10hipError_tPvRmT1_T2_T3_mmT4_T5_P12ihipStream_tbEUlRKdE_EESM_SQ_SR_mSS_SV_bEUlT_E_NS1_11comp_targetILNS1_3genE4ELNS1_11target_archE910ELNS1_3gpuE8ELNS1_3repE0EEENS1_30default_config_static_selectorELNS0_4arch9wavefront6targetE1EEEvSP_
	.globl	_ZN7rocprim17ROCPRIM_400000_NS6detail17trampoline_kernelINS0_14default_configENS1_27upper_bound_config_selectorIdiEEZNS1_14transform_implILb0ES3_S5_N6thrust23THRUST_200600_302600_NS6detail15normal_iteratorINS8_10device_ptrIdEEEENSA_INSB_IiEEEEZNS1_13binary_searchIS3_S5_SD_SD_SF_NS1_21upper_bound_search_opENS9_16wrapped_functionINS0_4lessIvEEbEEEE10hipError_tPvRmT1_T2_T3_mmT4_T5_P12ihipStream_tbEUlRKdE_EESM_SQ_SR_mSS_SV_bEUlT_E_NS1_11comp_targetILNS1_3genE4ELNS1_11target_archE910ELNS1_3gpuE8ELNS1_3repE0EEENS1_30default_config_static_selectorELNS0_4arch9wavefront6targetE1EEEvSP_
	.p2align	8
	.type	_ZN7rocprim17ROCPRIM_400000_NS6detail17trampoline_kernelINS0_14default_configENS1_27upper_bound_config_selectorIdiEEZNS1_14transform_implILb0ES3_S5_N6thrust23THRUST_200600_302600_NS6detail15normal_iteratorINS8_10device_ptrIdEEEENSA_INSB_IiEEEEZNS1_13binary_searchIS3_S5_SD_SD_SF_NS1_21upper_bound_search_opENS9_16wrapped_functionINS0_4lessIvEEbEEEE10hipError_tPvRmT1_T2_T3_mmT4_T5_P12ihipStream_tbEUlRKdE_EESM_SQ_SR_mSS_SV_bEUlT_E_NS1_11comp_targetILNS1_3genE4ELNS1_11target_archE910ELNS1_3gpuE8ELNS1_3repE0EEENS1_30default_config_static_selectorELNS0_4arch9wavefront6targetE1EEEvSP_,@function
_ZN7rocprim17ROCPRIM_400000_NS6detail17trampoline_kernelINS0_14default_configENS1_27upper_bound_config_selectorIdiEEZNS1_14transform_implILb0ES3_S5_N6thrust23THRUST_200600_302600_NS6detail15normal_iteratorINS8_10device_ptrIdEEEENSA_INSB_IiEEEEZNS1_13binary_searchIS3_S5_SD_SD_SF_NS1_21upper_bound_search_opENS9_16wrapped_functionINS0_4lessIvEEbEEEE10hipError_tPvRmT1_T2_T3_mmT4_T5_P12ihipStream_tbEUlRKdE_EESM_SQ_SR_mSS_SV_bEUlT_E_NS1_11comp_targetILNS1_3genE4ELNS1_11target_archE910ELNS1_3gpuE8ELNS1_3repE0EEENS1_30default_config_static_selectorELNS0_4arch9wavefront6targetE1EEEvSP_: ; @_ZN7rocprim17ROCPRIM_400000_NS6detail17trampoline_kernelINS0_14default_configENS1_27upper_bound_config_selectorIdiEEZNS1_14transform_implILb0ES3_S5_N6thrust23THRUST_200600_302600_NS6detail15normal_iteratorINS8_10device_ptrIdEEEENSA_INSB_IiEEEEZNS1_13binary_searchIS3_S5_SD_SD_SF_NS1_21upper_bound_search_opENS9_16wrapped_functionINS0_4lessIvEEbEEEE10hipError_tPvRmT1_T2_T3_mmT4_T5_P12ihipStream_tbEUlRKdE_EESM_SQ_SR_mSS_SV_bEUlT_E_NS1_11comp_targetILNS1_3genE4ELNS1_11target_archE910ELNS1_3gpuE8ELNS1_3repE0EEENS1_30default_config_static_selectorELNS0_4arch9wavefront6targetE1EEEvSP_
; %bb.0:
	s_load_dwordx4 s[16:19], s[4:5], 0x0
	s_load_dwordx4 s[0:3], s[4:5], 0x18
	s_load_dwordx2 s[10:11], s[4:5], 0x28
	s_load_dword s15, s[4:5], 0x38
	s_waitcnt lgkmcnt(0)
	s_lshl_b64 s[8:9], s[18:19], 3
	s_add_u32 s7, s16, s8
	s_addc_u32 s14, s17, s9
	s_lshl_b64 s[8:9], s[18:19], 2
	s_add_u32 s12, s0, s8
	s_addc_u32 s13, s1, s9
	s_lshl_b32 s8, s6, 6
	s_add_i32 s15, s15, -1
	s_mov_b32 s9, 0
	s_cmp_lg_u32 s6, s15
	s_mov_b64 s[0:1], -1
	s_cbranch_scc0 .LBB332_6
; %bb.1:
	v_mov_b32_e32 v2, 0
	s_cmp_eq_u64 s[10:11], 0
	s_mov_b64 s[0:1], 0
	s_cbranch_scc1 .LBB332_5
; %bb.2:
	s_lshl_b64 s[16:17], s[8:9], 3
	s_add_u32 s6, s7, s16
	s_addc_u32 s15, s14, s17
	v_lshlrev_b32_e32 v1, 3, v0
	v_mov_b32_e32 v3, s15
	v_add_co_u32_e32 v2, vcc, s6, v1
	v_addc_co_u32_e32 v3, vcc, 0, v3, vcc
	flat_load_dwordx2 v[4:5], v[2:3]
	v_pk_mov_b32 v[2:3], 0, 0
	v_pk_mov_b32 v[6:7], s[10:11], s[10:11] op_sel:[0,1]
	v_mov_b32_e32 v1, s3
.LBB332_3:                              ; =>This Inner Loop Header: Depth=1
	v_sub_co_u32_e32 v8, vcc, v6, v2
	v_subb_co_u32_e32 v9, vcc, v7, v3, vcc
	v_lshrrev_b64 v[10:11], 1, v[8:9]
	v_add_co_u32_e32 v10, vcc, v10, v2
	v_lshrrev_b64 v[8:9], 6, v[8:9]
	v_addc_co_u32_e32 v11, vcc, v11, v3, vcc
	v_add_co_u32_e32 v8, vcc, v10, v8
	v_addc_co_u32_e32 v9, vcc, v11, v9, vcc
	v_lshlrev_b64 v[10:11], 3, v[8:9]
	v_add_co_u32_e32 v10, vcc, s2, v10
	v_addc_co_u32_e32 v11, vcc, v1, v11, vcc
	global_load_dwordx2 v[10:11], v[10:11], off
	v_add_co_u32_e32 v12, vcc, 1, v8
	v_addc_co_u32_e32 v13, vcc, 0, v9, vcc
	s_waitcnt vmcnt(0) lgkmcnt(0)
	v_cmp_gt_f64_e32 vcc, v[10:11], v[4:5]
	v_cndmask_b32_e32 v7, v7, v9, vcc
	v_cndmask_b32_e32 v6, v6, v8, vcc
	;; [unrolled: 1-line block ×4, first 2 shown]
	v_cmp_ge_u64_e32 vcc, v[2:3], v[6:7]
	s_or_b64 s[0:1], vcc, s[0:1]
	s_andn2_b64 exec, exec, s[0:1]
	s_cbranch_execnz .LBB332_3
; %bb.4:
	s_or_b64 exec, exec, s[0:1]
.LBB332_5:
	s_lshl_b64 s[0:1], s[8:9], 2
	s_add_u32 s0, s12, s0
	s_addc_u32 s1, s13, s1
	v_lshlrev_b32_e32 v1, 2, v0
	v_mov_b32_e32 v3, s1
	v_add_co_u32_e32 v4, vcc, s0, v1
	v_addc_co_u32_e32 v5, vcc, 0, v3, vcc
	s_mov_b64 s[0:1], 0
	flat_store_dword v[4:5], v2
.LBB332_6:
	s_and_b64 vcc, exec, s[0:1]
	s_cbranch_vccz .LBB332_11
; %bb.7:
	s_load_dword s0, s[4:5], 0x10
                                        ; implicit-def: $vgpr4_vgpr5
	s_waitcnt lgkmcnt(0)
	s_sub_i32 s0, s0, s8
	v_cmp_gt_u32_e32 vcc, s0, v0
	s_and_saveexec_b64 s[4:5], vcc
	s_cbranch_execnz .LBB332_12
; %bb.8:
	s_or_b64 exec, exec, s[4:5]
                                        ; implicit-def: $vgpr2
	s_and_saveexec_b64 s[4:5], vcc
	s_cbranch_execnz .LBB332_13
.LBB332_9:
	s_or_b64 exec, exec, s[4:5]
	s_and_saveexec_b64 s[0:1], vcc
	s_cbranch_execz .LBB332_11
.LBB332_10:
	s_lshl_b64 s[0:1], s[8:9], 2
	s_add_u32 s0, s12, s0
	s_addc_u32 s1, s13, s1
	v_lshlrev_b32_e32 v0, 2, v0
	v_mov_b32_e32 v1, s1
	v_add_co_u32_e32 v0, vcc, s0, v0
	v_addc_co_u32_e32 v1, vcc, 0, v1, vcc
	flat_store_dword v[0:1], v2
.LBB332_11:
	s_endpgm
.LBB332_12:
	s_lshl_b64 s[0:1], s[8:9], 3
	s_add_u32 s0, s7, s0
	s_addc_u32 s1, s14, s1
	v_lshlrev_b32_e32 v1, 3, v0
	v_mov_b32_e32 v3, s1
	v_add_co_u32_e64 v2, s[0:1], s0, v1
	v_addc_co_u32_e64 v3, s[0:1], 0, v3, s[0:1]
	flat_load_dwordx2 v[4:5], v[2:3]
	s_or_b64 exec, exec, s[4:5]
                                        ; implicit-def: $vgpr2
	s_and_saveexec_b64 s[4:5], vcc
	s_cbranch_execz .LBB332_9
.LBB332_13:
	s_cmp_eq_u64 s[10:11], 0
	s_mov_b64 s[6:7], 0
	s_cbranch_scc1 .LBB332_17
; %bb.14:
	v_pk_mov_b32 v[2:3], 0, 0
	v_pk_mov_b32 v[6:7], s[10:11], s[10:11] op_sel:[0,1]
	v_mov_b32_e32 v1, s3
.LBB332_15:                             ; =>This Inner Loop Header: Depth=1
	v_sub_co_u32_e64 v8, s[0:1], v6, v2
	v_subb_co_u32_e64 v9, s[0:1], v7, v3, s[0:1]
	v_lshrrev_b64 v[10:11], 1, v[8:9]
	v_add_co_u32_e64 v10, s[0:1], v10, v2
	v_lshrrev_b64 v[8:9], 6, v[8:9]
	v_addc_co_u32_e64 v11, s[0:1], v11, v3, s[0:1]
	v_add_co_u32_e64 v8, s[0:1], v10, v8
	v_addc_co_u32_e64 v9, s[0:1], v11, v9, s[0:1]
	v_lshlrev_b64 v[10:11], 3, v[8:9]
	v_add_co_u32_e64 v10, s[0:1], s2, v10
	v_addc_co_u32_e64 v11, s[0:1], v1, v11, s[0:1]
	global_load_dwordx2 v[10:11], v[10:11], off
	v_add_co_u32_e64 v12, s[0:1], 1, v8
	v_addc_co_u32_e64 v13, s[0:1], 0, v9, s[0:1]
	s_waitcnt vmcnt(0) lgkmcnt(0)
	v_cmp_gt_f64_e64 s[0:1], v[10:11], v[4:5]
	v_cndmask_b32_e64 v7, v7, v9, s[0:1]
	v_cndmask_b32_e64 v6, v6, v8, s[0:1]
	;; [unrolled: 1-line block ×4, first 2 shown]
	v_cmp_ge_u64_e64 s[0:1], v[2:3], v[6:7]
	s_or_b64 s[6:7], s[0:1], s[6:7]
	s_andn2_b64 exec, exec, s[6:7]
	s_cbranch_execnz .LBB332_15
; %bb.16:
	s_or_b64 exec, exec, s[6:7]
	s_or_b64 exec, exec, s[4:5]
	s_and_saveexec_b64 s[0:1], vcc
	s_cbranch_execnz .LBB332_10
	s_branch .LBB332_11
.LBB332_17:
	v_mov_b32_e32 v2, 0
	s_or_b64 exec, exec, s[4:5]
	s_and_saveexec_b64 s[0:1], vcc
	s_cbranch_execnz .LBB332_10
	s_branch .LBB332_11
	.section	.rodata,"a",@progbits
	.p2align	6, 0x0
	.amdhsa_kernel _ZN7rocprim17ROCPRIM_400000_NS6detail17trampoline_kernelINS0_14default_configENS1_27upper_bound_config_selectorIdiEEZNS1_14transform_implILb0ES3_S5_N6thrust23THRUST_200600_302600_NS6detail15normal_iteratorINS8_10device_ptrIdEEEENSA_INSB_IiEEEEZNS1_13binary_searchIS3_S5_SD_SD_SF_NS1_21upper_bound_search_opENS9_16wrapped_functionINS0_4lessIvEEbEEEE10hipError_tPvRmT1_T2_T3_mmT4_T5_P12ihipStream_tbEUlRKdE_EESM_SQ_SR_mSS_SV_bEUlT_E_NS1_11comp_targetILNS1_3genE4ELNS1_11target_archE910ELNS1_3gpuE8ELNS1_3repE0EEENS1_30default_config_static_selectorELNS0_4arch9wavefront6targetE1EEEvSP_
		.amdhsa_group_segment_fixed_size 0
		.amdhsa_private_segment_fixed_size 0
		.amdhsa_kernarg_size 312
		.amdhsa_user_sgpr_count 6
		.amdhsa_user_sgpr_private_segment_buffer 1
		.amdhsa_user_sgpr_dispatch_ptr 0
		.amdhsa_user_sgpr_queue_ptr 0
		.amdhsa_user_sgpr_kernarg_segment_ptr 1
		.amdhsa_user_sgpr_dispatch_id 0
		.amdhsa_user_sgpr_flat_scratch_init 0
		.amdhsa_user_sgpr_kernarg_preload_length 0
		.amdhsa_user_sgpr_kernarg_preload_offset 0
		.amdhsa_user_sgpr_private_segment_size 0
		.amdhsa_uses_dynamic_stack 0
		.amdhsa_system_sgpr_private_segment_wavefront_offset 0
		.amdhsa_system_sgpr_workgroup_id_x 1
		.amdhsa_system_sgpr_workgroup_id_y 0
		.amdhsa_system_sgpr_workgroup_id_z 0
		.amdhsa_system_sgpr_workgroup_info 0
		.amdhsa_system_vgpr_workitem_id 0
		.amdhsa_next_free_vgpr 14
		.amdhsa_next_free_sgpr 20
		.amdhsa_accum_offset 16
		.amdhsa_reserve_vcc 1
		.amdhsa_reserve_flat_scratch 0
		.amdhsa_float_round_mode_32 0
		.amdhsa_float_round_mode_16_64 0
		.amdhsa_float_denorm_mode_32 3
		.amdhsa_float_denorm_mode_16_64 3
		.amdhsa_dx10_clamp 1
		.amdhsa_ieee_mode 1
		.amdhsa_fp16_overflow 0
		.amdhsa_tg_split 0
		.amdhsa_exception_fp_ieee_invalid_op 0
		.amdhsa_exception_fp_denorm_src 0
		.amdhsa_exception_fp_ieee_div_zero 0
		.amdhsa_exception_fp_ieee_overflow 0
		.amdhsa_exception_fp_ieee_underflow 0
		.amdhsa_exception_fp_ieee_inexact 0
		.amdhsa_exception_int_div_zero 0
	.end_amdhsa_kernel
	.section	.text._ZN7rocprim17ROCPRIM_400000_NS6detail17trampoline_kernelINS0_14default_configENS1_27upper_bound_config_selectorIdiEEZNS1_14transform_implILb0ES3_S5_N6thrust23THRUST_200600_302600_NS6detail15normal_iteratorINS8_10device_ptrIdEEEENSA_INSB_IiEEEEZNS1_13binary_searchIS3_S5_SD_SD_SF_NS1_21upper_bound_search_opENS9_16wrapped_functionINS0_4lessIvEEbEEEE10hipError_tPvRmT1_T2_T3_mmT4_T5_P12ihipStream_tbEUlRKdE_EESM_SQ_SR_mSS_SV_bEUlT_E_NS1_11comp_targetILNS1_3genE4ELNS1_11target_archE910ELNS1_3gpuE8ELNS1_3repE0EEENS1_30default_config_static_selectorELNS0_4arch9wavefront6targetE1EEEvSP_,"axG",@progbits,_ZN7rocprim17ROCPRIM_400000_NS6detail17trampoline_kernelINS0_14default_configENS1_27upper_bound_config_selectorIdiEEZNS1_14transform_implILb0ES3_S5_N6thrust23THRUST_200600_302600_NS6detail15normal_iteratorINS8_10device_ptrIdEEEENSA_INSB_IiEEEEZNS1_13binary_searchIS3_S5_SD_SD_SF_NS1_21upper_bound_search_opENS9_16wrapped_functionINS0_4lessIvEEbEEEE10hipError_tPvRmT1_T2_T3_mmT4_T5_P12ihipStream_tbEUlRKdE_EESM_SQ_SR_mSS_SV_bEUlT_E_NS1_11comp_targetILNS1_3genE4ELNS1_11target_archE910ELNS1_3gpuE8ELNS1_3repE0EEENS1_30default_config_static_selectorELNS0_4arch9wavefront6targetE1EEEvSP_,comdat
.Lfunc_end332:
	.size	_ZN7rocprim17ROCPRIM_400000_NS6detail17trampoline_kernelINS0_14default_configENS1_27upper_bound_config_selectorIdiEEZNS1_14transform_implILb0ES3_S5_N6thrust23THRUST_200600_302600_NS6detail15normal_iteratorINS8_10device_ptrIdEEEENSA_INSB_IiEEEEZNS1_13binary_searchIS3_S5_SD_SD_SF_NS1_21upper_bound_search_opENS9_16wrapped_functionINS0_4lessIvEEbEEEE10hipError_tPvRmT1_T2_T3_mmT4_T5_P12ihipStream_tbEUlRKdE_EESM_SQ_SR_mSS_SV_bEUlT_E_NS1_11comp_targetILNS1_3genE4ELNS1_11target_archE910ELNS1_3gpuE8ELNS1_3repE0EEENS1_30default_config_static_selectorELNS0_4arch9wavefront6targetE1EEEvSP_, .Lfunc_end332-_ZN7rocprim17ROCPRIM_400000_NS6detail17trampoline_kernelINS0_14default_configENS1_27upper_bound_config_selectorIdiEEZNS1_14transform_implILb0ES3_S5_N6thrust23THRUST_200600_302600_NS6detail15normal_iteratorINS8_10device_ptrIdEEEENSA_INSB_IiEEEEZNS1_13binary_searchIS3_S5_SD_SD_SF_NS1_21upper_bound_search_opENS9_16wrapped_functionINS0_4lessIvEEbEEEE10hipError_tPvRmT1_T2_T3_mmT4_T5_P12ihipStream_tbEUlRKdE_EESM_SQ_SR_mSS_SV_bEUlT_E_NS1_11comp_targetILNS1_3genE4ELNS1_11target_archE910ELNS1_3gpuE8ELNS1_3repE0EEENS1_30default_config_static_selectorELNS0_4arch9wavefront6targetE1EEEvSP_
                                        ; -- End function
	.section	.AMDGPU.csdata,"",@progbits
; Kernel info:
; codeLenInByte = 716
; NumSgprs: 24
; NumVgprs: 14
; NumAgprs: 0
; TotalNumVgprs: 14
; ScratchSize: 0
; MemoryBound: 0
; FloatMode: 240
; IeeeMode: 1
; LDSByteSize: 0 bytes/workgroup (compile time only)
; SGPRBlocks: 2
; VGPRBlocks: 1
; NumSGPRsForWavesPerEU: 24
; NumVGPRsForWavesPerEU: 14
; AccumOffset: 16
; Occupancy: 8
; WaveLimiterHint : 0
; COMPUTE_PGM_RSRC2:SCRATCH_EN: 0
; COMPUTE_PGM_RSRC2:USER_SGPR: 6
; COMPUTE_PGM_RSRC2:TRAP_HANDLER: 0
; COMPUTE_PGM_RSRC2:TGID_X_EN: 1
; COMPUTE_PGM_RSRC2:TGID_Y_EN: 0
; COMPUTE_PGM_RSRC2:TGID_Z_EN: 0
; COMPUTE_PGM_RSRC2:TIDIG_COMP_CNT: 0
; COMPUTE_PGM_RSRC3_GFX90A:ACCUM_OFFSET: 3
; COMPUTE_PGM_RSRC3_GFX90A:TG_SPLIT: 0
	.section	.text._ZN7rocprim17ROCPRIM_400000_NS6detail17trampoline_kernelINS0_14default_configENS1_27upper_bound_config_selectorIdiEEZNS1_14transform_implILb0ES3_S5_N6thrust23THRUST_200600_302600_NS6detail15normal_iteratorINS8_10device_ptrIdEEEENSA_INSB_IiEEEEZNS1_13binary_searchIS3_S5_SD_SD_SF_NS1_21upper_bound_search_opENS9_16wrapped_functionINS0_4lessIvEEbEEEE10hipError_tPvRmT1_T2_T3_mmT4_T5_P12ihipStream_tbEUlRKdE_EESM_SQ_SR_mSS_SV_bEUlT_E_NS1_11comp_targetILNS1_3genE3ELNS1_11target_archE908ELNS1_3gpuE7ELNS1_3repE0EEENS1_30default_config_static_selectorELNS0_4arch9wavefront6targetE1EEEvSP_,"axG",@progbits,_ZN7rocprim17ROCPRIM_400000_NS6detail17trampoline_kernelINS0_14default_configENS1_27upper_bound_config_selectorIdiEEZNS1_14transform_implILb0ES3_S5_N6thrust23THRUST_200600_302600_NS6detail15normal_iteratorINS8_10device_ptrIdEEEENSA_INSB_IiEEEEZNS1_13binary_searchIS3_S5_SD_SD_SF_NS1_21upper_bound_search_opENS9_16wrapped_functionINS0_4lessIvEEbEEEE10hipError_tPvRmT1_T2_T3_mmT4_T5_P12ihipStream_tbEUlRKdE_EESM_SQ_SR_mSS_SV_bEUlT_E_NS1_11comp_targetILNS1_3genE3ELNS1_11target_archE908ELNS1_3gpuE7ELNS1_3repE0EEENS1_30default_config_static_selectorELNS0_4arch9wavefront6targetE1EEEvSP_,comdat
	.protected	_ZN7rocprim17ROCPRIM_400000_NS6detail17trampoline_kernelINS0_14default_configENS1_27upper_bound_config_selectorIdiEEZNS1_14transform_implILb0ES3_S5_N6thrust23THRUST_200600_302600_NS6detail15normal_iteratorINS8_10device_ptrIdEEEENSA_INSB_IiEEEEZNS1_13binary_searchIS3_S5_SD_SD_SF_NS1_21upper_bound_search_opENS9_16wrapped_functionINS0_4lessIvEEbEEEE10hipError_tPvRmT1_T2_T3_mmT4_T5_P12ihipStream_tbEUlRKdE_EESM_SQ_SR_mSS_SV_bEUlT_E_NS1_11comp_targetILNS1_3genE3ELNS1_11target_archE908ELNS1_3gpuE7ELNS1_3repE0EEENS1_30default_config_static_selectorELNS0_4arch9wavefront6targetE1EEEvSP_ ; -- Begin function _ZN7rocprim17ROCPRIM_400000_NS6detail17trampoline_kernelINS0_14default_configENS1_27upper_bound_config_selectorIdiEEZNS1_14transform_implILb0ES3_S5_N6thrust23THRUST_200600_302600_NS6detail15normal_iteratorINS8_10device_ptrIdEEEENSA_INSB_IiEEEEZNS1_13binary_searchIS3_S5_SD_SD_SF_NS1_21upper_bound_search_opENS9_16wrapped_functionINS0_4lessIvEEbEEEE10hipError_tPvRmT1_T2_T3_mmT4_T5_P12ihipStream_tbEUlRKdE_EESM_SQ_SR_mSS_SV_bEUlT_E_NS1_11comp_targetILNS1_3genE3ELNS1_11target_archE908ELNS1_3gpuE7ELNS1_3repE0EEENS1_30default_config_static_selectorELNS0_4arch9wavefront6targetE1EEEvSP_
	.globl	_ZN7rocprim17ROCPRIM_400000_NS6detail17trampoline_kernelINS0_14default_configENS1_27upper_bound_config_selectorIdiEEZNS1_14transform_implILb0ES3_S5_N6thrust23THRUST_200600_302600_NS6detail15normal_iteratorINS8_10device_ptrIdEEEENSA_INSB_IiEEEEZNS1_13binary_searchIS3_S5_SD_SD_SF_NS1_21upper_bound_search_opENS9_16wrapped_functionINS0_4lessIvEEbEEEE10hipError_tPvRmT1_T2_T3_mmT4_T5_P12ihipStream_tbEUlRKdE_EESM_SQ_SR_mSS_SV_bEUlT_E_NS1_11comp_targetILNS1_3genE3ELNS1_11target_archE908ELNS1_3gpuE7ELNS1_3repE0EEENS1_30default_config_static_selectorELNS0_4arch9wavefront6targetE1EEEvSP_
	.p2align	8
	.type	_ZN7rocprim17ROCPRIM_400000_NS6detail17trampoline_kernelINS0_14default_configENS1_27upper_bound_config_selectorIdiEEZNS1_14transform_implILb0ES3_S5_N6thrust23THRUST_200600_302600_NS6detail15normal_iteratorINS8_10device_ptrIdEEEENSA_INSB_IiEEEEZNS1_13binary_searchIS3_S5_SD_SD_SF_NS1_21upper_bound_search_opENS9_16wrapped_functionINS0_4lessIvEEbEEEE10hipError_tPvRmT1_T2_T3_mmT4_T5_P12ihipStream_tbEUlRKdE_EESM_SQ_SR_mSS_SV_bEUlT_E_NS1_11comp_targetILNS1_3genE3ELNS1_11target_archE908ELNS1_3gpuE7ELNS1_3repE0EEENS1_30default_config_static_selectorELNS0_4arch9wavefront6targetE1EEEvSP_,@function
_ZN7rocprim17ROCPRIM_400000_NS6detail17trampoline_kernelINS0_14default_configENS1_27upper_bound_config_selectorIdiEEZNS1_14transform_implILb0ES3_S5_N6thrust23THRUST_200600_302600_NS6detail15normal_iteratorINS8_10device_ptrIdEEEENSA_INSB_IiEEEEZNS1_13binary_searchIS3_S5_SD_SD_SF_NS1_21upper_bound_search_opENS9_16wrapped_functionINS0_4lessIvEEbEEEE10hipError_tPvRmT1_T2_T3_mmT4_T5_P12ihipStream_tbEUlRKdE_EESM_SQ_SR_mSS_SV_bEUlT_E_NS1_11comp_targetILNS1_3genE3ELNS1_11target_archE908ELNS1_3gpuE7ELNS1_3repE0EEENS1_30default_config_static_selectorELNS0_4arch9wavefront6targetE1EEEvSP_: ; @_ZN7rocprim17ROCPRIM_400000_NS6detail17trampoline_kernelINS0_14default_configENS1_27upper_bound_config_selectorIdiEEZNS1_14transform_implILb0ES3_S5_N6thrust23THRUST_200600_302600_NS6detail15normal_iteratorINS8_10device_ptrIdEEEENSA_INSB_IiEEEEZNS1_13binary_searchIS3_S5_SD_SD_SF_NS1_21upper_bound_search_opENS9_16wrapped_functionINS0_4lessIvEEbEEEE10hipError_tPvRmT1_T2_T3_mmT4_T5_P12ihipStream_tbEUlRKdE_EESM_SQ_SR_mSS_SV_bEUlT_E_NS1_11comp_targetILNS1_3genE3ELNS1_11target_archE908ELNS1_3gpuE7ELNS1_3repE0EEENS1_30default_config_static_selectorELNS0_4arch9wavefront6targetE1EEEvSP_
; %bb.0:
	.section	.rodata,"a",@progbits
	.p2align	6, 0x0
	.amdhsa_kernel _ZN7rocprim17ROCPRIM_400000_NS6detail17trampoline_kernelINS0_14default_configENS1_27upper_bound_config_selectorIdiEEZNS1_14transform_implILb0ES3_S5_N6thrust23THRUST_200600_302600_NS6detail15normal_iteratorINS8_10device_ptrIdEEEENSA_INSB_IiEEEEZNS1_13binary_searchIS3_S5_SD_SD_SF_NS1_21upper_bound_search_opENS9_16wrapped_functionINS0_4lessIvEEbEEEE10hipError_tPvRmT1_T2_T3_mmT4_T5_P12ihipStream_tbEUlRKdE_EESM_SQ_SR_mSS_SV_bEUlT_E_NS1_11comp_targetILNS1_3genE3ELNS1_11target_archE908ELNS1_3gpuE7ELNS1_3repE0EEENS1_30default_config_static_selectorELNS0_4arch9wavefront6targetE1EEEvSP_
		.amdhsa_group_segment_fixed_size 0
		.amdhsa_private_segment_fixed_size 0
		.amdhsa_kernarg_size 56
		.amdhsa_user_sgpr_count 6
		.amdhsa_user_sgpr_private_segment_buffer 1
		.amdhsa_user_sgpr_dispatch_ptr 0
		.amdhsa_user_sgpr_queue_ptr 0
		.amdhsa_user_sgpr_kernarg_segment_ptr 1
		.amdhsa_user_sgpr_dispatch_id 0
		.amdhsa_user_sgpr_flat_scratch_init 0
		.amdhsa_user_sgpr_kernarg_preload_length 0
		.amdhsa_user_sgpr_kernarg_preload_offset 0
		.amdhsa_user_sgpr_private_segment_size 0
		.amdhsa_uses_dynamic_stack 0
		.amdhsa_system_sgpr_private_segment_wavefront_offset 0
		.amdhsa_system_sgpr_workgroup_id_x 1
		.amdhsa_system_sgpr_workgroup_id_y 0
		.amdhsa_system_sgpr_workgroup_id_z 0
		.amdhsa_system_sgpr_workgroup_info 0
		.amdhsa_system_vgpr_workitem_id 0
		.amdhsa_next_free_vgpr 1
		.amdhsa_next_free_sgpr 0
		.amdhsa_accum_offset 4
		.amdhsa_reserve_vcc 0
		.amdhsa_reserve_flat_scratch 0
		.amdhsa_float_round_mode_32 0
		.amdhsa_float_round_mode_16_64 0
		.amdhsa_float_denorm_mode_32 3
		.amdhsa_float_denorm_mode_16_64 3
		.amdhsa_dx10_clamp 1
		.amdhsa_ieee_mode 1
		.amdhsa_fp16_overflow 0
		.amdhsa_tg_split 0
		.amdhsa_exception_fp_ieee_invalid_op 0
		.amdhsa_exception_fp_denorm_src 0
		.amdhsa_exception_fp_ieee_div_zero 0
		.amdhsa_exception_fp_ieee_overflow 0
		.amdhsa_exception_fp_ieee_underflow 0
		.amdhsa_exception_fp_ieee_inexact 0
		.amdhsa_exception_int_div_zero 0
	.end_amdhsa_kernel
	.section	.text._ZN7rocprim17ROCPRIM_400000_NS6detail17trampoline_kernelINS0_14default_configENS1_27upper_bound_config_selectorIdiEEZNS1_14transform_implILb0ES3_S5_N6thrust23THRUST_200600_302600_NS6detail15normal_iteratorINS8_10device_ptrIdEEEENSA_INSB_IiEEEEZNS1_13binary_searchIS3_S5_SD_SD_SF_NS1_21upper_bound_search_opENS9_16wrapped_functionINS0_4lessIvEEbEEEE10hipError_tPvRmT1_T2_T3_mmT4_T5_P12ihipStream_tbEUlRKdE_EESM_SQ_SR_mSS_SV_bEUlT_E_NS1_11comp_targetILNS1_3genE3ELNS1_11target_archE908ELNS1_3gpuE7ELNS1_3repE0EEENS1_30default_config_static_selectorELNS0_4arch9wavefront6targetE1EEEvSP_,"axG",@progbits,_ZN7rocprim17ROCPRIM_400000_NS6detail17trampoline_kernelINS0_14default_configENS1_27upper_bound_config_selectorIdiEEZNS1_14transform_implILb0ES3_S5_N6thrust23THRUST_200600_302600_NS6detail15normal_iteratorINS8_10device_ptrIdEEEENSA_INSB_IiEEEEZNS1_13binary_searchIS3_S5_SD_SD_SF_NS1_21upper_bound_search_opENS9_16wrapped_functionINS0_4lessIvEEbEEEE10hipError_tPvRmT1_T2_T3_mmT4_T5_P12ihipStream_tbEUlRKdE_EESM_SQ_SR_mSS_SV_bEUlT_E_NS1_11comp_targetILNS1_3genE3ELNS1_11target_archE908ELNS1_3gpuE7ELNS1_3repE0EEENS1_30default_config_static_selectorELNS0_4arch9wavefront6targetE1EEEvSP_,comdat
.Lfunc_end333:
	.size	_ZN7rocprim17ROCPRIM_400000_NS6detail17trampoline_kernelINS0_14default_configENS1_27upper_bound_config_selectorIdiEEZNS1_14transform_implILb0ES3_S5_N6thrust23THRUST_200600_302600_NS6detail15normal_iteratorINS8_10device_ptrIdEEEENSA_INSB_IiEEEEZNS1_13binary_searchIS3_S5_SD_SD_SF_NS1_21upper_bound_search_opENS9_16wrapped_functionINS0_4lessIvEEbEEEE10hipError_tPvRmT1_T2_T3_mmT4_T5_P12ihipStream_tbEUlRKdE_EESM_SQ_SR_mSS_SV_bEUlT_E_NS1_11comp_targetILNS1_3genE3ELNS1_11target_archE908ELNS1_3gpuE7ELNS1_3repE0EEENS1_30default_config_static_selectorELNS0_4arch9wavefront6targetE1EEEvSP_, .Lfunc_end333-_ZN7rocprim17ROCPRIM_400000_NS6detail17trampoline_kernelINS0_14default_configENS1_27upper_bound_config_selectorIdiEEZNS1_14transform_implILb0ES3_S5_N6thrust23THRUST_200600_302600_NS6detail15normal_iteratorINS8_10device_ptrIdEEEENSA_INSB_IiEEEEZNS1_13binary_searchIS3_S5_SD_SD_SF_NS1_21upper_bound_search_opENS9_16wrapped_functionINS0_4lessIvEEbEEEE10hipError_tPvRmT1_T2_T3_mmT4_T5_P12ihipStream_tbEUlRKdE_EESM_SQ_SR_mSS_SV_bEUlT_E_NS1_11comp_targetILNS1_3genE3ELNS1_11target_archE908ELNS1_3gpuE7ELNS1_3repE0EEENS1_30default_config_static_selectorELNS0_4arch9wavefront6targetE1EEEvSP_
                                        ; -- End function
	.section	.AMDGPU.csdata,"",@progbits
; Kernel info:
; codeLenInByte = 0
; NumSgprs: 4
; NumVgprs: 0
; NumAgprs: 0
; TotalNumVgprs: 0
; ScratchSize: 0
; MemoryBound: 0
; FloatMode: 240
; IeeeMode: 1
; LDSByteSize: 0 bytes/workgroup (compile time only)
; SGPRBlocks: 0
; VGPRBlocks: 0
; NumSGPRsForWavesPerEU: 4
; NumVGPRsForWavesPerEU: 1
; AccumOffset: 4
; Occupancy: 8
; WaveLimiterHint : 0
; COMPUTE_PGM_RSRC2:SCRATCH_EN: 0
; COMPUTE_PGM_RSRC2:USER_SGPR: 6
; COMPUTE_PGM_RSRC2:TRAP_HANDLER: 0
; COMPUTE_PGM_RSRC2:TGID_X_EN: 1
; COMPUTE_PGM_RSRC2:TGID_Y_EN: 0
; COMPUTE_PGM_RSRC2:TGID_Z_EN: 0
; COMPUTE_PGM_RSRC2:TIDIG_COMP_CNT: 0
; COMPUTE_PGM_RSRC3_GFX90A:ACCUM_OFFSET: 0
; COMPUTE_PGM_RSRC3_GFX90A:TG_SPLIT: 0
	.section	.text._ZN7rocprim17ROCPRIM_400000_NS6detail17trampoline_kernelINS0_14default_configENS1_27upper_bound_config_selectorIdiEEZNS1_14transform_implILb0ES3_S5_N6thrust23THRUST_200600_302600_NS6detail15normal_iteratorINS8_10device_ptrIdEEEENSA_INSB_IiEEEEZNS1_13binary_searchIS3_S5_SD_SD_SF_NS1_21upper_bound_search_opENS9_16wrapped_functionINS0_4lessIvEEbEEEE10hipError_tPvRmT1_T2_T3_mmT4_T5_P12ihipStream_tbEUlRKdE_EESM_SQ_SR_mSS_SV_bEUlT_E_NS1_11comp_targetILNS1_3genE2ELNS1_11target_archE906ELNS1_3gpuE6ELNS1_3repE0EEENS1_30default_config_static_selectorELNS0_4arch9wavefront6targetE1EEEvSP_,"axG",@progbits,_ZN7rocprim17ROCPRIM_400000_NS6detail17trampoline_kernelINS0_14default_configENS1_27upper_bound_config_selectorIdiEEZNS1_14transform_implILb0ES3_S5_N6thrust23THRUST_200600_302600_NS6detail15normal_iteratorINS8_10device_ptrIdEEEENSA_INSB_IiEEEEZNS1_13binary_searchIS3_S5_SD_SD_SF_NS1_21upper_bound_search_opENS9_16wrapped_functionINS0_4lessIvEEbEEEE10hipError_tPvRmT1_T2_T3_mmT4_T5_P12ihipStream_tbEUlRKdE_EESM_SQ_SR_mSS_SV_bEUlT_E_NS1_11comp_targetILNS1_3genE2ELNS1_11target_archE906ELNS1_3gpuE6ELNS1_3repE0EEENS1_30default_config_static_selectorELNS0_4arch9wavefront6targetE1EEEvSP_,comdat
	.protected	_ZN7rocprim17ROCPRIM_400000_NS6detail17trampoline_kernelINS0_14default_configENS1_27upper_bound_config_selectorIdiEEZNS1_14transform_implILb0ES3_S5_N6thrust23THRUST_200600_302600_NS6detail15normal_iteratorINS8_10device_ptrIdEEEENSA_INSB_IiEEEEZNS1_13binary_searchIS3_S5_SD_SD_SF_NS1_21upper_bound_search_opENS9_16wrapped_functionINS0_4lessIvEEbEEEE10hipError_tPvRmT1_T2_T3_mmT4_T5_P12ihipStream_tbEUlRKdE_EESM_SQ_SR_mSS_SV_bEUlT_E_NS1_11comp_targetILNS1_3genE2ELNS1_11target_archE906ELNS1_3gpuE6ELNS1_3repE0EEENS1_30default_config_static_selectorELNS0_4arch9wavefront6targetE1EEEvSP_ ; -- Begin function _ZN7rocprim17ROCPRIM_400000_NS6detail17trampoline_kernelINS0_14default_configENS1_27upper_bound_config_selectorIdiEEZNS1_14transform_implILb0ES3_S5_N6thrust23THRUST_200600_302600_NS6detail15normal_iteratorINS8_10device_ptrIdEEEENSA_INSB_IiEEEEZNS1_13binary_searchIS3_S5_SD_SD_SF_NS1_21upper_bound_search_opENS9_16wrapped_functionINS0_4lessIvEEbEEEE10hipError_tPvRmT1_T2_T3_mmT4_T5_P12ihipStream_tbEUlRKdE_EESM_SQ_SR_mSS_SV_bEUlT_E_NS1_11comp_targetILNS1_3genE2ELNS1_11target_archE906ELNS1_3gpuE6ELNS1_3repE0EEENS1_30default_config_static_selectorELNS0_4arch9wavefront6targetE1EEEvSP_
	.globl	_ZN7rocprim17ROCPRIM_400000_NS6detail17trampoline_kernelINS0_14default_configENS1_27upper_bound_config_selectorIdiEEZNS1_14transform_implILb0ES3_S5_N6thrust23THRUST_200600_302600_NS6detail15normal_iteratorINS8_10device_ptrIdEEEENSA_INSB_IiEEEEZNS1_13binary_searchIS3_S5_SD_SD_SF_NS1_21upper_bound_search_opENS9_16wrapped_functionINS0_4lessIvEEbEEEE10hipError_tPvRmT1_T2_T3_mmT4_T5_P12ihipStream_tbEUlRKdE_EESM_SQ_SR_mSS_SV_bEUlT_E_NS1_11comp_targetILNS1_3genE2ELNS1_11target_archE906ELNS1_3gpuE6ELNS1_3repE0EEENS1_30default_config_static_selectorELNS0_4arch9wavefront6targetE1EEEvSP_
	.p2align	8
	.type	_ZN7rocprim17ROCPRIM_400000_NS6detail17trampoline_kernelINS0_14default_configENS1_27upper_bound_config_selectorIdiEEZNS1_14transform_implILb0ES3_S5_N6thrust23THRUST_200600_302600_NS6detail15normal_iteratorINS8_10device_ptrIdEEEENSA_INSB_IiEEEEZNS1_13binary_searchIS3_S5_SD_SD_SF_NS1_21upper_bound_search_opENS9_16wrapped_functionINS0_4lessIvEEbEEEE10hipError_tPvRmT1_T2_T3_mmT4_T5_P12ihipStream_tbEUlRKdE_EESM_SQ_SR_mSS_SV_bEUlT_E_NS1_11comp_targetILNS1_3genE2ELNS1_11target_archE906ELNS1_3gpuE6ELNS1_3repE0EEENS1_30default_config_static_selectorELNS0_4arch9wavefront6targetE1EEEvSP_,@function
_ZN7rocprim17ROCPRIM_400000_NS6detail17trampoline_kernelINS0_14default_configENS1_27upper_bound_config_selectorIdiEEZNS1_14transform_implILb0ES3_S5_N6thrust23THRUST_200600_302600_NS6detail15normal_iteratorINS8_10device_ptrIdEEEENSA_INSB_IiEEEEZNS1_13binary_searchIS3_S5_SD_SD_SF_NS1_21upper_bound_search_opENS9_16wrapped_functionINS0_4lessIvEEbEEEE10hipError_tPvRmT1_T2_T3_mmT4_T5_P12ihipStream_tbEUlRKdE_EESM_SQ_SR_mSS_SV_bEUlT_E_NS1_11comp_targetILNS1_3genE2ELNS1_11target_archE906ELNS1_3gpuE6ELNS1_3repE0EEENS1_30default_config_static_selectorELNS0_4arch9wavefront6targetE1EEEvSP_: ; @_ZN7rocprim17ROCPRIM_400000_NS6detail17trampoline_kernelINS0_14default_configENS1_27upper_bound_config_selectorIdiEEZNS1_14transform_implILb0ES3_S5_N6thrust23THRUST_200600_302600_NS6detail15normal_iteratorINS8_10device_ptrIdEEEENSA_INSB_IiEEEEZNS1_13binary_searchIS3_S5_SD_SD_SF_NS1_21upper_bound_search_opENS9_16wrapped_functionINS0_4lessIvEEbEEEE10hipError_tPvRmT1_T2_T3_mmT4_T5_P12ihipStream_tbEUlRKdE_EESM_SQ_SR_mSS_SV_bEUlT_E_NS1_11comp_targetILNS1_3genE2ELNS1_11target_archE906ELNS1_3gpuE6ELNS1_3repE0EEENS1_30default_config_static_selectorELNS0_4arch9wavefront6targetE1EEEvSP_
; %bb.0:
	.section	.rodata,"a",@progbits
	.p2align	6, 0x0
	.amdhsa_kernel _ZN7rocprim17ROCPRIM_400000_NS6detail17trampoline_kernelINS0_14default_configENS1_27upper_bound_config_selectorIdiEEZNS1_14transform_implILb0ES3_S5_N6thrust23THRUST_200600_302600_NS6detail15normal_iteratorINS8_10device_ptrIdEEEENSA_INSB_IiEEEEZNS1_13binary_searchIS3_S5_SD_SD_SF_NS1_21upper_bound_search_opENS9_16wrapped_functionINS0_4lessIvEEbEEEE10hipError_tPvRmT1_T2_T3_mmT4_T5_P12ihipStream_tbEUlRKdE_EESM_SQ_SR_mSS_SV_bEUlT_E_NS1_11comp_targetILNS1_3genE2ELNS1_11target_archE906ELNS1_3gpuE6ELNS1_3repE0EEENS1_30default_config_static_selectorELNS0_4arch9wavefront6targetE1EEEvSP_
		.amdhsa_group_segment_fixed_size 0
		.amdhsa_private_segment_fixed_size 0
		.amdhsa_kernarg_size 56
		.amdhsa_user_sgpr_count 6
		.amdhsa_user_sgpr_private_segment_buffer 1
		.amdhsa_user_sgpr_dispatch_ptr 0
		.amdhsa_user_sgpr_queue_ptr 0
		.amdhsa_user_sgpr_kernarg_segment_ptr 1
		.amdhsa_user_sgpr_dispatch_id 0
		.amdhsa_user_sgpr_flat_scratch_init 0
		.amdhsa_user_sgpr_kernarg_preload_length 0
		.amdhsa_user_sgpr_kernarg_preload_offset 0
		.amdhsa_user_sgpr_private_segment_size 0
		.amdhsa_uses_dynamic_stack 0
		.amdhsa_system_sgpr_private_segment_wavefront_offset 0
		.amdhsa_system_sgpr_workgroup_id_x 1
		.amdhsa_system_sgpr_workgroup_id_y 0
		.amdhsa_system_sgpr_workgroup_id_z 0
		.amdhsa_system_sgpr_workgroup_info 0
		.amdhsa_system_vgpr_workitem_id 0
		.amdhsa_next_free_vgpr 1
		.amdhsa_next_free_sgpr 0
		.amdhsa_accum_offset 4
		.amdhsa_reserve_vcc 0
		.amdhsa_reserve_flat_scratch 0
		.amdhsa_float_round_mode_32 0
		.amdhsa_float_round_mode_16_64 0
		.amdhsa_float_denorm_mode_32 3
		.amdhsa_float_denorm_mode_16_64 3
		.amdhsa_dx10_clamp 1
		.amdhsa_ieee_mode 1
		.amdhsa_fp16_overflow 0
		.amdhsa_tg_split 0
		.amdhsa_exception_fp_ieee_invalid_op 0
		.amdhsa_exception_fp_denorm_src 0
		.amdhsa_exception_fp_ieee_div_zero 0
		.amdhsa_exception_fp_ieee_overflow 0
		.amdhsa_exception_fp_ieee_underflow 0
		.amdhsa_exception_fp_ieee_inexact 0
		.amdhsa_exception_int_div_zero 0
	.end_amdhsa_kernel
	.section	.text._ZN7rocprim17ROCPRIM_400000_NS6detail17trampoline_kernelINS0_14default_configENS1_27upper_bound_config_selectorIdiEEZNS1_14transform_implILb0ES3_S5_N6thrust23THRUST_200600_302600_NS6detail15normal_iteratorINS8_10device_ptrIdEEEENSA_INSB_IiEEEEZNS1_13binary_searchIS3_S5_SD_SD_SF_NS1_21upper_bound_search_opENS9_16wrapped_functionINS0_4lessIvEEbEEEE10hipError_tPvRmT1_T2_T3_mmT4_T5_P12ihipStream_tbEUlRKdE_EESM_SQ_SR_mSS_SV_bEUlT_E_NS1_11comp_targetILNS1_3genE2ELNS1_11target_archE906ELNS1_3gpuE6ELNS1_3repE0EEENS1_30default_config_static_selectorELNS0_4arch9wavefront6targetE1EEEvSP_,"axG",@progbits,_ZN7rocprim17ROCPRIM_400000_NS6detail17trampoline_kernelINS0_14default_configENS1_27upper_bound_config_selectorIdiEEZNS1_14transform_implILb0ES3_S5_N6thrust23THRUST_200600_302600_NS6detail15normal_iteratorINS8_10device_ptrIdEEEENSA_INSB_IiEEEEZNS1_13binary_searchIS3_S5_SD_SD_SF_NS1_21upper_bound_search_opENS9_16wrapped_functionINS0_4lessIvEEbEEEE10hipError_tPvRmT1_T2_T3_mmT4_T5_P12ihipStream_tbEUlRKdE_EESM_SQ_SR_mSS_SV_bEUlT_E_NS1_11comp_targetILNS1_3genE2ELNS1_11target_archE906ELNS1_3gpuE6ELNS1_3repE0EEENS1_30default_config_static_selectorELNS0_4arch9wavefront6targetE1EEEvSP_,comdat
.Lfunc_end334:
	.size	_ZN7rocprim17ROCPRIM_400000_NS6detail17trampoline_kernelINS0_14default_configENS1_27upper_bound_config_selectorIdiEEZNS1_14transform_implILb0ES3_S5_N6thrust23THRUST_200600_302600_NS6detail15normal_iteratorINS8_10device_ptrIdEEEENSA_INSB_IiEEEEZNS1_13binary_searchIS3_S5_SD_SD_SF_NS1_21upper_bound_search_opENS9_16wrapped_functionINS0_4lessIvEEbEEEE10hipError_tPvRmT1_T2_T3_mmT4_T5_P12ihipStream_tbEUlRKdE_EESM_SQ_SR_mSS_SV_bEUlT_E_NS1_11comp_targetILNS1_3genE2ELNS1_11target_archE906ELNS1_3gpuE6ELNS1_3repE0EEENS1_30default_config_static_selectorELNS0_4arch9wavefront6targetE1EEEvSP_, .Lfunc_end334-_ZN7rocprim17ROCPRIM_400000_NS6detail17trampoline_kernelINS0_14default_configENS1_27upper_bound_config_selectorIdiEEZNS1_14transform_implILb0ES3_S5_N6thrust23THRUST_200600_302600_NS6detail15normal_iteratorINS8_10device_ptrIdEEEENSA_INSB_IiEEEEZNS1_13binary_searchIS3_S5_SD_SD_SF_NS1_21upper_bound_search_opENS9_16wrapped_functionINS0_4lessIvEEbEEEE10hipError_tPvRmT1_T2_T3_mmT4_T5_P12ihipStream_tbEUlRKdE_EESM_SQ_SR_mSS_SV_bEUlT_E_NS1_11comp_targetILNS1_3genE2ELNS1_11target_archE906ELNS1_3gpuE6ELNS1_3repE0EEENS1_30default_config_static_selectorELNS0_4arch9wavefront6targetE1EEEvSP_
                                        ; -- End function
	.section	.AMDGPU.csdata,"",@progbits
; Kernel info:
; codeLenInByte = 0
; NumSgprs: 4
; NumVgprs: 0
; NumAgprs: 0
; TotalNumVgprs: 0
; ScratchSize: 0
; MemoryBound: 0
; FloatMode: 240
; IeeeMode: 1
; LDSByteSize: 0 bytes/workgroup (compile time only)
; SGPRBlocks: 0
; VGPRBlocks: 0
; NumSGPRsForWavesPerEU: 4
; NumVGPRsForWavesPerEU: 1
; AccumOffset: 4
; Occupancy: 8
; WaveLimiterHint : 0
; COMPUTE_PGM_RSRC2:SCRATCH_EN: 0
; COMPUTE_PGM_RSRC2:USER_SGPR: 6
; COMPUTE_PGM_RSRC2:TRAP_HANDLER: 0
; COMPUTE_PGM_RSRC2:TGID_X_EN: 1
; COMPUTE_PGM_RSRC2:TGID_Y_EN: 0
; COMPUTE_PGM_RSRC2:TGID_Z_EN: 0
; COMPUTE_PGM_RSRC2:TIDIG_COMP_CNT: 0
; COMPUTE_PGM_RSRC3_GFX90A:ACCUM_OFFSET: 0
; COMPUTE_PGM_RSRC3_GFX90A:TG_SPLIT: 0
	.section	.text._ZN7rocprim17ROCPRIM_400000_NS6detail17trampoline_kernelINS0_14default_configENS1_27upper_bound_config_selectorIdiEEZNS1_14transform_implILb0ES3_S5_N6thrust23THRUST_200600_302600_NS6detail15normal_iteratorINS8_10device_ptrIdEEEENSA_INSB_IiEEEEZNS1_13binary_searchIS3_S5_SD_SD_SF_NS1_21upper_bound_search_opENS9_16wrapped_functionINS0_4lessIvEEbEEEE10hipError_tPvRmT1_T2_T3_mmT4_T5_P12ihipStream_tbEUlRKdE_EESM_SQ_SR_mSS_SV_bEUlT_E_NS1_11comp_targetILNS1_3genE10ELNS1_11target_archE1201ELNS1_3gpuE5ELNS1_3repE0EEENS1_30default_config_static_selectorELNS0_4arch9wavefront6targetE1EEEvSP_,"axG",@progbits,_ZN7rocprim17ROCPRIM_400000_NS6detail17trampoline_kernelINS0_14default_configENS1_27upper_bound_config_selectorIdiEEZNS1_14transform_implILb0ES3_S5_N6thrust23THRUST_200600_302600_NS6detail15normal_iteratorINS8_10device_ptrIdEEEENSA_INSB_IiEEEEZNS1_13binary_searchIS3_S5_SD_SD_SF_NS1_21upper_bound_search_opENS9_16wrapped_functionINS0_4lessIvEEbEEEE10hipError_tPvRmT1_T2_T3_mmT4_T5_P12ihipStream_tbEUlRKdE_EESM_SQ_SR_mSS_SV_bEUlT_E_NS1_11comp_targetILNS1_3genE10ELNS1_11target_archE1201ELNS1_3gpuE5ELNS1_3repE0EEENS1_30default_config_static_selectorELNS0_4arch9wavefront6targetE1EEEvSP_,comdat
	.protected	_ZN7rocprim17ROCPRIM_400000_NS6detail17trampoline_kernelINS0_14default_configENS1_27upper_bound_config_selectorIdiEEZNS1_14transform_implILb0ES3_S5_N6thrust23THRUST_200600_302600_NS6detail15normal_iteratorINS8_10device_ptrIdEEEENSA_INSB_IiEEEEZNS1_13binary_searchIS3_S5_SD_SD_SF_NS1_21upper_bound_search_opENS9_16wrapped_functionINS0_4lessIvEEbEEEE10hipError_tPvRmT1_T2_T3_mmT4_T5_P12ihipStream_tbEUlRKdE_EESM_SQ_SR_mSS_SV_bEUlT_E_NS1_11comp_targetILNS1_3genE10ELNS1_11target_archE1201ELNS1_3gpuE5ELNS1_3repE0EEENS1_30default_config_static_selectorELNS0_4arch9wavefront6targetE1EEEvSP_ ; -- Begin function _ZN7rocprim17ROCPRIM_400000_NS6detail17trampoline_kernelINS0_14default_configENS1_27upper_bound_config_selectorIdiEEZNS1_14transform_implILb0ES3_S5_N6thrust23THRUST_200600_302600_NS6detail15normal_iteratorINS8_10device_ptrIdEEEENSA_INSB_IiEEEEZNS1_13binary_searchIS3_S5_SD_SD_SF_NS1_21upper_bound_search_opENS9_16wrapped_functionINS0_4lessIvEEbEEEE10hipError_tPvRmT1_T2_T3_mmT4_T5_P12ihipStream_tbEUlRKdE_EESM_SQ_SR_mSS_SV_bEUlT_E_NS1_11comp_targetILNS1_3genE10ELNS1_11target_archE1201ELNS1_3gpuE5ELNS1_3repE0EEENS1_30default_config_static_selectorELNS0_4arch9wavefront6targetE1EEEvSP_
	.globl	_ZN7rocprim17ROCPRIM_400000_NS6detail17trampoline_kernelINS0_14default_configENS1_27upper_bound_config_selectorIdiEEZNS1_14transform_implILb0ES3_S5_N6thrust23THRUST_200600_302600_NS6detail15normal_iteratorINS8_10device_ptrIdEEEENSA_INSB_IiEEEEZNS1_13binary_searchIS3_S5_SD_SD_SF_NS1_21upper_bound_search_opENS9_16wrapped_functionINS0_4lessIvEEbEEEE10hipError_tPvRmT1_T2_T3_mmT4_T5_P12ihipStream_tbEUlRKdE_EESM_SQ_SR_mSS_SV_bEUlT_E_NS1_11comp_targetILNS1_3genE10ELNS1_11target_archE1201ELNS1_3gpuE5ELNS1_3repE0EEENS1_30default_config_static_selectorELNS0_4arch9wavefront6targetE1EEEvSP_
	.p2align	8
	.type	_ZN7rocprim17ROCPRIM_400000_NS6detail17trampoline_kernelINS0_14default_configENS1_27upper_bound_config_selectorIdiEEZNS1_14transform_implILb0ES3_S5_N6thrust23THRUST_200600_302600_NS6detail15normal_iteratorINS8_10device_ptrIdEEEENSA_INSB_IiEEEEZNS1_13binary_searchIS3_S5_SD_SD_SF_NS1_21upper_bound_search_opENS9_16wrapped_functionINS0_4lessIvEEbEEEE10hipError_tPvRmT1_T2_T3_mmT4_T5_P12ihipStream_tbEUlRKdE_EESM_SQ_SR_mSS_SV_bEUlT_E_NS1_11comp_targetILNS1_3genE10ELNS1_11target_archE1201ELNS1_3gpuE5ELNS1_3repE0EEENS1_30default_config_static_selectorELNS0_4arch9wavefront6targetE1EEEvSP_,@function
_ZN7rocprim17ROCPRIM_400000_NS6detail17trampoline_kernelINS0_14default_configENS1_27upper_bound_config_selectorIdiEEZNS1_14transform_implILb0ES3_S5_N6thrust23THRUST_200600_302600_NS6detail15normal_iteratorINS8_10device_ptrIdEEEENSA_INSB_IiEEEEZNS1_13binary_searchIS3_S5_SD_SD_SF_NS1_21upper_bound_search_opENS9_16wrapped_functionINS0_4lessIvEEbEEEE10hipError_tPvRmT1_T2_T3_mmT4_T5_P12ihipStream_tbEUlRKdE_EESM_SQ_SR_mSS_SV_bEUlT_E_NS1_11comp_targetILNS1_3genE10ELNS1_11target_archE1201ELNS1_3gpuE5ELNS1_3repE0EEENS1_30default_config_static_selectorELNS0_4arch9wavefront6targetE1EEEvSP_: ; @_ZN7rocprim17ROCPRIM_400000_NS6detail17trampoline_kernelINS0_14default_configENS1_27upper_bound_config_selectorIdiEEZNS1_14transform_implILb0ES3_S5_N6thrust23THRUST_200600_302600_NS6detail15normal_iteratorINS8_10device_ptrIdEEEENSA_INSB_IiEEEEZNS1_13binary_searchIS3_S5_SD_SD_SF_NS1_21upper_bound_search_opENS9_16wrapped_functionINS0_4lessIvEEbEEEE10hipError_tPvRmT1_T2_T3_mmT4_T5_P12ihipStream_tbEUlRKdE_EESM_SQ_SR_mSS_SV_bEUlT_E_NS1_11comp_targetILNS1_3genE10ELNS1_11target_archE1201ELNS1_3gpuE5ELNS1_3repE0EEENS1_30default_config_static_selectorELNS0_4arch9wavefront6targetE1EEEvSP_
; %bb.0:
	.section	.rodata,"a",@progbits
	.p2align	6, 0x0
	.amdhsa_kernel _ZN7rocprim17ROCPRIM_400000_NS6detail17trampoline_kernelINS0_14default_configENS1_27upper_bound_config_selectorIdiEEZNS1_14transform_implILb0ES3_S5_N6thrust23THRUST_200600_302600_NS6detail15normal_iteratorINS8_10device_ptrIdEEEENSA_INSB_IiEEEEZNS1_13binary_searchIS3_S5_SD_SD_SF_NS1_21upper_bound_search_opENS9_16wrapped_functionINS0_4lessIvEEbEEEE10hipError_tPvRmT1_T2_T3_mmT4_T5_P12ihipStream_tbEUlRKdE_EESM_SQ_SR_mSS_SV_bEUlT_E_NS1_11comp_targetILNS1_3genE10ELNS1_11target_archE1201ELNS1_3gpuE5ELNS1_3repE0EEENS1_30default_config_static_selectorELNS0_4arch9wavefront6targetE1EEEvSP_
		.amdhsa_group_segment_fixed_size 0
		.amdhsa_private_segment_fixed_size 0
		.amdhsa_kernarg_size 56
		.amdhsa_user_sgpr_count 6
		.amdhsa_user_sgpr_private_segment_buffer 1
		.amdhsa_user_sgpr_dispatch_ptr 0
		.amdhsa_user_sgpr_queue_ptr 0
		.amdhsa_user_sgpr_kernarg_segment_ptr 1
		.amdhsa_user_sgpr_dispatch_id 0
		.amdhsa_user_sgpr_flat_scratch_init 0
		.amdhsa_user_sgpr_kernarg_preload_length 0
		.amdhsa_user_sgpr_kernarg_preload_offset 0
		.amdhsa_user_sgpr_private_segment_size 0
		.amdhsa_uses_dynamic_stack 0
		.amdhsa_system_sgpr_private_segment_wavefront_offset 0
		.amdhsa_system_sgpr_workgroup_id_x 1
		.amdhsa_system_sgpr_workgroup_id_y 0
		.amdhsa_system_sgpr_workgroup_id_z 0
		.amdhsa_system_sgpr_workgroup_info 0
		.amdhsa_system_vgpr_workitem_id 0
		.amdhsa_next_free_vgpr 1
		.amdhsa_next_free_sgpr 0
		.amdhsa_accum_offset 4
		.amdhsa_reserve_vcc 0
		.amdhsa_reserve_flat_scratch 0
		.amdhsa_float_round_mode_32 0
		.amdhsa_float_round_mode_16_64 0
		.amdhsa_float_denorm_mode_32 3
		.amdhsa_float_denorm_mode_16_64 3
		.amdhsa_dx10_clamp 1
		.amdhsa_ieee_mode 1
		.amdhsa_fp16_overflow 0
		.amdhsa_tg_split 0
		.amdhsa_exception_fp_ieee_invalid_op 0
		.amdhsa_exception_fp_denorm_src 0
		.amdhsa_exception_fp_ieee_div_zero 0
		.amdhsa_exception_fp_ieee_overflow 0
		.amdhsa_exception_fp_ieee_underflow 0
		.amdhsa_exception_fp_ieee_inexact 0
		.amdhsa_exception_int_div_zero 0
	.end_amdhsa_kernel
	.section	.text._ZN7rocprim17ROCPRIM_400000_NS6detail17trampoline_kernelINS0_14default_configENS1_27upper_bound_config_selectorIdiEEZNS1_14transform_implILb0ES3_S5_N6thrust23THRUST_200600_302600_NS6detail15normal_iteratorINS8_10device_ptrIdEEEENSA_INSB_IiEEEEZNS1_13binary_searchIS3_S5_SD_SD_SF_NS1_21upper_bound_search_opENS9_16wrapped_functionINS0_4lessIvEEbEEEE10hipError_tPvRmT1_T2_T3_mmT4_T5_P12ihipStream_tbEUlRKdE_EESM_SQ_SR_mSS_SV_bEUlT_E_NS1_11comp_targetILNS1_3genE10ELNS1_11target_archE1201ELNS1_3gpuE5ELNS1_3repE0EEENS1_30default_config_static_selectorELNS0_4arch9wavefront6targetE1EEEvSP_,"axG",@progbits,_ZN7rocprim17ROCPRIM_400000_NS6detail17trampoline_kernelINS0_14default_configENS1_27upper_bound_config_selectorIdiEEZNS1_14transform_implILb0ES3_S5_N6thrust23THRUST_200600_302600_NS6detail15normal_iteratorINS8_10device_ptrIdEEEENSA_INSB_IiEEEEZNS1_13binary_searchIS3_S5_SD_SD_SF_NS1_21upper_bound_search_opENS9_16wrapped_functionINS0_4lessIvEEbEEEE10hipError_tPvRmT1_T2_T3_mmT4_T5_P12ihipStream_tbEUlRKdE_EESM_SQ_SR_mSS_SV_bEUlT_E_NS1_11comp_targetILNS1_3genE10ELNS1_11target_archE1201ELNS1_3gpuE5ELNS1_3repE0EEENS1_30default_config_static_selectorELNS0_4arch9wavefront6targetE1EEEvSP_,comdat
.Lfunc_end335:
	.size	_ZN7rocprim17ROCPRIM_400000_NS6detail17trampoline_kernelINS0_14default_configENS1_27upper_bound_config_selectorIdiEEZNS1_14transform_implILb0ES3_S5_N6thrust23THRUST_200600_302600_NS6detail15normal_iteratorINS8_10device_ptrIdEEEENSA_INSB_IiEEEEZNS1_13binary_searchIS3_S5_SD_SD_SF_NS1_21upper_bound_search_opENS9_16wrapped_functionINS0_4lessIvEEbEEEE10hipError_tPvRmT1_T2_T3_mmT4_T5_P12ihipStream_tbEUlRKdE_EESM_SQ_SR_mSS_SV_bEUlT_E_NS1_11comp_targetILNS1_3genE10ELNS1_11target_archE1201ELNS1_3gpuE5ELNS1_3repE0EEENS1_30default_config_static_selectorELNS0_4arch9wavefront6targetE1EEEvSP_, .Lfunc_end335-_ZN7rocprim17ROCPRIM_400000_NS6detail17trampoline_kernelINS0_14default_configENS1_27upper_bound_config_selectorIdiEEZNS1_14transform_implILb0ES3_S5_N6thrust23THRUST_200600_302600_NS6detail15normal_iteratorINS8_10device_ptrIdEEEENSA_INSB_IiEEEEZNS1_13binary_searchIS3_S5_SD_SD_SF_NS1_21upper_bound_search_opENS9_16wrapped_functionINS0_4lessIvEEbEEEE10hipError_tPvRmT1_T2_T3_mmT4_T5_P12ihipStream_tbEUlRKdE_EESM_SQ_SR_mSS_SV_bEUlT_E_NS1_11comp_targetILNS1_3genE10ELNS1_11target_archE1201ELNS1_3gpuE5ELNS1_3repE0EEENS1_30default_config_static_selectorELNS0_4arch9wavefront6targetE1EEEvSP_
                                        ; -- End function
	.section	.AMDGPU.csdata,"",@progbits
; Kernel info:
; codeLenInByte = 0
; NumSgprs: 4
; NumVgprs: 0
; NumAgprs: 0
; TotalNumVgprs: 0
; ScratchSize: 0
; MemoryBound: 0
; FloatMode: 240
; IeeeMode: 1
; LDSByteSize: 0 bytes/workgroup (compile time only)
; SGPRBlocks: 0
; VGPRBlocks: 0
; NumSGPRsForWavesPerEU: 4
; NumVGPRsForWavesPerEU: 1
; AccumOffset: 4
; Occupancy: 8
; WaveLimiterHint : 0
; COMPUTE_PGM_RSRC2:SCRATCH_EN: 0
; COMPUTE_PGM_RSRC2:USER_SGPR: 6
; COMPUTE_PGM_RSRC2:TRAP_HANDLER: 0
; COMPUTE_PGM_RSRC2:TGID_X_EN: 1
; COMPUTE_PGM_RSRC2:TGID_Y_EN: 0
; COMPUTE_PGM_RSRC2:TGID_Z_EN: 0
; COMPUTE_PGM_RSRC2:TIDIG_COMP_CNT: 0
; COMPUTE_PGM_RSRC3_GFX90A:ACCUM_OFFSET: 0
; COMPUTE_PGM_RSRC3_GFX90A:TG_SPLIT: 0
	.section	.text._ZN7rocprim17ROCPRIM_400000_NS6detail17trampoline_kernelINS0_14default_configENS1_27upper_bound_config_selectorIdiEEZNS1_14transform_implILb0ES3_S5_N6thrust23THRUST_200600_302600_NS6detail15normal_iteratorINS8_10device_ptrIdEEEENSA_INSB_IiEEEEZNS1_13binary_searchIS3_S5_SD_SD_SF_NS1_21upper_bound_search_opENS9_16wrapped_functionINS0_4lessIvEEbEEEE10hipError_tPvRmT1_T2_T3_mmT4_T5_P12ihipStream_tbEUlRKdE_EESM_SQ_SR_mSS_SV_bEUlT_E_NS1_11comp_targetILNS1_3genE10ELNS1_11target_archE1200ELNS1_3gpuE4ELNS1_3repE0EEENS1_30default_config_static_selectorELNS0_4arch9wavefront6targetE1EEEvSP_,"axG",@progbits,_ZN7rocprim17ROCPRIM_400000_NS6detail17trampoline_kernelINS0_14default_configENS1_27upper_bound_config_selectorIdiEEZNS1_14transform_implILb0ES3_S5_N6thrust23THRUST_200600_302600_NS6detail15normal_iteratorINS8_10device_ptrIdEEEENSA_INSB_IiEEEEZNS1_13binary_searchIS3_S5_SD_SD_SF_NS1_21upper_bound_search_opENS9_16wrapped_functionINS0_4lessIvEEbEEEE10hipError_tPvRmT1_T2_T3_mmT4_T5_P12ihipStream_tbEUlRKdE_EESM_SQ_SR_mSS_SV_bEUlT_E_NS1_11comp_targetILNS1_3genE10ELNS1_11target_archE1200ELNS1_3gpuE4ELNS1_3repE0EEENS1_30default_config_static_selectorELNS0_4arch9wavefront6targetE1EEEvSP_,comdat
	.protected	_ZN7rocprim17ROCPRIM_400000_NS6detail17trampoline_kernelINS0_14default_configENS1_27upper_bound_config_selectorIdiEEZNS1_14transform_implILb0ES3_S5_N6thrust23THRUST_200600_302600_NS6detail15normal_iteratorINS8_10device_ptrIdEEEENSA_INSB_IiEEEEZNS1_13binary_searchIS3_S5_SD_SD_SF_NS1_21upper_bound_search_opENS9_16wrapped_functionINS0_4lessIvEEbEEEE10hipError_tPvRmT1_T2_T3_mmT4_T5_P12ihipStream_tbEUlRKdE_EESM_SQ_SR_mSS_SV_bEUlT_E_NS1_11comp_targetILNS1_3genE10ELNS1_11target_archE1200ELNS1_3gpuE4ELNS1_3repE0EEENS1_30default_config_static_selectorELNS0_4arch9wavefront6targetE1EEEvSP_ ; -- Begin function _ZN7rocprim17ROCPRIM_400000_NS6detail17trampoline_kernelINS0_14default_configENS1_27upper_bound_config_selectorIdiEEZNS1_14transform_implILb0ES3_S5_N6thrust23THRUST_200600_302600_NS6detail15normal_iteratorINS8_10device_ptrIdEEEENSA_INSB_IiEEEEZNS1_13binary_searchIS3_S5_SD_SD_SF_NS1_21upper_bound_search_opENS9_16wrapped_functionINS0_4lessIvEEbEEEE10hipError_tPvRmT1_T2_T3_mmT4_T5_P12ihipStream_tbEUlRKdE_EESM_SQ_SR_mSS_SV_bEUlT_E_NS1_11comp_targetILNS1_3genE10ELNS1_11target_archE1200ELNS1_3gpuE4ELNS1_3repE0EEENS1_30default_config_static_selectorELNS0_4arch9wavefront6targetE1EEEvSP_
	.globl	_ZN7rocprim17ROCPRIM_400000_NS6detail17trampoline_kernelINS0_14default_configENS1_27upper_bound_config_selectorIdiEEZNS1_14transform_implILb0ES3_S5_N6thrust23THRUST_200600_302600_NS6detail15normal_iteratorINS8_10device_ptrIdEEEENSA_INSB_IiEEEEZNS1_13binary_searchIS3_S5_SD_SD_SF_NS1_21upper_bound_search_opENS9_16wrapped_functionINS0_4lessIvEEbEEEE10hipError_tPvRmT1_T2_T3_mmT4_T5_P12ihipStream_tbEUlRKdE_EESM_SQ_SR_mSS_SV_bEUlT_E_NS1_11comp_targetILNS1_3genE10ELNS1_11target_archE1200ELNS1_3gpuE4ELNS1_3repE0EEENS1_30default_config_static_selectorELNS0_4arch9wavefront6targetE1EEEvSP_
	.p2align	8
	.type	_ZN7rocprim17ROCPRIM_400000_NS6detail17trampoline_kernelINS0_14default_configENS1_27upper_bound_config_selectorIdiEEZNS1_14transform_implILb0ES3_S5_N6thrust23THRUST_200600_302600_NS6detail15normal_iteratorINS8_10device_ptrIdEEEENSA_INSB_IiEEEEZNS1_13binary_searchIS3_S5_SD_SD_SF_NS1_21upper_bound_search_opENS9_16wrapped_functionINS0_4lessIvEEbEEEE10hipError_tPvRmT1_T2_T3_mmT4_T5_P12ihipStream_tbEUlRKdE_EESM_SQ_SR_mSS_SV_bEUlT_E_NS1_11comp_targetILNS1_3genE10ELNS1_11target_archE1200ELNS1_3gpuE4ELNS1_3repE0EEENS1_30default_config_static_selectorELNS0_4arch9wavefront6targetE1EEEvSP_,@function
_ZN7rocprim17ROCPRIM_400000_NS6detail17trampoline_kernelINS0_14default_configENS1_27upper_bound_config_selectorIdiEEZNS1_14transform_implILb0ES3_S5_N6thrust23THRUST_200600_302600_NS6detail15normal_iteratorINS8_10device_ptrIdEEEENSA_INSB_IiEEEEZNS1_13binary_searchIS3_S5_SD_SD_SF_NS1_21upper_bound_search_opENS9_16wrapped_functionINS0_4lessIvEEbEEEE10hipError_tPvRmT1_T2_T3_mmT4_T5_P12ihipStream_tbEUlRKdE_EESM_SQ_SR_mSS_SV_bEUlT_E_NS1_11comp_targetILNS1_3genE10ELNS1_11target_archE1200ELNS1_3gpuE4ELNS1_3repE0EEENS1_30default_config_static_selectorELNS0_4arch9wavefront6targetE1EEEvSP_: ; @_ZN7rocprim17ROCPRIM_400000_NS6detail17trampoline_kernelINS0_14default_configENS1_27upper_bound_config_selectorIdiEEZNS1_14transform_implILb0ES3_S5_N6thrust23THRUST_200600_302600_NS6detail15normal_iteratorINS8_10device_ptrIdEEEENSA_INSB_IiEEEEZNS1_13binary_searchIS3_S5_SD_SD_SF_NS1_21upper_bound_search_opENS9_16wrapped_functionINS0_4lessIvEEbEEEE10hipError_tPvRmT1_T2_T3_mmT4_T5_P12ihipStream_tbEUlRKdE_EESM_SQ_SR_mSS_SV_bEUlT_E_NS1_11comp_targetILNS1_3genE10ELNS1_11target_archE1200ELNS1_3gpuE4ELNS1_3repE0EEENS1_30default_config_static_selectorELNS0_4arch9wavefront6targetE1EEEvSP_
; %bb.0:
	.section	.rodata,"a",@progbits
	.p2align	6, 0x0
	.amdhsa_kernel _ZN7rocprim17ROCPRIM_400000_NS6detail17trampoline_kernelINS0_14default_configENS1_27upper_bound_config_selectorIdiEEZNS1_14transform_implILb0ES3_S5_N6thrust23THRUST_200600_302600_NS6detail15normal_iteratorINS8_10device_ptrIdEEEENSA_INSB_IiEEEEZNS1_13binary_searchIS3_S5_SD_SD_SF_NS1_21upper_bound_search_opENS9_16wrapped_functionINS0_4lessIvEEbEEEE10hipError_tPvRmT1_T2_T3_mmT4_T5_P12ihipStream_tbEUlRKdE_EESM_SQ_SR_mSS_SV_bEUlT_E_NS1_11comp_targetILNS1_3genE10ELNS1_11target_archE1200ELNS1_3gpuE4ELNS1_3repE0EEENS1_30default_config_static_selectorELNS0_4arch9wavefront6targetE1EEEvSP_
		.amdhsa_group_segment_fixed_size 0
		.amdhsa_private_segment_fixed_size 0
		.amdhsa_kernarg_size 56
		.amdhsa_user_sgpr_count 6
		.amdhsa_user_sgpr_private_segment_buffer 1
		.amdhsa_user_sgpr_dispatch_ptr 0
		.amdhsa_user_sgpr_queue_ptr 0
		.amdhsa_user_sgpr_kernarg_segment_ptr 1
		.amdhsa_user_sgpr_dispatch_id 0
		.amdhsa_user_sgpr_flat_scratch_init 0
		.amdhsa_user_sgpr_kernarg_preload_length 0
		.amdhsa_user_sgpr_kernarg_preload_offset 0
		.amdhsa_user_sgpr_private_segment_size 0
		.amdhsa_uses_dynamic_stack 0
		.amdhsa_system_sgpr_private_segment_wavefront_offset 0
		.amdhsa_system_sgpr_workgroup_id_x 1
		.amdhsa_system_sgpr_workgroup_id_y 0
		.amdhsa_system_sgpr_workgroup_id_z 0
		.amdhsa_system_sgpr_workgroup_info 0
		.amdhsa_system_vgpr_workitem_id 0
		.amdhsa_next_free_vgpr 1
		.amdhsa_next_free_sgpr 0
		.amdhsa_accum_offset 4
		.amdhsa_reserve_vcc 0
		.amdhsa_reserve_flat_scratch 0
		.amdhsa_float_round_mode_32 0
		.amdhsa_float_round_mode_16_64 0
		.amdhsa_float_denorm_mode_32 3
		.amdhsa_float_denorm_mode_16_64 3
		.amdhsa_dx10_clamp 1
		.amdhsa_ieee_mode 1
		.amdhsa_fp16_overflow 0
		.amdhsa_tg_split 0
		.amdhsa_exception_fp_ieee_invalid_op 0
		.amdhsa_exception_fp_denorm_src 0
		.amdhsa_exception_fp_ieee_div_zero 0
		.amdhsa_exception_fp_ieee_overflow 0
		.amdhsa_exception_fp_ieee_underflow 0
		.amdhsa_exception_fp_ieee_inexact 0
		.amdhsa_exception_int_div_zero 0
	.end_amdhsa_kernel
	.section	.text._ZN7rocprim17ROCPRIM_400000_NS6detail17trampoline_kernelINS0_14default_configENS1_27upper_bound_config_selectorIdiEEZNS1_14transform_implILb0ES3_S5_N6thrust23THRUST_200600_302600_NS6detail15normal_iteratorINS8_10device_ptrIdEEEENSA_INSB_IiEEEEZNS1_13binary_searchIS3_S5_SD_SD_SF_NS1_21upper_bound_search_opENS9_16wrapped_functionINS0_4lessIvEEbEEEE10hipError_tPvRmT1_T2_T3_mmT4_T5_P12ihipStream_tbEUlRKdE_EESM_SQ_SR_mSS_SV_bEUlT_E_NS1_11comp_targetILNS1_3genE10ELNS1_11target_archE1200ELNS1_3gpuE4ELNS1_3repE0EEENS1_30default_config_static_selectorELNS0_4arch9wavefront6targetE1EEEvSP_,"axG",@progbits,_ZN7rocprim17ROCPRIM_400000_NS6detail17trampoline_kernelINS0_14default_configENS1_27upper_bound_config_selectorIdiEEZNS1_14transform_implILb0ES3_S5_N6thrust23THRUST_200600_302600_NS6detail15normal_iteratorINS8_10device_ptrIdEEEENSA_INSB_IiEEEEZNS1_13binary_searchIS3_S5_SD_SD_SF_NS1_21upper_bound_search_opENS9_16wrapped_functionINS0_4lessIvEEbEEEE10hipError_tPvRmT1_T2_T3_mmT4_T5_P12ihipStream_tbEUlRKdE_EESM_SQ_SR_mSS_SV_bEUlT_E_NS1_11comp_targetILNS1_3genE10ELNS1_11target_archE1200ELNS1_3gpuE4ELNS1_3repE0EEENS1_30default_config_static_selectorELNS0_4arch9wavefront6targetE1EEEvSP_,comdat
.Lfunc_end336:
	.size	_ZN7rocprim17ROCPRIM_400000_NS6detail17trampoline_kernelINS0_14default_configENS1_27upper_bound_config_selectorIdiEEZNS1_14transform_implILb0ES3_S5_N6thrust23THRUST_200600_302600_NS6detail15normal_iteratorINS8_10device_ptrIdEEEENSA_INSB_IiEEEEZNS1_13binary_searchIS3_S5_SD_SD_SF_NS1_21upper_bound_search_opENS9_16wrapped_functionINS0_4lessIvEEbEEEE10hipError_tPvRmT1_T2_T3_mmT4_T5_P12ihipStream_tbEUlRKdE_EESM_SQ_SR_mSS_SV_bEUlT_E_NS1_11comp_targetILNS1_3genE10ELNS1_11target_archE1200ELNS1_3gpuE4ELNS1_3repE0EEENS1_30default_config_static_selectorELNS0_4arch9wavefront6targetE1EEEvSP_, .Lfunc_end336-_ZN7rocprim17ROCPRIM_400000_NS6detail17trampoline_kernelINS0_14default_configENS1_27upper_bound_config_selectorIdiEEZNS1_14transform_implILb0ES3_S5_N6thrust23THRUST_200600_302600_NS6detail15normal_iteratorINS8_10device_ptrIdEEEENSA_INSB_IiEEEEZNS1_13binary_searchIS3_S5_SD_SD_SF_NS1_21upper_bound_search_opENS9_16wrapped_functionINS0_4lessIvEEbEEEE10hipError_tPvRmT1_T2_T3_mmT4_T5_P12ihipStream_tbEUlRKdE_EESM_SQ_SR_mSS_SV_bEUlT_E_NS1_11comp_targetILNS1_3genE10ELNS1_11target_archE1200ELNS1_3gpuE4ELNS1_3repE0EEENS1_30default_config_static_selectorELNS0_4arch9wavefront6targetE1EEEvSP_
                                        ; -- End function
	.section	.AMDGPU.csdata,"",@progbits
; Kernel info:
; codeLenInByte = 0
; NumSgprs: 4
; NumVgprs: 0
; NumAgprs: 0
; TotalNumVgprs: 0
; ScratchSize: 0
; MemoryBound: 0
; FloatMode: 240
; IeeeMode: 1
; LDSByteSize: 0 bytes/workgroup (compile time only)
; SGPRBlocks: 0
; VGPRBlocks: 0
; NumSGPRsForWavesPerEU: 4
; NumVGPRsForWavesPerEU: 1
; AccumOffset: 4
; Occupancy: 8
; WaveLimiterHint : 0
; COMPUTE_PGM_RSRC2:SCRATCH_EN: 0
; COMPUTE_PGM_RSRC2:USER_SGPR: 6
; COMPUTE_PGM_RSRC2:TRAP_HANDLER: 0
; COMPUTE_PGM_RSRC2:TGID_X_EN: 1
; COMPUTE_PGM_RSRC2:TGID_Y_EN: 0
; COMPUTE_PGM_RSRC2:TGID_Z_EN: 0
; COMPUTE_PGM_RSRC2:TIDIG_COMP_CNT: 0
; COMPUTE_PGM_RSRC3_GFX90A:ACCUM_OFFSET: 0
; COMPUTE_PGM_RSRC3_GFX90A:TG_SPLIT: 0
	.section	.text._ZN7rocprim17ROCPRIM_400000_NS6detail17trampoline_kernelINS0_14default_configENS1_27upper_bound_config_selectorIdiEEZNS1_14transform_implILb0ES3_S5_N6thrust23THRUST_200600_302600_NS6detail15normal_iteratorINS8_10device_ptrIdEEEENSA_INSB_IiEEEEZNS1_13binary_searchIS3_S5_SD_SD_SF_NS1_21upper_bound_search_opENS9_16wrapped_functionINS0_4lessIvEEbEEEE10hipError_tPvRmT1_T2_T3_mmT4_T5_P12ihipStream_tbEUlRKdE_EESM_SQ_SR_mSS_SV_bEUlT_E_NS1_11comp_targetILNS1_3genE9ELNS1_11target_archE1100ELNS1_3gpuE3ELNS1_3repE0EEENS1_30default_config_static_selectorELNS0_4arch9wavefront6targetE1EEEvSP_,"axG",@progbits,_ZN7rocprim17ROCPRIM_400000_NS6detail17trampoline_kernelINS0_14default_configENS1_27upper_bound_config_selectorIdiEEZNS1_14transform_implILb0ES3_S5_N6thrust23THRUST_200600_302600_NS6detail15normal_iteratorINS8_10device_ptrIdEEEENSA_INSB_IiEEEEZNS1_13binary_searchIS3_S5_SD_SD_SF_NS1_21upper_bound_search_opENS9_16wrapped_functionINS0_4lessIvEEbEEEE10hipError_tPvRmT1_T2_T3_mmT4_T5_P12ihipStream_tbEUlRKdE_EESM_SQ_SR_mSS_SV_bEUlT_E_NS1_11comp_targetILNS1_3genE9ELNS1_11target_archE1100ELNS1_3gpuE3ELNS1_3repE0EEENS1_30default_config_static_selectorELNS0_4arch9wavefront6targetE1EEEvSP_,comdat
	.protected	_ZN7rocprim17ROCPRIM_400000_NS6detail17trampoline_kernelINS0_14default_configENS1_27upper_bound_config_selectorIdiEEZNS1_14transform_implILb0ES3_S5_N6thrust23THRUST_200600_302600_NS6detail15normal_iteratorINS8_10device_ptrIdEEEENSA_INSB_IiEEEEZNS1_13binary_searchIS3_S5_SD_SD_SF_NS1_21upper_bound_search_opENS9_16wrapped_functionINS0_4lessIvEEbEEEE10hipError_tPvRmT1_T2_T3_mmT4_T5_P12ihipStream_tbEUlRKdE_EESM_SQ_SR_mSS_SV_bEUlT_E_NS1_11comp_targetILNS1_3genE9ELNS1_11target_archE1100ELNS1_3gpuE3ELNS1_3repE0EEENS1_30default_config_static_selectorELNS0_4arch9wavefront6targetE1EEEvSP_ ; -- Begin function _ZN7rocprim17ROCPRIM_400000_NS6detail17trampoline_kernelINS0_14default_configENS1_27upper_bound_config_selectorIdiEEZNS1_14transform_implILb0ES3_S5_N6thrust23THRUST_200600_302600_NS6detail15normal_iteratorINS8_10device_ptrIdEEEENSA_INSB_IiEEEEZNS1_13binary_searchIS3_S5_SD_SD_SF_NS1_21upper_bound_search_opENS9_16wrapped_functionINS0_4lessIvEEbEEEE10hipError_tPvRmT1_T2_T3_mmT4_T5_P12ihipStream_tbEUlRKdE_EESM_SQ_SR_mSS_SV_bEUlT_E_NS1_11comp_targetILNS1_3genE9ELNS1_11target_archE1100ELNS1_3gpuE3ELNS1_3repE0EEENS1_30default_config_static_selectorELNS0_4arch9wavefront6targetE1EEEvSP_
	.globl	_ZN7rocprim17ROCPRIM_400000_NS6detail17trampoline_kernelINS0_14default_configENS1_27upper_bound_config_selectorIdiEEZNS1_14transform_implILb0ES3_S5_N6thrust23THRUST_200600_302600_NS6detail15normal_iteratorINS8_10device_ptrIdEEEENSA_INSB_IiEEEEZNS1_13binary_searchIS3_S5_SD_SD_SF_NS1_21upper_bound_search_opENS9_16wrapped_functionINS0_4lessIvEEbEEEE10hipError_tPvRmT1_T2_T3_mmT4_T5_P12ihipStream_tbEUlRKdE_EESM_SQ_SR_mSS_SV_bEUlT_E_NS1_11comp_targetILNS1_3genE9ELNS1_11target_archE1100ELNS1_3gpuE3ELNS1_3repE0EEENS1_30default_config_static_selectorELNS0_4arch9wavefront6targetE1EEEvSP_
	.p2align	8
	.type	_ZN7rocprim17ROCPRIM_400000_NS6detail17trampoline_kernelINS0_14default_configENS1_27upper_bound_config_selectorIdiEEZNS1_14transform_implILb0ES3_S5_N6thrust23THRUST_200600_302600_NS6detail15normal_iteratorINS8_10device_ptrIdEEEENSA_INSB_IiEEEEZNS1_13binary_searchIS3_S5_SD_SD_SF_NS1_21upper_bound_search_opENS9_16wrapped_functionINS0_4lessIvEEbEEEE10hipError_tPvRmT1_T2_T3_mmT4_T5_P12ihipStream_tbEUlRKdE_EESM_SQ_SR_mSS_SV_bEUlT_E_NS1_11comp_targetILNS1_3genE9ELNS1_11target_archE1100ELNS1_3gpuE3ELNS1_3repE0EEENS1_30default_config_static_selectorELNS0_4arch9wavefront6targetE1EEEvSP_,@function
_ZN7rocprim17ROCPRIM_400000_NS6detail17trampoline_kernelINS0_14default_configENS1_27upper_bound_config_selectorIdiEEZNS1_14transform_implILb0ES3_S5_N6thrust23THRUST_200600_302600_NS6detail15normal_iteratorINS8_10device_ptrIdEEEENSA_INSB_IiEEEEZNS1_13binary_searchIS3_S5_SD_SD_SF_NS1_21upper_bound_search_opENS9_16wrapped_functionINS0_4lessIvEEbEEEE10hipError_tPvRmT1_T2_T3_mmT4_T5_P12ihipStream_tbEUlRKdE_EESM_SQ_SR_mSS_SV_bEUlT_E_NS1_11comp_targetILNS1_3genE9ELNS1_11target_archE1100ELNS1_3gpuE3ELNS1_3repE0EEENS1_30default_config_static_selectorELNS0_4arch9wavefront6targetE1EEEvSP_: ; @_ZN7rocprim17ROCPRIM_400000_NS6detail17trampoline_kernelINS0_14default_configENS1_27upper_bound_config_selectorIdiEEZNS1_14transform_implILb0ES3_S5_N6thrust23THRUST_200600_302600_NS6detail15normal_iteratorINS8_10device_ptrIdEEEENSA_INSB_IiEEEEZNS1_13binary_searchIS3_S5_SD_SD_SF_NS1_21upper_bound_search_opENS9_16wrapped_functionINS0_4lessIvEEbEEEE10hipError_tPvRmT1_T2_T3_mmT4_T5_P12ihipStream_tbEUlRKdE_EESM_SQ_SR_mSS_SV_bEUlT_E_NS1_11comp_targetILNS1_3genE9ELNS1_11target_archE1100ELNS1_3gpuE3ELNS1_3repE0EEENS1_30default_config_static_selectorELNS0_4arch9wavefront6targetE1EEEvSP_
; %bb.0:
	.section	.rodata,"a",@progbits
	.p2align	6, 0x0
	.amdhsa_kernel _ZN7rocprim17ROCPRIM_400000_NS6detail17trampoline_kernelINS0_14default_configENS1_27upper_bound_config_selectorIdiEEZNS1_14transform_implILb0ES3_S5_N6thrust23THRUST_200600_302600_NS6detail15normal_iteratorINS8_10device_ptrIdEEEENSA_INSB_IiEEEEZNS1_13binary_searchIS3_S5_SD_SD_SF_NS1_21upper_bound_search_opENS9_16wrapped_functionINS0_4lessIvEEbEEEE10hipError_tPvRmT1_T2_T3_mmT4_T5_P12ihipStream_tbEUlRKdE_EESM_SQ_SR_mSS_SV_bEUlT_E_NS1_11comp_targetILNS1_3genE9ELNS1_11target_archE1100ELNS1_3gpuE3ELNS1_3repE0EEENS1_30default_config_static_selectorELNS0_4arch9wavefront6targetE1EEEvSP_
		.amdhsa_group_segment_fixed_size 0
		.amdhsa_private_segment_fixed_size 0
		.amdhsa_kernarg_size 56
		.amdhsa_user_sgpr_count 6
		.amdhsa_user_sgpr_private_segment_buffer 1
		.amdhsa_user_sgpr_dispatch_ptr 0
		.amdhsa_user_sgpr_queue_ptr 0
		.amdhsa_user_sgpr_kernarg_segment_ptr 1
		.amdhsa_user_sgpr_dispatch_id 0
		.amdhsa_user_sgpr_flat_scratch_init 0
		.amdhsa_user_sgpr_kernarg_preload_length 0
		.amdhsa_user_sgpr_kernarg_preload_offset 0
		.amdhsa_user_sgpr_private_segment_size 0
		.amdhsa_uses_dynamic_stack 0
		.amdhsa_system_sgpr_private_segment_wavefront_offset 0
		.amdhsa_system_sgpr_workgroup_id_x 1
		.amdhsa_system_sgpr_workgroup_id_y 0
		.amdhsa_system_sgpr_workgroup_id_z 0
		.amdhsa_system_sgpr_workgroup_info 0
		.amdhsa_system_vgpr_workitem_id 0
		.amdhsa_next_free_vgpr 1
		.amdhsa_next_free_sgpr 0
		.amdhsa_accum_offset 4
		.amdhsa_reserve_vcc 0
		.amdhsa_reserve_flat_scratch 0
		.amdhsa_float_round_mode_32 0
		.amdhsa_float_round_mode_16_64 0
		.amdhsa_float_denorm_mode_32 3
		.amdhsa_float_denorm_mode_16_64 3
		.amdhsa_dx10_clamp 1
		.amdhsa_ieee_mode 1
		.amdhsa_fp16_overflow 0
		.amdhsa_tg_split 0
		.amdhsa_exception_fp_ieee_invalid_op 0
		.amdhsa_exception_fp_denorm_src 0
		.amdhsa_exception_fp_ieee_div_zero 0
		.amdhsa_exception_fp_ieee_overflow 0
		.amdhsa_exception_fp_ieee_underflow 0
		.amdhsa_exception_fp_ieee_inexact 0
		.amdhsa_exception_int_div_zero 0
	.end_amdhsa_kernel
	.section	.text._ZN7rocprim17ROCPRIM_400000_NS6detail17trampoline_kernelINS0_14default_configENS1_27upper_bound_config_selectorIdiEEZNS1_14transform_implILb0ES3_S5_N6thrust23THRUST_200600_302600_NS6detail15normal_iteratorINS8_10device_ptrIdEEEENSA_INSB_IiEEEEZNS1_13binary_searchIS3_S5_SD_SD_SF_NS1_21upper_bound_search_opENS9_16wrapped_functionINS0_4lessIvEEbEEEE10hipError_tPvRmT1_T2_T3_mmT4_T5_P12ihipStream_tbEUlRKdE_EESM_SQ_SR_mSS_SV_bEUlT_E_NS1_11comp_targetILNS1_3genE9ELNS1_11target_archE1100ELNS1_3gpuE3ELNS1_3repE0EEENS1_30default_config_static_selectorELNS0_4arch9wavefront6targetE1EEEvSP_,"axG",@progbits,_ZN7rocprim17ROCPRIM_400000_NS6detail17trampoline_kernelINS0_14default_configENS1_27upper_bound_config_selectorIdiEEZNS1_14transform_implILb0ES3_S5_N6thrust23THRUST_200600_302600_NS6detail15normal_iteratorINS8_10device_ptrIdEEEENSA_INSB_IiEEEEZNS1_13binary_searchIS3_S5_SD_SD_SF_NS1_21upper_bound_search_opENS9_16wrapped_functionINS0_4lessIvEEbEEEE10hipError_tPvRmT1_T2_T3_mmT4_T5_P12ihipStream_tbEUlRKdE_EESM_SQ_SR_mSS_SV_bEUlT_E_NS1_11comp_targetILNS1_3genE9ELNS1_11target_archE1100ELNS1_3gpuE3ELNS1_3repE0EEENS1_30default_config_static_selectorELNS0_4arch9wavefront6targetE1EEEvSP_,comdat
.Lfunc_end337:
	.size	_ZN7rocprim17ROCPRIM_400000_NS6detail17trampoline_kernelINS0_14default_configENS1_27upper_bound_config_selectorIdiEEZNS1_14transform_implILb0ES3_S5_N6thrust23THRUST_200600_302600_NS6detail15normal_iteratorINS8_10device_ptrIdEEEENSA_INSB_IiEEEEZNS1_13binary_searchIS3_S5_SD_SD_SF_NS1_21upper_bound_search_opENS9_16wrapped_functionINS0_4lessIvEEbEEEE10hipError_tPvRmT1_T2_T3_mmT4_T5_P12ihipStream_tbEUlRKdE_EESM_SQ_SR_mSS_SV_bEUlT_E_NS1_11comp_targetILNS1_3genE9ELNS1_11target_archE1100ELNS1_3gpuE3ELNS1_3repE0EEENS1_30default_config_static_selectorELNS0_4arch9wavefront6targetE1EEEvSP_, .Lfunc_end337-_ZN7rocprim17ROCPRIM_400000_NS6detail17trampoline_kernelINS0_14default_configENS1_27upper_bound_config_selectorIdiEEZNS1_14transform_implILb0ES3_S5_N6thrust23THRUST_200600_302600_NS6detail15normal_iteratorINS8_10device_ptrIdEEEENSA_INSB_IiEEEEZNS1_13binary_searchIS3_S5_SD_SD_SF_NS1_21upper_bound_search_opENS9_16wrapped_functionINS0_4lessIvEEbEEEE10hipError_tPvRmT1_T2_T3_mmT4_T5_P12ihipStream_tbEUlRKdE_EESM_SQ_SR_mSS_SV_bEUlT_E_NS1_11comp_targetILNS1_3genE9ELNS1_11target_archE1100ELNS1_3gpuE3ELNS1_3repE0EEENS1_30default_config_static_selectorELNS0_4arch9wavefront6targetE1EEEvSP_
                                        ; -- End function
	.section	.AMDGPU.csdata,"",@progbits
; Kernel info:
; codeLenInByte = 0
; NumSgprs: 4
; NumVgprs: 0
; NumAgprs: 0
; TotalNumVgprs: 0
; ScratchSize: 0
; MemoryBound: 0
; FloatMode: 240
; IeeeMode: 1
; LDSByteSize: 0 bytes/workgroup (compile time only)
; SGPRBlocks: 0
; VGPRBlocks: 0
; NumSGPRsForWavesPerEU: 4
; NumVGPRsForWavesPerEU: 1
; AccumOffset: 4
; Occupancy: 8
; WaveLimiterHint : 0
; COMPUTE_PGM_RSRC2:SCRATCH_EN: 0
; COMPUTE_PGM_RSRC2:USER_SGPR: 6
; COMPUTE_PGM_RSRC2:TRAP_HANDLER: 0
; COMPUTE_PGM_RSRC2:TGID_X_EN: 1
; COMPUTE_PGM_RSRC2:TGID_Y_EN: 0
; COMPUTE_PGM_RSRC2:TGID_Z_EN: 0
; COMPUTE_PGM_RSRC2:TIDIG_COMP_CNT: 0
; COMPUTE_PGM_RSRC3_GFX90A:ACCUM_OFFSET: 0
; COMPUTE_PGM_RSRC3_GFX90A:TG_SPLIT: 0
	.section	.text._ZN7rocprim17ROCPRIM_400000_NS6detail17trampoline_kernelINS0_14default_configENS1_27upper_bound_config_selectorIdiEEZNS1_14transform_implILb0ES3_S5_N6thrust23THRUST_200600_302600_NS6detail15normal_iteratorINS8_10device_ptrIdEEEENSA_INSB_IiEEEEZNS1_13binary_searchIS3_S5_SD_SD_SF_NS1_21upper_bound_search_opENS9_16wrapped_functionINS0_4lessIvEEbEEEE10hipError_tPvRmT1_T2_T3_mmT4_T5_P12ihipStream_tbEUlRKdE_EESM_SQ_SR_mSS_SV_bEUlT_E_NS1_11comp_targetILNS1_3genE8ELNS1_11target_archE1030ELNS1_3gpuE2ELNS1_3repE0EEENS1_30default_config_static_selectorELNS0_4arch9wavefront6targetE1EEEvSP_,"axG",@progbits,_ZN7rocprim17ROCPRIM_400000_NS6detail17trampoline_kernelINS0_14default_configENS1_27upper_bound_config_selectorIdiEEZNS1_14transform_implILb0ES3_S5_N6thrust23THRUST_200600_302600_NS6detail15normal_iteratorINS8_10device_ptrIdEEEENSA_INSB_IiEEEEZNS1_13binary_searchIS3_S5_SD_SD_SF_NS1_21upper_bound_search_opENS9_16wrapped_functionINS0_4lessIvEEbEEEE10hipError_tPvRmT1_T2_T3_mmT4_T5_P12ihipStream_tbEUlRKdE_EESM_SQ_SR_mSS_SV_bEUlT_E_NS1_11comp_targetILNS1_3genE8ELNS1_11target_archE1030ELNS1_3gpuE2ELNS1_3repE0EEENS1_30default_config_static_selectorELNS0_4arch9wavefront6targetE1EEEvSP_,comdat
	.protected	_ZN7rocprim17ROCPRIM_400000_NS6detail17trampoline_kernelINS0_14default_configENS1_27upper_bound_config_selectorIdiEEZNS1_14transform_implILb0ES3_S5_N6thrust23THRUST_200600_302600_NS6detail15normal_iteratorINS8_10device_ptrIdEEEENSA_INSB_IiEEEEZNS1_13binary_searchIS3_S5_SD_SD_SF_NS1_21upper_bound_search_opENS9_16wrapped_functionINS0_4lessIvEEbEEEE10hipError_tPvRmT1_T2_T3_mmT4_T5_P12ihipStream_tbEUlRKdE_EESM_SQ_SR_mSS_SV_bEUlT_E_NS1_11comp_targetILNS1_3genE8ELNS1_11target_archE1030ELNS1_3gpuE2ELNS1_3repE0EEENS1_30default_config_static_selectorELNS0_4arch9wavefront6targetE1EEEvSP_ ; -- Begin function _ZN7rocprim17ROCPRIM_400000_NS6detail17trampoline_kernelINS0_14default_configENS1_27upper_bound_config_selectorIdiEEZNS1_14transform_implILb0ES3_S5_N6thrust23THRUST_200600_302600_NS6detail15normal_iteratorINS8_10device_ptrIdEEEENSA_INSB_IiEEEEZNS1_13binary_searchIS3_S5_SD_SD_SF_NS1_21upper_bound_search_opENS9_16wrapped_functionINS0_4lessIvEEbEEEE10hipError_tPvRmT1_T2_T3_mmT4_T5_P12ihipStream_tbEUlRKdE_EESM_SQ_SR_mSS_SV_bEUlT_E_NS1_11comp_targetILNS1_3genE8ELNS1_11target_archE1030ELNS1_3gpuE2ELNS1_3repE0EEENS1_30default_config_static_selectorELNS0_4arch9wavefront6targetE1EEEvSP_
	.globl	_ZN7rocprim17ROCPRIM_400000_NS6detail17trampoline_kernelINS0_14default_configENS1_27upper_bound_config_selectorIdiEEZNS1_14transform_implILb0ES3_S5_N6thrust23THRUST_200600_302600_NS6detail15normal_iteratorINS8_10device_ptrIdEEEENSA_INSB_IiEEEEZNS1_13binary_searchIS3_S5_SD_SD_SF_NS1_21upper_bound_search_opENS9_16wrapped_functionINS0_4lessIvEEbEEEE10hipError_tPvRmT1_T2_T3_mmT4_T5_P12ihipStream_tbEUlRKdE_EESM_SQ_SR_mSS_SV_bEUlT_E_NS1_11comp_targetILNS1_3genE8ELNS1_11target_archE1030ELNS1_3gpuE2ELNS1_3repE0EEENS1_30default_config_static_selectorELNS0_4arch9wavefront6targetE1EEEvSP_
	.p2align	8
	.type	_ZN7rocprim17ROCPRIM_400000_NS6detail17trampoline_kernelINS0_14default_configENS1_27upper_bound_config_selectorIdiEEZNS1_14transform_implILb0ES3_S5_N6thrust23THRUST_200600_302600_NS6detail15normal_iteratorINS8_10device_ptrIdEEEENSA_INSB_IiEEEEZNS1_13binary_searchIS3_S5_SD_SD_SF_NS1_21upper_bound_search_opENS9_16wrapped_functionINS0_4lessIvEEbEEEE10hipError_tPvRmT1_T2_T3_mmT4_T5_P12ihipStream_tbEUlRKdE_EESM_SQ_SR_mSS_SV_bEUlT_E_NS1_11comp_targetILNS1_3genE8ELNS1_11target_archE1030ELNS1_3gpuE2ELNS1_3repE0EEENS1_30default_config_static_selectorELNS0_4arch9wavefront6targetE1EEEvSP_,@function
_ZN7rocprim17ROCPRIM_400000_NS6detail17trampoline_kernelINS0_14default_configENS1_27upper_bound_config_selectorIdiEEZNS1_14transform_implILb0ES3_S5_N6thrust23THRUST_200600_302600_NS6detail15normal_iteratorINS8_10device_ptrIdEEEENSA_INSB_IiEEEEZNS1_13binary_searchIS3_S5_SD_SD_SF_NS1_21upper_bound_search_opENS9_16wrapped_functionINS0_4lessIvEEbEEEE10hipError_tPvRmT1_T2_T3_mmT4_T5_P12ihipStream_tbEUlRKdE_EESM_SQ_SR_mSS_SV_bEUlT_E_NS1_11comp_targetILNS1_3genE8ELNS1_11target_archE1030ELNS1_3gpuE2ELNS1_3repE0EEENS1_30default_config_static_selectorELNS0_4arch9wavefront6targetE1EEEvSP_: ; @_ZN7rocprim17ROCPRIM_400000_NS6detail17trampoline_kernelINS0_14default_configENS1_27upper_bound_config_selectorIdiEEZNS1_14transform_implILb0ES3_S5_N6thrust23THRUST_200600_302600_NS6detail15normal_iteratorINS8_10device_ptrIdEEEENSA_INSB_IiEEEEZNS1_13binary_searchIS3_S5_SD_SD_SF_NS1_21upper_bound_search_opENS9_16wrapped_functionINS0_4lessIvEEbEEEE10hipError_tPvRmT1_T2_T3_mmT4_T5_P12ihipStream_tbEUlRKdE_EESM_SQ_SR_mSS_SV_bEUlT_E_NS1_11comp_targetILNS1_3genE8ELNS1_11target_archE1030ELNS1_3gpuE2ELNS1_3repE0EEENS1_30default_config_static_selectorELNS0_4arch9wavefront6targetE1EEEvSP_
; %bb.0:
	.section	.rodata,"a",@progbits
	.p2align	6, 0x0
	.amdhsa_kernel _ZN7rocprim17ROCPRIM_400000_NS6detail17trampoline_kernelINS0_14default_configENS1_27upper_bound_config_selectorIdiEEZNS1_14transform_implILb0ES3_S5_N6thrust23THRUST_200600_302600_NS6detail15normal_iteratorINS8_10device_ptrIdEEEENSA_INSB_IiEEEEZNS1_13binary_searchIS3_S5_SD_SD_SF_NS1_21upper_bound_search_opENS9_16wrapped_functionINS0_4lessIvEEbEEEE10hipError_tPvRmT1_T2_T3_mmT4_T5_P12ihipStream_tbEUlRKdE_EESM_SQ_SR_mSS_SV_bEUlT_E_NS1_11comp_targetILNS1_3genE8ELNS1_11target_archE1030ELNS1_3gpuE2ELNS1_3repE0EEENS1_30default_config_static_selectorELNS0_4arch9wavefront6targetE1EEEvSP_
		.amdhsa_group_segment_fixed_size 0
		.amdhsa_private_segment_fixed_size 0
		.amdhsa_kernarg_size 56
		.amdhsa_user_sgpr_count 6
		.amdhsa_user_sgpr_private_segment_buffer 1
		.amdhsa_user_sgpr_dispatch_ptr 0
		.amdhsa_user_sgpr_queue_ptr 0
		.amdhsa_user_sgpr_kernarg_segment_ptr 1
		.amdhsa_user_sgpr_dispatch_id 0
		.amdhsa_user_sgpr_flat_scratch_init 0
		.amdhsa_user_sgpr_kernarg_preload_length 0
		.amdhsa_user_sgpr_kernarg_preload_offset 0
		.amdhsa_user_sgpr_private_segment_size 0
		.amdhsa_uses_dynamic_stack 0
		.amdhsa_system_sgpr_private_segment_wavefront_offset 0
		.amdhsa_system_sgpr_workgroup_id_x 1
		.amdhsa_system_sgpr_workgroup_id_y 0
		.amdhsa_system_sgpr_workgroup_id_z 0
		.amdhsa_system_sgpr_workgroup_info 0
		.amdhsa_system_vgpr_workitem_id 0
		.amdhsa_next_free_vgpr 1
		.amdhsa_next_free_sgpr 0
		.amdhsa_accum_offset 4
		.amdhsa_reserve_vcc 0
		.amdhsa_reserve_flat_scratch 0
		.amdhsa_float_round_mode_32 0
		.amdhsa_float_round_mode_16_64 0
		.amdhsa_float_denorm_mode_32 3
		.amdhsa_float_denorm_mode_16_64 3
		.amdhsa_dx10_clamp 1
		.amdhsa_ieee_mode 1
		.amdhsa_fp16_overflow 0
		.amdhsa_tg_split 0
		.amdhsa_exception_fp_ieee_invalid_op 0
		.amdhsa_exception_fp_denorm_src 0
		.amdhsa_exception_fp_ieee_div_zero 0
		.amdhsa_exception_fp_ieee_overflow 0
		.amdhsa_exception_fp_ieee_underflow 0
		.amdhsa_exception_fp_ieee_inexact 0
		.amdhsa_exception_int_div_zero 0
	.end_amdhsa_kernel
	.section	.text._ZN7rocprim17ROCPRIM_400000_NS6detail17trampoline_kernelINS0_14default_configENS1_27upper_bound_config_selectorIdiEEZNS1_14transform_implILb0ES3_S5_N6thrust23THRUST_200600_302600_NS6detail15normal_iteratorINS8_10device_ptrIdEEEENSA_INSB_IiEEEEZNS1_13binary_searchIS3_S5_SD_SD_SF_NS1_21upper_bound_search_opENS9_16wrapped_functionINS0_4lessIvEEbEEEE10hipError_tPvRmT1_T2_T3_mmT4_T5_P12ihipStream_tbEUlRKdE_EESM_SQ_SR_mSS_SV_bEUlT_E_NS1_11comp_targetILNS1_3genE8ELNS1_11target_archE1030ELNS1_3gpuE2ELNS1_3repE0EEENS1_30default_config_static_selectorELNS0_4arch9wavefront6targetE1EEEvSP_,"axG",@progbits,_ZN7rocprim17ROCPRIM_400000_NS6detail17trampoline_kernelINS0_14default_configENS1_27upper_bound_config_selectorIdiEEZNS1_14transform_implILb0ES3_S5_N6thrust23THRUST_200600_302600_NS6detail15normal_iteratorINS8_10device_ptrIdEEEENSA_INSB_IiEEEEZNS1_13binary_searchIS3_S5_SD_SD_SF_NS1_21upper_bound_search_opENS9_16wrapped_functionINS0_4lessIvEEbEEEE10hipError_tPvRmT1_T2_T3_mmT4_T5_P12ihipStream_tbEUlRKdE_EESM_SQ_SR_mSS_SV_bEUlT_E_NS1_11comp_targetILNS1_3genE8ELNS1_11target_archE1030ELNS1_3gpuE2ELNS1_3repE0EEENS1_30default_config_static_selectorELNS0_4arch9wavefront6targetE1EEEvSP_,comdat
.Lfunc_end338:
	.size	_ZN7rocprim17ROCPRIM_400000_NS6detail17trampoline_kernelINS0_14default_configENS1_27upper_bound_config_selectorIdiEEZNS1_14transform_implILb0ES3_S5_N6thrust23THRUST_200600_302600_NS6detail15normal_iteratorINS8_10device_ptrIdEEEENSA_INSB_IiEEEEZNS1_13binary_searchIS3_S5_SD_SD_SF_NS1_21upper_bound_search_opENS9_16wrapped_functionINS0_4lessIvEEbEEEE10hipError_tPvRmT1_T2_T3_mmT4_T5_P12ihipStream_tbEUlRKdE_EESM_SQ_SR_mSS_SV_bEUlT_E_NS1_11comp_targetILNS1_3genE8ELNS1_11target_archE1030ELNS1_3gpuE2ELNS1_3repE0EEENS1_30default_config_static_selectorELNS0_4arch9wavefront6targetE1EEEvSP_, .Lfunc_end338-_ZN7rocprim17ROCPRIM_400000_NS6detail17trampoline_kernelINS0_14default_configENS1_27upper_bound_config_selectorIdiEEZNS1_14transform_implILb0ES3_S5_N6thrust23THRUST_200600_302600_NS6detail15normal_iteratorINS8_10device_ptrIdEEEENSA_INSB_IiEEEEZNS1_13binary_searchIS3_S5_SD_SD_SF_NS1_21upper_bound_search_opENS9_16wrapped_functionINS0_4lessIvEEbEEEE10hipError_tPvRmT1_T2_T3_mmT4_T5_P12ihipStream_tbEUlRKdE_EESM_SQ_SR_mSS_SV_bEUlT_E_NS1_11comp_targetILNS1_3genE8ELNS1_11target_archE1030ELNS1_3gpuE2ELNS1_3repE0EEENS1_30default_config_static_selectorELNS0_4arch9wavefront6targetE1EEEvSP_
                                        ; -- End function
	.section	.AMDGPU.csdata,"",@progbits
; Kernel info:
; codeLenInByte = 0
; NumSgprs: 4
; NumVgprs: 0
; NumAgprs: 0
; TotalNumVgprs: 0
; ScratchSize: 0
; MemoryBound: 0
; FloatMode: 240
; IeeeMode: 1
; LDSByteSize: 0 bytes/workgroup (compile time only)
; SGPRBlocks: 0
; VGPRBlocks: 0
; NumSGPRsForWavesPerEU: 4
; NumVGPRsForWavesPerEU: 1
; AccumOffset: 4
; Occupancy: 8
; WaveLimiterHint : 0
; COMPUTE_PGM_RSRC2:SCRATCH_EN: 0
; COMPUTE_PGM_RSRC2:USER_SGPR: 6
; COMPUTE_PGM_RSRC2:TRAP_HANDLER: 0
; COMPUTE_PGM_RSRC2:TGID_X_EN: 1
; COMPUTE_PGM_RSRC2:TGID_Y_EN: 0
; COMPUTE_PGM_RSRC2:TGID_Z_EN: 0
; COMPUTE_PGM_RSRC2:TIDIG_COMP_CNT: 0
; COMPUTE_PGM_RSRC3_GFX90A:ACCUM_OFFSET: 0
; COMPUTE_PGM_RSRC3_GFX90A:TG_SPLIT: 0
	.section	.text._ZN7rocprim17ROCPRIM_400000_NS6detail17trampoline_kernelINS0_14default_configENS1_27upper_bound_config_selectorIfiEEZNS1_14transform_implILb0ES3_S5_N6thrust23THRUST_200600_302600_NS6detail15normal_iteratorINS8_10device_ptrIfEEEENSA_INSB_IiEEEEZNS1_13binary_searchIS3_S5_SD_SD_SF_NS1_21upper_bound_search_opENS9_16wrapped_functionINS0_4lessIvEEbEEEE10hipError_tPvRmT1_T2_T3_mmT4_T5_P12ihipStream_tbEUlRKfE_EESM_SQ_SR_mSS_SV_bEUlT_E_NS1_11comp_targetILNS1_3genE0ELNS1_11target_archE4294967295ELNS1_3gpuE0ELNS1_3repE0EEENS1_30default_config_static_selectorELNS0_4arch9wavefront6targetE1EEEvSP_,"axG",@progbits,_ZN7rocprim17ROCPRIM_400000_NS6detail17trampoline_kernelINS0_14default_configENS1_27upper_bound_config_selectorIfiEEZNS1_14transform_implILb0ES3_S5_N6thrust23THRUST_200600_302600_NS6detail15normal_iteratorINS8_10device_ptrIfEEEENSA_INSB_IiEEEEZNS1_13binary_searchIS3_S5_SD_SD_SF_NS1_21upper_bound_search_opENS9_16wrapped_functionINS0_4lessIvEEbEEEE10hipError_tPvRmT1_T2_T3_mmT4_T5_P12ihipStream_tbEUlRKfE_EESM_SQ_SR_mSS_SV_bEUlT_E_NS1_11comp_targetILNS1_3genE0ELNS1_11target_archE4294967295ELNS1_3gpuE0ELNS1_3repE0EEENS1_30default_config_static_selectorELNS0_4arch9wavefront6targetE1EEEvSP_,comdat
	.protected	_ZN7rocprim17ROCPRIM_400000_NS6detail17trampoline_kernelINS0_14default_configENS1_27upper_bound_config_selectorIfiEEZNS1_14transform_implILb0ES3_S5_N6thrust23THRUST_200600_302600_NS6detail15normal_iteratorINS8_10device_ptrIfEEEENSA_INSB_IiEEEEZNS1_13binary_searchIS3_S5_SD_SD_SF_NS1_21upper_bound_search_opENS9_16wrapped_functionINS0_4lessIvEEbEEEE10hipError_tPvRmT1_T2_T3_mmT4_T5_P12ihipStream_tbEUlRKfE_EESM_SQ_SR_mSS_SV_bEUlT_E_NS1_11comp_targetILNS1_3genE0ELNS1_11target_archE4294967295ELNS1_3gpuE0ELNS1_3repE0EEENS1_30default_config_static_selectorELNS0_4arch9wavefront6targetE1EEEvSP_ ; -- Begin function _ZN7rocprim17ROCPRIM_400000_NS6detail17trampoline_kernelINS0_14default_configENS1_27upper_bound_config_selectorIfiEEZNS1_14transform_implILb0ES3_S5_N6thrust23THRUST_200600_302600_NS6detail15normal_iteratorINS8_10device_ptrIfEEEENSA_INSB_IiEEEEZNS1_13binary_searchIS3_S5_SD_SD_SF_NS1_21upper_bound_search_opENS9_16wrapped_functionINS0_4lessIvEEbEEEE10hipError_tPvRmT1_T2_T3_mmT4_T5_P12ihipStream_tbEUlRKfE_EESM_SQ_SR_mSS_SV_bEUlT_E_NS1_11comp_targetILNS1_3genE0ELNS1_11target_archE4294967295ELNS1_3gpuE0ELNS1_3repE0EEENS1_30default_config_static_selectorELNS0_4arch9wavefront6targetE1EEEvSP_
	.globl	_ZN7rocprim17ROCPRIM_400000_NS6detail17trampoline_kernelINS0_14default_configENS1_27upper_bound_config_selectorIfiEEZNS1_14transform_implILb0ES3_S5_N6thrust23THRUST_200600_302600_NS6detail15normal_iteratorINS8_10device_ptrIfEEEENSA_INSB_IiEEEEZNS1_13binary_searchIS3_S5_SD_SD_SF_NS1_21upper_bound_search_opENS9_16wrapped_functionINS0_4lessIvEEbEEEE10hipError_tPvRmT1_T2_T3_mmT4_T5_P12ihipStream_tbEUlRKfE_EESM_SQ_SR_mSS_SV_bEUlT_E_NS1_11comp_targetILNS1_3genE0ELNS1_11target_archE4294967295ELNS1_3gpuE0ELNS1_3repE0EEENS1_30default_config_static_selectorELNS0_4arch9wavefront6targetE1EEEvSP_
	.p2align	8
	.type	_ZN7rocprim17ROCPRIM_400000_NS6detail17trampoline_kernelINS0_14default_configENS1_27upper_bound_config_selectorIfiEEZNS1_14transform_implILb0ES3_S5_N6thrust23THRUST_200600_302600_NS6detail15normal_iteratorINS8_10device_ptrIfEEEENSA_INSB_IiEEEEZNS1_13binary_searchIS3_S5_SD_SD_SF_NS1_21upper_bound_search_opENS9_16wrapped_functionINS0_4lessIvEEbEEEE10hipError_tPvRmT1_T2_T3_mmT4_T5_P12ihipStream_tbEUlRKfE_EESM_SQ_SR_mSS_SV_bEUlT_E_NS1_11comp_targetILNS1_3genE0ELNS1_11target_archE4294967295ELNS1_3gpuE0ELNS1_3repE0EEENS1_30default_config_static_selectorELNS0_4arch9wavefront6targetE1EEEvSP_,@function
_ZN7rocprim17ROCPRIM_400000_NS6detail17trampoline_kernelINS0_14default_configENS1_27upper_bound_config_selectorIfiEEZNS1_14transform_implILb0ES3_S5_N6thrust23THRUST_200600_302600_NS6detail15normal_iteratorINS8_10device_ptrIfEEEENSA_INSB_IiEEEEZNS1_13binary_searchIS3_S5_SD_SD_SF_NS1_21upper_bound_search_opENS9_16wrapped_functionINS0_4lessIvEEbEEEE10hipError_tPvRmT1_T2_T3_mmT4_T5_P12ihipStream_tbEUlRKfE_EESM_SQ_SR_mSS_SV_bEUlT_E_NS1_11comp_targetILNS1_3genE0ELNS1_11target_archE4294967295ELNS1_3gpuE0ELNS1_3repE0EEENS1_30default_config_static_selectorELNS0_4arch9wavefront6targetE1EEEvSP_: ; @_ZN7rocprim17ROCPRIM_400000_NS6detail17trampoline_kernelINS0_14default_configENS1_27upper_bound_config_selectorIfiEEZNS1_14transform_implILb0ES3_S5_N6thrust23THRUST_200600_302600_NS6detail15normal_iteratorINS8_10device_ptrIfEEEENSA_INSB_IiEEEEZNS1_13binary_searchIS3_S5_SD_SD_SF_NS1_21upper_bound_search_opENS9_16wrapped_functionINS0_4lessIvEEbEEEE10hipError_tPvRmT1_T2_T3_mmT4_T5_P12ihipStream_tbEUlRKfE_EESM_SQ_SR_mSS_SV_bEUlT_E_NS1_11comp_targetILNS1_3genE0ELNS1_11target_archE4294967295ELNS1_3gpuE0ELNS1_3repE0EEENS1_30default_config_static_selectorELNS0_4arch9wavefront6targetE1EEEvSP_
; %bb.0:
	.section	.rodata,"a",@progbits
	.p2align	6, 0x0
	.amdhsa_kernel _ZN7rocprim17ROCPRIM_400000_NS6detail17trampoline_kernelINS0_14default_configENS1_27upper_bound_config_selectorIfiEEZNS1_14transform_implILb0ES3_S5_N6thrust23THRUST_200600_302600_NS6detail15normal_iteratorINS8_10device_ptrIfEEEENSA_INSB_IiEEEEZNS1_13binary_searchIS3_S5_SD_SD_SF_NS1_21upper_bound_search_opENS9_16wrapped_functionINS0_4lessIvEEbEEEE10hipError_tPvRmT1_T2_T3_mmT4_T5_P12ihipStream_tbEUlRKfE_EESM_SQ_SR_mSS_SV_bEUlT_E_NS1_11comp_targetILNS1_3genE0ELNS1_11target_archE4294967295ELNS1_3gpuE0ELNS1_3repE0EEENS1_30default_config_static_selectorELNS0_4arch9wavefront6targetE1EEEvSP_
		.amdhsa_group_segment_fixed_size 0
		.amdhsa_private_segment_fixed_size 0
		.amdhsa_kernarg_size 56
		.amdhsa_user_sgpr_count 6
		.amdhsa_user_sgpr_private_segment_buffer 1
		.amdhsa_user_sgpr_dispatch_ptr 0
		.amdhsa_user_sgpr_queue_ptr 0
		.amdhsa_user_sgpr_kernarg_segment_ptr 1
		.amdhsa_user_sgpr_dispatch_id 0
		.amdhsa_user_sgpr_flat_scratch_init 0
		.amdhsa_user_sgpr_kernarg_preload_length 0
		.amdhsa_user_sgpr_kernarg_preload_offset 0
		.amdhsa_user_sgpr_private_segment_size 0
		.amdhsa_uses_dynamic_stack 0
		.amdhsa_system_sgpr_private_segment_wavefront_offset 0
		.amdhsa_system_sgpr_workgroup_id_x 1
		.amdhsa_system_sgpr_workgroup_id_y 0
		.amdhsa_system_sgpr_workgroup_id_z 0
		.amdhsa_system_sgpr_workgroup_info 0
		.amdhsa_system_vgpr_workitem_id 0
		.amdhsa_next_free_vgpr 1
		.amdhsa_next_free_sgpr 0
		.amdhsa_accum_offset 4
		.amdhsa_reserve_vcc 0
		.amdhsa_reserve_flat_scratch 0
		.amdhsa_float_round_mode_32 0
		.amdhsa_float_round_mode_16_64 0
		.amdhsa_float_denorm_mode_32 3
		.amdhsa_float_denorm_mode_16_64 3
		.amdhsa_dx10_clamp 1
		.amdhsa_ieee_mode 1
		.amdhsa_fp16_overflow 0
		.amdhsa_tg_split 0
		.amdhsa_exception_fp_ieee_invalid_op 0
		.amdhsa_exception_fp_denorm_src 0
		.amdhsa_exception_fp_ieee_div_zero 0
		.amdhsa_exception_fp_ieee_overflow 0
		.amdhsa_exception_fp_ieee_underflow 0
		.amdhsa_exception_fp_ieee_inexact 0
		.amdhsa_exception_int_div_zero 0
	.end_amdhsa_kernel
	.section	.text._ZN7rocprim17ROCPRIM_400000_NS6detail17trampoline_kernelINS0_14default_configENS1_27upper_bound_config_selectorIfiEEZNS1_14transform_implILb0ES3_S5_N6thrust23THRUST_200600_302600_NS6detail15normal_iteratorINS8_10device_ptrIfEEEENSA_INSB_IiEEEEZNS1_13binary_searchIS3_S5_SD_SD_SF_NS1_21upper_bound_search_opENS9_16wrapped_functionINS0_4lessIvEEbEEEE10hipError_tPvRmT1_T2_T3_mmT4_T5_P12ihipStream_tbEUlRKfE_EESM_SQ_SR_mSS_SV_bEUlT_E_NS1_11comp_targetILNS1_3genE0ELNS1_11target_archE4294967295ELNS1_3gpuE0ELNS1_3repE0EEENS1_30default_config_static_selectorELNS0_4arch9wavefront6targetE1EEEvSP_,"axG",@progbits,_ZN7rocprim17ROCPRIM_400000_NS6detail17trampoline_kernelINS0_14default_configENS1_27upper_bound_config_selectorIfiEEZNS1_14transform_implILb0ES3_S5_N6thrust23THRUST_200600_302600_NS6detail15normal_iteratorINS8_10device_ptrIfEEEENSA_INSB_IiEEEEZNS1_13binary_searchIS3_S5_SD_SD_SF_NS1_21upper_bound_search_opENS9_16wrapped_functionINS0_4lessIvEEbEEEE10hipError_tPvRmT1_T2_T3_mmT4_T5_P12ihipStream_tbEUlRKfE_EESM_SQ_SR_mSS_SV_bEUlT_E_NS1_11comp_targetILNS1_3genE0ELNS1_11target_archE4294967295ELNS1_3gpuE0ELNS1_3repE0EEENS1_30default_config_static_selectorELNS0_4arch9wavefront6targetE1EEEvSP_,comdat
.Lfunc_end339:
	.size	_ZN7rocprim17ROCPRIM_400000_NS6detail17trampoline_kernelINS0_14default_configENS1_27upper_bound_config_selectorIfiEEZNS1_14transform_implILb0ES3_S5_N6thrust23THRUST_200600_302600_NS6detail15normal_iteratorINS8_10device_ptrIfEEEENSA_INSB_IiEEEEZNS1_13binary_searchIS3_S5_SD_SD_SF_NS1_21upper_bound_search_opENS9_16wrapped_functionINS0_4lessIvEEbEEEE10hipError_tPvRmT1_T2_T3_mmT4_T5_P12ihipStream_tbEUlRKfE_EESM_SQ_SR_mSS_SV_bEUlT_E_NS1_11comp_targetILNS1_3genE0ELNS1_11target_archE4294967295ELNS1_3gpuE0ELNS1_3repE0EEENS1_30default_config_static_selectorELNS0_4arch9wavefront6targetE1EEEvSP_, .Lfunc_end339-_ZN7rocprim17ROCPRIM_400000_NS6detail17trampoline_kernelINS0_14default_configENS1_27upper_bound_config_selectorIfiEEZNS1_14transform_implILb0ES3_S5_N6thrust23THRUST_200600_302600_NS6detail15normal_iteratorINS8_10device_ptrIfEEEENSA_INSB_IiEEEEZNS1_13binary_searchIS3_S5_SD_SD_SF_NS1_21upper_bound_search_opENS9_16wrapped_functionINS0_4lessIvEEbEEEE10hipError_tPvRmT1_T2_T3_mmT4_T5_P12ihipStream_tbEUlRKfE_EESM_SQ_SR_mSS_SV_bEUlT_E_NS1_11comp_targetILNS1_3genE0ELNS1_11target_archE4294967295ELNS1_3gpuE0ELNS1_3repE0EEENS1_30default_config_static_selectorELNS0_4arch9wavefront6targetE1EEEvSP_
                                        ; -- End function
	.section	.AMDGPU.csdata,"",@progbits
; Kernel info:
; codeLenInByte = 0
; NumSgprs: 4
; NumVgprs: 0
; NumAgprs: 0
; TotalNumVgprs: 0
; ScratchSize: 0
; MemoryBound: 0
; FloatMode: 240
; IeeeMode: 1
; LDSByteSize: 0 bytes/workgroup (compile time only)
; SGPRBlocks: 0
; VGPRBlocks: 0
; NumSGPRsForWavesPerEU: 4
; NumVGPRsForWavesPerEU: 1
; AccumOffset: 4
; Occupancy: 8
; WaveLimiterHint : 0
; COMPUTE_PGM_RSRC2:SCRATCH_EN: 0
; COMPUTE_PGM_RSRC2:USER_SGPR: 6
; COMPUTE_PGM_RSRC2:TRAP_HANDLER: 0
; COMPUTE_PGM_RSRC2:TGID_X_EN: 1
; COMPUTE_PGM_RSRC2:TGID_Y_EN: 0
; COMPUTE_PGM_RSRC2:TGID_Z_EN: 0
; COMPUTE_PGM_RSRC2:TIDIG_COMP_CNT: 0
; COMPUTE_PGM_RSRC3_GFX90A:ACCUM_OFFSET: 0
; COMPUTE_PGM_RSRC3_GFX90A:TG_SPLIT: 0
	.section	.text._ZN7rocprim17ROCPRIM_400000_NS6detail17trampoline_kernelINS0_14default_configENS1_27upper_bound_config_selectorIfiEEZNS1_14transform_implILb0ES3_S5_N6thrust23THRUST_200600_302600_NS6detail15normal_iteratorINS8_10device_ptrIfEEEENSA_INSB_IiEEEEZNS1_13binary_searchIS3_S5_SD_SD_SF_NS1_21upper_bound_search_opENS9_16wrapped_functionINS0_4lessIvEEbEEEE10hipError_tPvRmT1_T2_T3_mmT4_T5_P12ihipStream_tbEUlRKfE_EESM_SQ_SR_mSS_SV_bEUlT_E_NS1_11comp_targetILNS1_3genE5ELNS1_11target_archE942ELNS1_3gpuE9ELNS1_3repE0EEENS1_30default_config_static_selectorELNS0_4arch9wavefront6targetE1EEEvSP_,"axG",@progbits,_ZN7rocprim17ROCPRIM_400000_NS6detail17trampoline_kernelINS0_14default_configENS1_27upper_bound_config_selectorIfiEEZNS1_14transform_implILb0ES3_S5_N6thrust23THRUST_200600_302600_NS6detail15normal_iteratorINS8_10device_ptrIfEEEENSA_INSB_IiEEEEZNS1_13binary_searchIS3_S5_SD_SD_SF_NS1_21upper_bound_search_opENS9_16wrapped_functionINS0_4lessIvEEbEEEE10hipError_tPvRmT1_T2_T3_mmT4_T5_P12ihipStream_tbEUlRKfE_EESM_SQ_SR_mSS_SV_bEUlT_E_NS1_11comp_targetILNS1_3genE5ELNS1_11target_archE942ELNS1_3gpuE9ELNS1_3repE0EEENS1_30default_config_static_selectorELNS0_4arch9wavefront6targetE1EEEvSP_,comdat
	.protected	_ZN7rocprim17ROCPRIM_400000_NS6detail17trampoline_kernelINS0_14default_configENS1_27upper_bound_config_selectorIfiEEZNS1_14transform_implILb0ES3_S5_N6thrust23THRUST_200600_302600_NS6detail15normal_iteratorINS8_10device_ptrIfEEEENSA_INSB_IiEEEEZNS1_13binary_searchIS3_S5_SD_SD_SF_NS1_21upper_bound_search_opENS9_16wrapped_functionINS0_4lessIvEEbEEEE10hipError_tPvRmT1_T2_T3_mmT4_T5_P12ihipStream_tbEUlRKfE_EESM_SQ_SR_mSS_SV_bEUlT_E_NS1_11comp_targetILNS1_3genE5ELNS1_11target_archE942ELNS1_3gpuE9ELNS1_3repE0EEENS1_30default_config_static_selectorELNS0_4arch9wavefront6targetE1EEEvSP_ ; -- Begin function _ZN7rocprim17ROCPRIM_400000_NS6detail17trampoline_kernelINS0_14default_configENS1_27upper_bound_config_selectorIfiEEZNS1_14transform_implILb0ES3_S5_N6thrust23THRUST_200600_302600_NS6detail15normal_iteratorINS8_10device_ptrIfEEEENSA_INSB_IiEEEEZNS1_13binary_searchIS3_S5_SD_SD_SF_NS1_21upper_bound_search_opENS9_16wrapped_functionINS0_4lessIvEEbEEEE10hipError_tPvRmT1_T2_T3_mmT4_T5_P12ihipStream_tbEUlRKfE_EESM_SQ_SR_mSS_SV_bEUlT_E_NS1_11comp_targetILNS1_3genE5ELNS1_11target_archE942ELNS1_3gpuE9ELNS1_3repE0EEENS1_30default_config_static_selectorELNS0_4arch9wavefront6targetE1EEEvSP_
	.globl	_ZN7rocprim17ROCPRIM_400000_NS6detail17trampoline_kernelINS0_14default_configENS1_27upper_bound_config_selectorIfiEEZNS1_14transform_implILb0ES3_S5_N6thrust23THRUST_200600_302600_NS6detail15normal_iteratorINS8_10device_ptrIfEEEENSA_INSB_IiEEEEZNS1_13binary_searchIS3_S5_SD_SD_SF_NS1_21upper_bound_search_opENS9_16wrapped_functionINS0_4lessIvEEbEEEE10hipError_tPvRmT1_T2_T3_mmT4_T5_P12ihipStream_tbEUlRKfE_EESM_SQ_SR_mSS_SV_bEUlT_E_NS1_11comp_targetILNS1_3genE5ELNS1_11target_archE942ELNS1_3gpuE9ELNS1_3repE0EEENS1_30default_config_static_selectorELNS0_4arch9wavefront6targetE1EEEvSP_
	.p2align	8
	.type	_ZN7rocprim17ROCPRIM_400000_NS6detail17trampoline_kernelINS0_14default_configENS1_27upper_bound_config_selectorIfiEEZNS1_14transform_implILb0ES3_S5_N6thrust23THRUST_200600_302600_NS6detail15normal_iteratorINS8_10device_ptrIfEEEENSA_INSB_IiEEEEZNS1_13binary_searchIS3_S5_SD_SD_SF_NS1_21upper_bound_search_opENS9_16wrapped_functionINS0_4lessIvEEbEEEE10hipError_tPvRmT1_T2_T3_mmT4_T5_P12ihipStream_tbEUlRKfE_EESM_SQ_SR_mSS_SV_bEUlT_E_NS1_11comp_targetILNS1_3genE5ELNS1_11target_archE942ELNS1_3gpuE9ELNS1_3repE0EEENS1_30default_config_static_selectorELNS0_4arch9wavefront6targetE1EEEvSP_,@function
_ZN7rocprim17ROCPRIM_400000_NS6detail17trampoline_kernelINS0_14default_configENS1_27upper_bound_config_selectorIfiEEZNS1_14transform_implILb0ES3_S5_N6thrust23THRUST_200600_302600_NS6detail15normal_iteratorINS8_10device_ptrIfEEEENSA_INSB_IiEEEEZNS1_13binary_searchIS3_S5_SD_SD_SF_NS1_21upper_bound_search_opENS9_16wrapped_functionINS0_4lessIvEEbEEEE10hipError_tPvRmT1_T2_T3_mmT4_T5_P12ihipStream_tbEUlRKfE_EESM_SQ_SR_mSS_SV_bEUlT_E_NS1_11comp_targetILNS1_3genE5ELNS1_11target_archE942ELNS1_3gpuE9ELNS1_3repE0EEENS1_30default_config_static_selectorELNS0_4arch9wavefront6targetE1EEEvSP_: ; @_ZN7rocprim17ROCPRIM_400000_NS6detail17trampoline_kernelINS0_14default_configENS1_27upper_bound_config_selectorIfiEEZNS1_14transform_implILb0ES3_S5_N6thrust23THRUST_200600_302600_NS6detail15normal_iteratorINS8_10device_ptrIfEEEENSA_INSB_IiEEEEZNS1_13binary_searchIS3_S5_SD_SD_SF_NS1_21upper_bound_search_opENS9_16wrapped_functionINS0_4lessIvEEbEEEE10hipError_tPvRmT1_T2_T3_mmT4_T5_P12ihipStream_tbEUlRKfE_EESM_SQ_SR_mSS_SV_bEUlT_E_NS1_11comp_targetILNS1_3genE5ELNS1_11target_archE942ELNS1_3gpuE9ELNS1_3repE0EEENS1_30default_config_static_selectorELNS0_4arch9wavefront6targetE1EEEvSP_
; %bb.0:
	.section	.rodata,"a",@progbits
	.p2align	6, 0x0
	.amdhsa_kernel _ZN7rocprim17ROCPRIM_400000_NS6detail17trampoline_kernelINS0_14default_configENS1_27upper_bound_config_selectorIfiEEZNS1_14transform_implILb0ES3_S5_N6thrust23THRUST_200600_302600_NS6detail15normal_iteratorINS8_10device_ptrIfEEEENSA_INSB_IiEEEEZNS1_13binary_searchIS3_S5_SD_SD_SF_NS1_21upper_bound_search_opENS9_16wrapped_functionINS0_4lessIvEEbEEEE10hipError_tPvRmT1_T2_T3_mmT4_T5_P12ihipStream_tbEUlRKfE_EESM_SQ_SR_mSS_SV_bEUlT_E_NS1_11comp_targetILNS1_3genE5ELNS1_11target_archE942ELNS1_3gpuE9ELNS1_3repE0EEENS1_30default_config_static_selectorELNS0_4arch9wavefront6targetE1EEEvSP_
		.amdhsa_group_segment_fixed_size 0
		.amdhsa_private_segment_fixed_size 0
		.amdhsa_kernarg_size 56
		.amdhsa_user_sgpr_count 6
		.amdhsa_user_sgpr_private_segment_buffer 1
		.amdhsa_user_sgpr_dispatch_ptr 0
		.amdhsa_user_sgpr_queue_ptr 0
		.amdhsa_user_sgpr_kernarg_segment_ptr 1
		.amdhsa_user_sgpr_dispatch_id 0
		.amdhsa_user_sgpr_flat_scratch_init 0
		.amdhsa_user_sgpr_kernarg_preload_length 0
		.amdhsa_user_sgpr_kernarg_preload_offset 0
		.amdhsa_user_sgpr_private_segment_size 0
		.amdhsa_uses_dynamic_stack 0
		.amdhsa_system_sgpr_private_segment_wavefront_offset 0
		.amdhsa_system_sgpr_workgroup_id_x 1
		.amdhsa_system_sgpr_workgroup_id_y 0
		.amdhsa_system_sgpr_workgroup_id_z 0
		.amdhsa_system_sgpr_workgroup_info 0
		.amdhsa_system_vgpr_workitem_id 0
		.amdhsa_next_free_vgpr 1
		.amdhsa_next_free_sgpr 0
		.amdhsa_accum_offset 4
		.amdhsa_reserve_vcc 0
		.amdhsa_reserve_flat_scratch 0
		.amdhsa_float_round_mode_32 0
		.amdhsa_float_round_mode_16_64 0
		.amdhsa_float_denorm_mode_32 3
		.amdhsa_float_denorm_mode_16_64 3
		.amdhsa_dx10_clamp 1
		.amdhsa_ieee_mode 1
		.amdhsa_fp16_overflow 0
		.amdhsa_tg_split 0
		.amdhsa_exception_fp_ieee_invalid_op 0
		.amdhsa_exception_fp_denorm_src 0
		.amdhsa_exception_fp_ieee_div_zero 0
		.amdhsa_exception_fp_ieee_overflow 0
		.amdhsa_exception_fp_ieee_underflow 0
		.amdhsa_exception_fp_ieee_inexact 0
		.amdhsa_exception_int_div_zero 0
	.end_amdhsa_kernel
	.section	.text._ZN7rocprim17ROCPRIM_400000_NS6detail17trampoline_kernelINS0_14default_configENS1_27upper_bound_config_selectorIfiEEZNS1_14transform_implILb0ES3_S5_N6thrust23THRUST_200600_302600_NS6detail15normal_iteratorINS8_10device_ptrIfEEEENSA_INSB_IiEEEEZNS1_13binary_searchIS3_S5_SD_SD_SF_NS1_21upper_bound_search_opENS9_16wrapped_functionINS0_4lessIvEEbEEEE10hipError_tPvRmT1_T2_T3_mmT4_T5_P12ihipStream_tbEUlRKfE_EESM_SQ_SR_mSS_SV_bEUlT_E_NS1_11comp_targetILNS1_3genE5ELNS1_11target_archE942ELNS1_3gpuE9ELNS1_3repE0EEENS1_30default_config_static_selectorELNS0_4arch9wavefront6targetE1EEEvSP_,"axG",@progbits,_ZN7rocprim17ROCPRIM_400000_NS6detail17trampoline_kernelINS0_14default_configENS1_27upper_bound_config_selectorIfiEEZNS1_14transform_implILb0ES3_S5_N6thrust23THRUST_200600_302600_NS6detail15normal_iteratorINS8_10device_ptrIfEEEENSA_INSB_IiEEEEZNS1_13binary_searchIS3_S5_SD_SD_SF_NS1_21upper_bound_search_opENS9_16wrapped_functionINS0_4lessIvEEbEEEE10hipError_tPvRmT1_T2_T3_mmT4_T5_P12ihipStream_tbEUlRKfE_EESM_SQ_SR_mSS_SV_bEUlT_E_NS1_11comp_targetILNS1_3genE5ELNS1_11target_archE942ELNS1_3gpuE9ELNS1_3repE0EEENS1_30default_config_static_selectorELNS0_4arch9wavefront6targetE1EEEvSP_,comdat
.Lfunc_end340:
	.size	_ZN7rocprim17ROCPRIM_400000_NS6detail17trampoline_kernelINS0_14default_configENS1_27upper_bound_config_selectorIfiEEZNS1_14transform_implILb0ES3_S5_N6thrust23THRUST_200600_302600_NS6detail15normal_iteratorINS8_10device_ptrIfEEEENSA_INSB_IiEEEEZNS1_13binary_searchIS3_S5_SD_SD_SF_NS1_21upper_bound_search_opENS9_16wrapped_functionINS0_4lessIvEEbEEEE10hipError_tPvRmT1_T2_T3_mmT4_T5_P12ihipStream_tbEUlRKfE_EESM_SQ_SR_mSS_SV_bEUlT_E_NS1_11comp_targetILNS1_3genE5ELNS1_11target_archE942ELNS1_3gpuE9ELNS1_3repE0EEENS1_30default_config_static_selectorELNS0_4arch9wavefront6targetE1EEEvSP_, .Lfunc_end340-_ZN7rocprim17ROCPRIM_400000_NS6detail17trampoline_kernelINS0_14default_configENS1_27upper_bound_config_selectorIfiEEZNS1_14transform_implILb0ES3_S5_N6thrust23THRUST_200600_302600_NS6detail15normal_iteratorINS8_10device_ptrIfEEEENSA_INSB_IiEEEEZNS1_13binary_searchIS3_S5_SD_SD_SF_NS1_21upper_bound_search_opENS9_16wrapped_functionINS0_4lessIvEEbEEEE10hipError_tPvRmT1_T2_T3_mmT4_T5_P12ihipStream_tbEUlRKfE_EESM_SQ_SR_mSS_SV_bEUlT_E_NS1_11comp_targetILNS1_3genE5ELNS1_11target_archE942ELNS1_3gpuE9ELNS1_3repE0EEENS1_30default_config_static_selectorELNS0_4arch9wavefront6targetE1EEEvSP_
                                        ; -- End function
	.section	.AMDGPU.csdata,"",@progbits
; Kernel info:
; codeLenInByte = 0
; NumSgprs: 4
; NumVgprs: 0
; NumAgprs: 0
; TotalNumVgprs: 0
; ScratchSize: 0
; MemoryBound: 0
; FloatMode: 240
; IeeeMode: 1
; LDSByteSize: 0 bytes/workgroup (compile time only)
; SGPRBlocks: 0
; VGPRBlocks: 0
; NumSGPRsForWavesPerEU: 4
; NumVGPRsForWavesPerEU: 1
; AccumOffset: 4
; Occupancy: 8
; WaveLimiterHint : 0
; COMPUTE_PGM_RSRC2:SCRATCH_EN: 0
; COMPUTE_PGM_RSRC2:USER_SGPR: 6
; COMPUTE_PGM_RSRC2:TRAP_HANDLER: 0
; COMPUTE_PGM_RSRC2:TGID_X_EN: 1
; COMPUTE_PGM_RSRC2:TGID_Y_EN: 0
; COMPUTE_PGM_RSRC2:TGID_Z_EN: 0
; COMPUTE_PGM_RSRC2:TIDIG_COMP_CNT: 0
; COMPUTE_PGM_RSRC3_GFX90A:ACCUM_OFFSET: 0
; COMPUTE_PGM_RSRC3_GFX90A:TG_SPLIT: 0
	.section	.text._ZN7rocprim17ROCPRIM_400000_NS6detail17trampoline_kernelINS0_14default_configENS1_27upper_bound_config_selectorIfiEEZNS1_14transform_implILb0ES3_S5_N6thrust23THRUST_200600_302600_NS6detail15normal_iteratorINS8_10device_ptrIfEEEENSA_INSB_IiEEEEZNS1_13binary_searchIS3_S5_SD_SD_SF_NS1_21upper_bound_search_opENS9_16wrapped_functionINS0_4lessIvEEbEEEE10hipError_tPvRmT1_T2_T3_mmT4_T5_P12ihipStream_tbEUlRKfE_EESM_SQ_SR_mSS_SV_bEUlT_E_NS1_11comp_targetILNS1_3genE4ELNS1_11target_archE910ELNS1_3gpuE8ELNS1_3repE0EEENS1_30default_config_static_selectorELNS0_4arch9wavefront6targetE1EEEvSP_,"axG",@progbits,_ZN7rocprim17ROCPRIM_400000_NS6detail17trampoline_kernelINS0_14default_configENS1_27upper_bound_config_selectorIfiEEZNS1_14transform_implILb0ES3_S5_N6thrust23THRUST_200600_302600_NS6detail15normal_iteratorINS8_10device_ptrIfEEEENSA_INSB_IiEEEEZNS1_13binary_searchIS3_S5_SD_SD_SF_NS1_21upper_bound_search_opENS9_16wrapped_functionINS0_4lessIvEEbEEEE10hipError_tPvRmT1_T2_T3_mmT4_T5_P12ihipStream_tbEUlRKfE_EESM_SQ_SR_mSS_SV_bEUlT_E_NS1_11comp_targetILNS1_3genE4ELNS1_11target_archE910ELNS1_3gpuE8ELNS1_3repE0EEENS1_30default_config_static_selectorELNS0_4arch9wavefront6targetE1EEEvSP_,comdat
	.protected	_ZN7rocprim17ROCPRIM_400000_NS6detail17trampoline_kernelINS0_14default_configENS1_27upper_bound_config_selectorIfiEEZNS1_14transform_implILb0ES3_S5_N6thrust23THRUST_200600_302600_NS6detail15normal_iteratorINS8_10device_ptrIfEEEENSA_INSB_IiEEEEZNS1_13binary_searchIS3_S5_SD_SD_SF_NS1_21upper_bound_search_opENS9_16wrapped_functionINS0_4lessIvEEbEEEE10hipError_tPvRmT1_T2_T3_mmT4_T5_P12ihipStream_tbEUlRKfE_EESM_SQ_SR_mSS_SV_bEUlT_E_NS1_11comp_targetILNS1_3genE4ELNS1_11target_archE910ELNS1_3gpuE8ELNS1_3repE0EEENS1_30default_config_static_selectorELNS0_4arch9wavefront6targetE1EEEvSP_ ; -- Begin function _ZN7rocprim17ROCPRIM_400000_NS6detail17trampoline_kernelINS0_14default_configENS1_27upper_bound_config_selectorIfiEEZNS1_14transform_implILb0ES3_S5_N6thrust23THRUST_200600_302600_NS6detail15normal_iteratorINS8_10device_ptrIfEEEENSA_INSB_IiEEEEZNS1_13binary_searchIS3_S5_SD_SD_SF_NS1_21upper_bound_search_opENS9_16wrapped_functionINS0_4lessIvEEbEEEE10hipError_tPvRmT1_T2_T3_mmT4_T5_P12ihipStream_tbEUlRKfE_EESM_SQ_SR_mSS_SV_bEUlT_E_NS1_11comp_targetILNS1_3genE4ELNS1_11target_archE910ELNS1_3gpuE8ELNS1_3repE0EEENS1_30default_config_static_selectorELNS0_4arch9wavefront6targetE1EEEvSP_
	.globl	_ZN7rocprim17ROCPRIM_400000_NS6detail17trampoline_kernelINS0_14default_configENS1_27upper_bound_config_selectorIfiEEZNS1_14transform_implILb0ES3_S5_N6thrust23THRUST_200600_302600_NS6detail15normal_iteratorINS8_10device_ptrIfEEEENSA_INSB_IiEEEEZNS1_13binary_searchIS3_S5_SD_SD_SF_NS1_21upper_bound_search_opENS9_16wrapped_functionINS0_4lessIvEEbEEEE10hipError_tPvRmT1_T2_T3_mmT4_T5_P12ihipStream_tbEUlRKfE_EESM_SQ_SR_mSS_SV_bEUlT_E_NS1_11comp_targetILNS1_3genE4ELNS1_11target_archE910ELNS1_3gpuE8ELNS1_3repE0EEENS1_30default_config_static_selectorELNS0_4arch9wavefront6targetE1EEEvSP_
	.p2align	8
	.type	_ZN7rocprim17ROCPRIM_400000_NS6detail17trampoline_kernelINS0_14default_configENS1_27upper_bound_config_selectorIfiEEZNS1_14transform_implILb0ES3_S5_N6thrust23THRUST_200600_302600_NS6detail15normal_iteratorINS8_10device_ptrIfEEEENSA_INSB_IiEEEEZNS1_13binary_searchIS3_S5_SD_SD_SF_NS1_21upper_bound_search_opENS9_16wrapped_functionINS0_4lessIvEEbEEEE10hipError_tPvRmT1_T2_T3_mmT4_T5_P12ihipStream_tbEUlRKfE_EESM_SQ_SR_mSS_SV_bEUlT_E_NS1_11comp_targetILNS1_3genE4ELNS1_11target_archE910ELNS1_3gpuE8ELNS1_3repE0EEENS1_30default_config_static_selectorELNS0_4arch9wavefront6targetE1EEEvSP_,@function
_ZN7rocprim17ROCPRIM_400000_NS6detail17trampoline_kernelINS0_14default_configENS1_27upper_bound_config_selectorIfiEEZNS1_14transform_implILb0ES3_S5_N6thrust23THRUST_200600_302600_NS6detail15normal_iteratorINS8_10device_ptrIfEEEENSA_INSB_IiEEEEZNS1_13binary_searchIS3_S5_SD_SD_SF_NS1_21upper_bound_search_opENS9_16wrapped_functionINS0_4lessIvEEbEEEE10hipError_tPvRmT1_T2_T3_mmT4_T5_P12ihipStream_tbEUlRKfE_EESM_SQ_SR_mSS_SV_bEUlT_E_NS1_11comp_targetILNS1_3genE4ELNS1_11target_archE910ELNS1_3gpuE8ELNS1_3repE0EEENS1_30default_config_static_selectorELNS0_4arch9wavefront6targetE1EEEvSP_: ; @_ZN7rocprim17ROCPRIM_400000_NS6detail17trampoline_kernelINS0_14default_configENS1_27upper_bound_config_selectorIfiEEZNS1_14transform_implILb0ES3_S5_N6thrust23THRUST_200600_302600_NS6detail15normal_iteratorINS8_10device_ptrIfEEEENSA_INSB_IiEEEEZNS1_13binary_searchIS3_S5_SD_SD_SF_NS1_21upper_bound_search_opENS9_16wrapped_functionINS0_4lessIvEEbEEEE10hipError_tPvRmT1_T2_T3_mmT4_T5_P12ihipStream_tbEUlRKfE_EESM_SQ_SR_mSS_SV_bEUlT_E_NS1_11comp_targetILNS1_3genE4ELNS1_11target_archE910ELNS1_3gpuE8ELNS1_3repE0EEENS1_30default_config_static_selectorELNS0_4arch9wavefront6targetE1EEEvSP_
; %bb.0:
	s_load_dwordx4 s[12:15], s[4:5], 0x0
	s_load_dwordx4 s[0:3], s[4:5], 0x18
	s_load_dwordx2 s[10:11], s[4:5], 0x28
	s_load_dword s16, s[4:5], 0x38
	s_waitcnt lgkmcnt(0)
	s_lshl_b64 s[8:9], s[14:15], 2
	s_add_u32 s7, s12, s8
	s_addc_u32 s14, s13, s9
	s_add_u32 s12, s0, s8
	s_addc_u32 s13, s1, s9
	s_lshl_b32 s8, s6, 8
	s_add_i32 s16, s16, -1
	s_mov_b32 s9, 0
	s_cmp_lg_u32 s6, s16
	s_mov_b64 s[0:1], -1
	s_cbranch_scc0 .LBB341_6
; %bb.1:
	v_mov_b32_e32 v2, 0
	s_cmp_eq_u64 s[10:11], 0
	s_mov_b64 s[0:1], 0
	s_cbranch_scc1 .LBB341_5
; %bb.2:
	s_lshl_b64 s[16:17], s[8:9], 2
	s_add_u32 s6, s7, s16
	s_addc_u32 s15, s14, s17
	v_lshlrev_b32_e32 v1, 2, v0
	v_mov_b32_e32 v3, s15
	v_add_co_u32_e32 v2, vcc, s6, v1
	v_addc_co_u32_e32 v3, vcc, 0, v3, vcc
	flat_load_dword v1, v[2:3]
	v_pk_mov_b32 v[2:3], 0, 0
	v_pk_mov_b32 v[4:5], s[10:11], s[10:11] op_sel:[0,1]
	v_mov_b32_e32 v6, s3
.LBB341_3:                              ; =>This Inner Loop Header: Depth=1
	v_sub_co_u32_e32 v8, vcc, v4, v2
	v_subb_co_u32_e32 v9, vcc, v5, v3, vcc
	v_lshrrev_b64 v[10:11], 1, v[8:9]
	v_add_co_u32_e32 v7, vcc, v10, v2
	v_lshrrev_b64 v[8:9], 6, v[8:9]
	v_addc_co_u32_e32 v10, vcc, v11, v3, vcc
	v_add_co_u32_e32 v8, vcc, v7, v8
	v_addc_co_u32_e32 v9, vcc, v10, v9, vcc
	v_lshlrev_b64 v[10:11], 2, v[8:9]
	v_add_co_u32_e32 v10, vcc, s2, v10
	v_addc_co_u32_e32 v11, vcc, v6, v11, vcc
	global_load_dword v7, v[10:11], off
	v_add_co_u32_e32 v10, vcc, 1, v8
	v_addc_co_u32_e32 v11, vcc, 0, v9, vcc
	s_waitcnt vmcnt(0) lgkmcnt(0)
	v_cmp_gt_f32_e32 vcc, v7, v1
	v_cndmask_b32_e32 v5, v5, v9, vcc
	v_cndmask_b32_e32 v4, v4, v8, vcc
	v_cndmask_b32_e32 v3, v11, v3, vcc
	v_cndmask_b32_e32 v2, v10, v2, vcc
	v_cmp_ge_u64_e32 vcc, v[2:3], v[4:5]
	s_or_b64 s[0:1], vcc, s[0:1]
	s_andn2_b64 exec, exec, s[0:1]
	s_cbranch_execnz .LBB341_3
; %bb.4:
	s_or_b64 exec, exec, s[0:1]
.LBB341_5:
	s_lshl_b64 s[0:1], s[8:9], 2
	s_add_u32 s0, s12, s0
	s_addc_u32 s1, s13, s1
	v_lshlrev_b32_e32 v1, 2, v0
	v_mov_b32_e32 v3, s1
	v_add_co_u32_e32 v4, vcc, s0, v1
	v_addc_co_u32_e32 v5, vcc, 0, v3, vcc
	s_mov_b64 s[0:1], 0
	flat_store_dword v[4:5], v2
.LBB341_6:
	s_and_b64 vcc, exec, s[0:1]
	s_cbranch_vccz .LBB341_11
; %bb.7:
	s_load_dword s0, s[4:5], 0x10
                                        ; implicit-def: $vgpr1
	s_waitcnt lgkmcnt(0)
	s_sub_i32 s0, s0, s8
	v_cmp_gt_u32_e32 vcc, s0, v0
	s_and_saveexec_b64 s[4:5], vcc
	s_cbranch_execnz .LBB341_12
; %bb.8:
	s_or_b64 exec, exec, s[4:5]
                                        ; implicit-def: $vgpr2
	s_and_saveexec_b64 s[4:5], vcc
	s_cbranch_execnz .LBB341_13
.LBB341_9:
	s_or_b64 exec, exec, s[4:5]
	s_and_saveexec_b64 s[0:1], vcc
	s_cbranch_execz .LBB341_11
.LBB341_10:
	s_lshl_b64 s[0:1], s[8:9], 2
	s_add_u32 s0, s12, s0
	s_addc_u32 s1, s13, s1
	v_lshlrev_b32_e32 v0, 2, v0
	s_waitcnt vmcnt(0) lgkmcnt(0)
	v_mov_b32_e32 v1, s1
	v_add_co_u32_e32 v0, vcc, s0, v0
	v_addc_co_u32_e32 v1, vcc, 0, v1, vcc
	flat_store_dword v[0:1], v2
.LBB341_11:
	s_endpgm
.LBB341_12:
	s_lshl_b64 s[0:1], s[8:9], 2
	s_add_u32 s0, s7, s0
	s_addc_u32 s1, s14, s1
	v_lshlrev_b32_e32 v1, 2, v0
	v_mov_b32_e32 v3, s1
	v_add_co_u32_e64 v2, s[0:1], s0, v1
	v_addc_co_u32_e64 v3, s[0:1], 0, v3, s[0:1]
	flat_load_dword v1, v[2:3]
	s_or_b64 exec, exec, s[4:5]
                                        ; implicit-def: $vgpr2
	s_and_saveexec_b64 s[4:5], vcc
	s_cbranch_execz .LBB341_9
.LBB341_13:
	s_cmp_eq_u64 s[10:11], 0
	s_mov_b64 s[6:7], 0
	s_cbranch_scc1 .LBB341_17
; %bb.14:
	v_pk_mov_b32 v[2:3], 0, 0
	v_pk_mov_b32 v[4:5], s[10:11], s[10:11] op_sel:[0,1]
	v_mov_b32_e32 v6, s3
.LBB341_15:                             ; =>This Inner Loop Header: Depth=1
	v_sub_co_u32_e64 v8, s[0:1], v4, v2
	v_subb_co_u32_e64 v9, s[0:1], v5, v3, s[0:1]
	v_lshrrev_b64 v[10:11], 1, v[8:9]
	v_add_co_u32_e64 v7, s[0:1], v10, v2
	v_lshrrev_b64 v[8:9], 6, v[8:9]
	v_addc_co_u32_e64 v10, s[0:1], v11, v3, s[0:1]
	v_add_co_u32_e64 v8, s[0:1], v7, v8
	v_addc_co_u32_e64 v9, s[0:1], v10, v9, s[0:1]
	v_lshlrev_b64 v[10:11], 2, v[8:9]
	v_add_co_u32_e64 v10, s[0:1], s2, v10
	v_addc_co_u32_e64 v11, s[0:1], v6, v11, s[0:1]
	global_load_dword v7, v[10:11], off
	v_add_co_u32_e64 v10, s[0:1], 1, v8
	v_addc_co_u32_e64 v11, s[0:1], 0, v9, s[0:1]
	s_waitcnt vmcnt(0) lgkmcnt(0)
	v_cmp_gt_f32_e64 s[0:1], v7, v1
	v_cndmask_b32_e64 v5, v5, v9, s[0:1]
	v_cndmask_b32_e64 v4, v4, v8, s[0:1]
	;; [unrolled: 1-line block ×4, first 2 shown]
	v_cmp_ge_u64_e64 s[0:1], v[2:3], v[4:5]
	s_or_b64 s[6:7], s[0:1], s[6:7]
	s_andn2_b64 exec, exec, s[6:7]
	s_cbranch_execnz .LBB341_15
; %bb.16:
	s_or_b64 exec, exec, s[6:7]
	s_or_b64 exec, exec, s[4:5]
	s_and_saveexec_b64 s[0:1], vcc
	s_cbranch_execnz .LBB341_10
	s_branch .LBB341_11
.LBB341_17:
	v_mov_b32_e32 v2, 0
	s_or_b64 exec, exec, s[4:5]
	s_and_saveexec_b64 s[0:1], vcc
	s_cbranch_execnz .LBB341_10
	s_branch .LBB341_11
	.section	.rodata,"a",@progbits
	.p2align	6, 0x0
	.amdhsa_kernel _ZN7rocprim17ROCPRIM_400000_NS6detail17trampoline_kernelINS0_14default_configENS1_27upper_bound_config_selectorIfiEEZNS1_14transform_implILb0ES3_S5_N6thrust23THRUST_200600_302600_NS6detail15normal_iteratorINS8_10device_ptrIfEEEENSA_INSB_IiEEEEZNS1_13binary_searchIS3_S5_SD_SD_SF_NS1_21upper_bound_search_opENS9_16wrapped_functionINS0_4lessIvEEbEEEE10hipError_tPvRmT1_T2_T3_mmT4_T5_P12ihipStream_tbEUlRKfE_EESM_SQ_SR_mSS_SV_bEUlT_E_NS1_11comp_targetILNS1_3genE4ELNS1_11target_archE910ELNS1_3gpuE8ELNS1_3repE0EEENS1_30default_config_static_selectorELNS0_4arch9wavefront6targetE1EEEvSP_
		.amdhsa_group_segment_fixed_size 0
		.amdhsa_private_segment_fixed_size 0
		.amdhsa_kernarg_size 312
		.amdhsa_user_sgpr_count 6
		.amdhsa_user_sgpr_private_segment_buffer 1
		.amdhsa_user_sgpr_dispatch_ptr 0
		.amdhsa_user_sgpr_queue_ptr 0
		.amdhsa_user_sgpr_kernarg_segment_ptr 1
		.amdhsa_user_sgpr_dispatch_id 0
		.amdhsa_user_sgpr_flat_scratch_init 0
		.amdhsa_user_sgpr_kernarg_preload_length 0
		.amdhsa_user_sgpr_kernarg_preload_offset 0
		.amdhsa_user_sgpr_private_segment_size 0
		.amdhsa_uses_dynamic_stack 0
		.amdhsa_system_sgpr_private_segment_wavefront_offset 0
		.amdhsa_system_sgpr_workgroup_id_x 1
		.amdhsa_system_sgpr_workgroup_id_y 0
		.amdhsa_system_sgpr_workgroup_id_z 0
		.amdhsa_system_sgpr_workgroup_info 0
		.amdhsa_system_vgpr_workitem_id 0
		.amdhsa_next_free_vgpr 12
		.amdhsa_next_free_sgpr 18
		.amdhsa_accum_offset 12
		.amdhsa_reserve_vcc 1
		.amdhsa_reserve_flat_scratch 0
		.amdhsa_float_round_mode_32 0
		.amdhsa_float_round_mode_16_64 0
		.amdhsa_float_denorm_mode_32 3
		.amdhsa_float_denorm_mode_16_64 3
		.amdhsa_dx10_clamp 1
		.amdhsa_ieee_mode 1
		.amdhsa_fp16_overflow 0
		.amdhsa_tg_split 0
		.amdhsa_exception_fp_ieee_invalid_op 0
		.amdhsa_exception_fp_denorm_src 0
		.amdhsa_exception_fp_ieee_div_zero 0
		.amdhsa_exception_fp_ieee_overflow 0
		.amdhsa_exception_fp_ieee_underflow 0
		.amdhsa_exception_fp_ieee_inexact 0
		.amdhsa_exception_int_div_zero 0
	.end_amdhsa_kernel
	.section	.text._ZN7rocprim17ROCPRIM_400000_NS6detail17trampoline_kernelINS0_14default_configENS1_27upper_bound_config_selectorIfiEEZNS1_14transform_implILb0ES3_S5_N6thrust23THRUST_200600_302600_NS6detail15normal_iteratorINS8_10device_ptrIfEEEENSA_INSB_IiEEEEZNS1_13binary_searchIS3_S5_SD_SD_SF_NS1_21upper_bound_search_opENS9_16wrapped_functionINS0_4lessIvEEbEEEE10hipError_tPvRmT1_T2_T3_mmT4_T5_P12ihipStream_tbEUlRKfE_EESM_SQ_SR_mSS_SV_bEUlT_E_NS1_11comp_targetILNS1_3genE4ELNS1_11target_archE910ELNS1_3gpuE8ELNS1_3repE0EEENS1_30default_config_static_selectorELNS0_4arch9wavefront6targetE1EEEvSP_,"axG",@progbits,_ZN7rocprim17ROCPRIM_400000_NS6detail17trampoline_kernelINS0_14default_configENS1_27upper_bound_config_selectorIfiEEZNS1_14transform_implILb0ES3_S5_N6thrust23THRUST_200600_302600_NS6detail15normal_iteratorINS8_10device_ptrIfEEEENSA_INSB_IiEEEEZNS1_13binary_searchIS3_S5_SD_SD_SF_NS1_21upper_bound_search_opENS9_16wrapped_functionINS0_4lessIvEEbEEEE10hipError_tPvRmT1_T2_T3_mmT4_T5_P12ihipStream_tbEUlRKfE_EESM_SQ_SR_mSS_SV_bEUlT_E_NS1_11comp_targetILNS1_3genE4ELNS1_11target_archE910ELNS1_3gpuE8ELNS1_3repE0EEENS1_30default_config_static_selectorELNS0_4arch9wavefront6targetE1EEEvSP_,comdat
.Lfunc_end341:
	.size	_ZN7rocprim17ROCPRIM_400000_NS6detail17trampoline_kernelINS0_14default_configENS1_27upper_bound_config_selectorIfiEEZNS1_14transform_implILb0ES3_S5_N6thrust23THRUST_200600_302600_NS6detail15normal_iteratorINS8_10device_ptrIfEEEENSA_INSB_IiEEEEZNS1_13binary_searchIS3_S5_SD_SD_SF_NS1_21upper_bound_search_opENS9_16wrapped_functionINS0_4lessIvEEbEEEE10hipError_tPvRmT1_T2_T3_mmT4_T5_P12ihipStream_tbEUlRKfE_EESM_SQ_SR_mSS_SV_bEUlT_E_NS1_11comp_targetILNS1_3genE4ELNS1_11target_archE910ELNS1_3gpuE8ELNS1_3repE0EEENS1_30default_config_static_selectorELNS0_4arch9wavefront6targetE1EEEvSP_, .Lfunc_end341-_ZN7rocprim17ROCPRIM_400000_NS6detail17trampoline_kernelINS0_14default_configENS1_27upper_bound_config_selectorIfiEEZNS1_14transform_implILb0ES3_S5_N6thrust23THRUST_200600_302600_NS6detail15normal_iteratorINS8_10device_ptrIfEEEENSA_INSB_IiEEEEZNS1_13binary_searchIS3_S5_SD_SD_SF_NS1_21upper_bound_search_opENS9_16wrapped_functionINS0_4lessIvEEbEEEE10hipError_tPvRmT1_T2_T3_mmT4_T5_P12ihipStream_tbEUlRKfE_EESM_SQ_SR_mSS_SV_bEUlT_E_NS1_11comp_targetILNS1_3genE4ELNS1_11target_archE910ELNS1_3gpuE8ELNS1_3repE0EEENS1_30default_config_static_selectorELNS0_4arch9wavefront6targetE1EEEvSP_
                                        ; -- End function
	.section	.AMDGPU.csdata,"",@progbits
; Kernel info:
; codeLenInByte = 716
; NumSgprs: 22
; NumVgprs: 12
; NumAgprs: 0
; TotalNumVgprs: 12
; ScratchSize: 0
; MemoryBound: 0
; FloatMode: 240
; IeeeMode: 1
; LDSByteSize: 0 bytes/workgroup (compile time only)
; SGPRBlocks: 2
; VGPRBlocks: 1
; NumSGPRsForWavesPerEU: 22
; NumVGPRsForWavesPerEU: 12
; AccumOffset: 12
; Occupancy: 8
; WaveLimiterHint : 0
; COMPUTE_PGM_RSRC2:SCRATCH_EN: 0
; COMPUTE_PGM_RSRC2:USER_SGPR: 6
; COMPUTE_PGM_RSRC2:TRAP_HANDLER: 0
; COMPUTE_PGM_RSRC2:TGID_X_EN: 1
; COMPUTE_PGM_RSRC2:TGID_Y_EN: 0
; COMPUTE_PGM_RSRC2:TGID_Z_EN: 0
; COMPUTE_PGM_RSRC2:TIDIG_COMP_CNT: 0
; COMPUTE_PGM_RSRC3_GFX90A:ACCUM_OFFSET: 2
; COMPUTE_PGM_RSRC3_GFX90A:TG_SPLIT: 0
	.section	.text._ZN7rocprim17ROCPRIM_400000_NS6detail17trampoline_kernelINS0_14default_configENS1_27upper_bound_config_selectorIfiEEZNS1_14transform_implILb0ES3_S5_N6thrust23THRUST_200600_302600_NS6detail15normal_iteratorINS8_10device_ptrIfEEEENSA_INSB_IiEEEEZNS1_13binary_searchIS3_S5_SD_SD_SF_NS1_21upper_bound_search_opENS9_16wrapped_functionINS0_4lessIvEEbEEEE10hipError_tPvRmT1_T2_T3_mmT4_T5_P12ihipStream_tbEUlRKfE_EESM_SQ_SR_mSS_SV_bEUlT_E_NS1_11comp_targetILNS1_3genE3ELNS1_11target_archE908ELNS1_3gpuE7ELNS1_3repE0EEENS1_30default_config_static_selectorELNS0_4arch9wavefront6targetE1EEEvSP_,"axG",@progbits,_ZN7rocprim17ROCPRIM_400000_NS6detail17trampoline_kernelINS0_14default_configENS1_27upper_bound_config_selectorIfiEEZNS1_14transform_implILb0ES3_S5_N6thrust23THRUST_200600_302600_NS6detail15normal_iteratorINS8_10device_ptrIfEEEENSA_INSB_IiEEEEZNS1_13binary_searchIS3_S5_SD_SD_SF_NS1_21upper_bound_search_opENS9_16wrapped_functionINS0_4lessIvEEbEEEE10hipError_tPvRmT1_T2_T3_mmT4_T5_P12ihipStream_tbEUlRKfE_EESM_SQ_SR_mSS_SV_bEUlT_E_NS1_11comp_targetILNS1_3genE3ELNS1_11target_archE908ELNS1_3gpuE7ELNS1_3repE0EEENS1_30default_config_static_selectorELNS0_4arch9wavefront6targetE1EEEvSP_,comdat
	.protected	_ZN7rocprim17ROCPRIM_400000_NS6detail17trampoline_kernelINS0_14default_configENS1_27upper_bound_config_selectorIfiEEZNS1_14transform_implILb0ES3_S5_N6thrust23THRUST_200600_302600_NS6detail15normal_iteratorINS8_10device_ptrIfEEEENSA_INSB_IiEEEEZNS1_13binary_searchIS3_S5_SD_SD_SF_NS1_21upper_bound_search_opENS9_16wrapped_functionINS0_4lessIvEEbEEEE10hipError_tPvRmT1_T2_T3_mmT4_T5_P12ihipStream_tbEUlRKfE_EESM_SQ_SR_mSS_SV_bEUlT_E_NS1_11comp_targetILNS1_3genE3ELNS1_11target_archE908ELNS1_3gpuE7ELNS1_3repE0EEENS1_30default_config_static_selectorELNS0_4arch9wavefront6targetE1EEEvSP_ ; -- Begin function _ZN7rocprim17ROCPRIM_400000_NS6detail17trampoline_kernelINS0_14default_configENS1_27upper_bound_config_selectorIfiEEZNS1_14transform_implILb0ES3_S5_N6thrust23THRUST_200600_302600_NS6detail15normal_iteratorINS8_10device_ptrIfEEEENSA_INSB_IiEEEEZNS1_13binary_searchIS3_S5_SD_SD_SF_NS1_21upper_bound_search_opENS9_16wrapped_functionINS0_4lessIvEEbEEEE10hipError_tPvRmT1_T2_T3_mmT4_T5_P12ihipStream_tbEUlRKfE_EESM_SQ_SR_mSS_SV_bEUlT_E_NS1_11comp_targetILNS1_3genE3ELNS1_11target_archE908ELNS1_3gpuE7ELNS1_3repE0EEENS1_30default_config_static_selectorELNS0_4arch9wavefront6targetE1EEEvSP_
	.globl	_ZN7rocprim17ROCPRIM_400000_NS6detail17trampoline_kernelINS0_14default_configENS1_27upper_bound_config_selectorIfiEEZNS1_14transform_implILb0ES3_S5_N6thrust23THRUST_200600_302600_NS6detail15normal_iteratorINS8_10device_ptrIfEEEENSA_INSB_IiEEEEZNS1_13binary_searchIS3_S5_SD_SD_SF_NS1_21upper_bound_search_opENS9_16wrapped_functionINS0_4lessIvEEbEEEE10hipError_tPvRmT1_T2_T3_mmT4_T5_P12ihipStream_tbEUlRKfE_EESM_SQ_SR_mSS_SV_bEUlT_E_NS1_11comp_targetILNS1_3genE3ELNS1_11target_archE908ELNS1_3gpuE7ELNS1_3repE0EEENS1_30default_config_static_selectorELNS0_4arch9wavefront6targetE1EEEvSP_
	.p2align	8
	.type	_ZN7rocprim17ROCPRIM_400000_NS6detail17trampoline_kernelINS0_14default_configENS1_27upper_bound_config_selectorIfiEEZNS1_14transform_implILb0ES3_S5_N6thrust23THRUST_200600_302600_NS6detail15normal_iteratorINS8_10device_ptrIfEEEENSA_INSB_IiEEEEZNS1_13binary_searchIS3_S5_SD_SD_SF_NS1_21upper_bound_search_opENS9_16wrapped_functionINS0_4lessIvEEbEEEE10hipError_tPvRmT1_T2_T3_mmT4_T5_P12ihipStream_tbEUlRKfE_EESM_SQ_SR_mSS_SV_bEUlT_E_NS1_11comp_targetILNS1_3genE3ELNS1_11target_archE908ELNS1_3gpuE7ELNS1_3repE0EEENS1_30default_config_static_selectorELNS0_4arch9wavefront6targetE1EEEvSP_,@function
_ZN7rocprim17ROCPRIM_400000_NS6detail17trampoline_kernelINS0_14default_configENS1_27upper_bound_config_selectorIfiEEZNS1_14transform_implILb0ES3_S5_N6thrust23THRUST_200600_302600_NS6detail15normal_iteratorINS8_10device_ptrIfEEEENSA_INSB_IiEEEEZNS1_13binary_searchIS3_S5_SD_SD_SF_NS1_21upper_bound_search_opENS9_16wrapped_functionINS0_4lessIvEEbEEEE10hipError_tPvRmT1_T2_T3_mmT4_T5_P12ihipStream_tbEUlRKfE_EESM_SQ_SR_mSS_SV_bEUlT_E_NS1_11comp_targetILNS1_3genE3ELNS1_11target_archE908ELNS1_3gpuE7ELNS1_3repE0EEENS1_30default_config_static_selectorELNS0_4arch9wavefront6targetE1EEEvSP_: ; @_ZN7rocprim17ROCPRIM_400000_NS6detail17trampoline_kernelINS0_14default_configENS1_27upper_bound_config_selectorIfiEEZNS1_14transform_implILb0ES3_S5_N6thrust23THRUST_200600_302600_NS6detail15normal_iteratorINS8_10device_ptrIfEEEENSA_INSB_IiEEEEZNS1_13binary_searchIS3_S5_SD_SD_SF_NS1_21upper_bound_search_opENS9_16wrapped_functionINS0_4lessIvEEbEEEE10hipError_tPvRmT1_T2_T3_mmT4_T5_P12ihipStream_tbEUlRKfE_EESM_SQ_SR_mSS_SV_bEUlT_E_NS1_11comp_targetILNS1_3genE3ELNS1_11target_archE908ELNS1_3gpuE7ELNS1_3repE0EEENS1_30default_config_static_selectorELNS0_4arch9wavefront6targetE1EEEvSP_
; %bb.0:
	.section	.rodata,"a",@progbits
	.p2align	6, 0x0
	.amdhsa_kernel _ZN7rocprim17ROCPRIM_400000_NS6detail17trampoline_kernelINS0_14default_configENS1_27upper_bound_config_selectorIfiEEZNS1_14transform_implILb0ES3_S5_N6thrust23THRUST_200600_302600_NS6detail15normal_iteratorINS8_10device_ptrIfEEEENSA_INSB_IiEEEEZNS1_13binary_searchIS3_S5_SD_SD_SF_NS1_21upper_bound_search_opENS9_16wrapped_functionINS0_4lessIvEEbEEEE10hipError_tPvRmT1_T2_T3_mmT4_T5_P12ihipStream_tbEUlRKfE_EESM_SQ_SR_mSS_SV_bEUlT_E_NS1_11comp_targetILNS1_3genE3ELNS1_11target_archE908ELNS1_3gpuE7ELNS1_3repE0EEENS1_30default_config_static_selectorELNS0_4arch9wavefront6targetE1EEEvSP_
		.amdhsa_group_segment_fixed_size 0
		.amdhsa_private_segment_fixed_size 0
		.amdhsa_kernarg_size 56
		.amdhsa_user_sgpr_count 6
		.amdhsa_user_sgpr_private_segment_buffer 1
		.amdhsa_user_sgpr_dispatch_ptr 0
		.amdhsa_user_sgpr_queue_ptr 0
		.amdhsa_user_sgpr_kernarg_segment_ptr 1
		.amdhsa_user_sgpr_dispatch_id 0
		.amdhsa_user_sgpr_flat_scratch_init 0
		.amdhsa_user_sgpr_kernarg_preload_length 0
		.amdhsa_user_sgpr_kernarg_preload_offset 0
		.amdhsa_user_sgpr_private_segment_size 0
		.amdhsa_uses_dynamic_stack 0
		.amdhsa_system_sgpr_private_segment_wavefront_offset 0
		.amdhsa_system_sgpr_workgroup_id_x 1
		.amdhsa_system_sgpr_workgroup_id_y 0
		.amdhsa_system_sgpr_workgroup_id_z 0
		.amdhsa_system_sgpr_workgroup_info 0
		.amdhsa_system_vgpr_workitem_id 0
		.amdhsa_next_free_vgpr 1
		.amdhsa_next_free_sgpr 0
		.amdhsa_accum_offset 4
		.amdhsa_reserve_vcc 0
		.amdhsa_reserve_flat_scratch 0
		.amdhsa_float_round_mode_32 0
		.amdhsa_float_round_mode_16_64 0
		.amdhsa_float_denorm_mode_32 3
		.amdhsa_float_denorm_mode_16_64 3
		.amdhsa_dx10_clamp 1
		.amdhsa_ieee_mode 1
		.amdhsa_fp16_overflow 0
		.amdhsa_tg_split 0
		.amdhsa_exception_fp_ieee_invalid_op 0
		.amdhsa_exception_fp_denorm_src 0
		.amdhsa_exception_fp_ieee_div_zero 0
		.amdhsa_exception_fp_ieee_overflow 0
		.amdhsa_exception_fp_ieee_underflow 0
		.amdhsa_exception_fp_ieee_inexact 0
		.amdhsa_exception_int_div_zero 0
	.end_amdhsa_kernel
	.section	.text._ZN7rocprim17ROCPRIM_400000_NS6detail17trampoline_kernelINS0_14default_configENS1_27upper_bound_config_selectorIfiEEZNS1_14transform_implILb0ES3_S5_N6thrust23THRUST_200600_302600_NS6detail15normal_iteratorINS8_10device_ptrIfEEEENSA_INSB_IiEEEEZNS1_13binary_searchIS3_S5_SD_SD_SF_NS1_21upper_bound_search_opENS9_16wrapped_functionINS0_4lessIvEEbEEEE10hipError_tPvRmT1_T2_T3_mmT4_T5_P12ihipStream_tbEUlRKfE_EESM_SQ_SR_mSS_SV_bEUlT_E_NS1_11comp_targetILNS1_3genE3ELNS1_11target_archE908ELNS1_3gpuE7ELNS1_3repE0EEENS1_30default_config_static_selectorELNS0_4arch9wavefront6targetE1EEEvSP_,"axG",@progbits,_ZN7rocprim17ROCPRIM_400000_NS6detail17trampoline_kernelINS0_14default_configENS1_27upper_bound_config_selectorIfiEEZNS1_14transform_implILb0ES3_S5_N6thrust23THRUST_200600_302600_NS6detail15normal_iteratorINS8_10device_ptrIfEEEENSA_INSB_IiEEEEZNS1_13binary_searchIS3_S5_SD_SD_SF_NS1_21upper_bound_search_opENS9_16wrapped_functionINS0_4lessIvEEbEEEE10hipError_tPvRmT1_T2_T3_mmT4_T5_P12ihipStream_tbEUlRKfE_EESM_SQ_SR_mSS_SV_bEUlT_E_NS1_11comp_targetILNS1_3genE3ELNS1_11target_archE908ELNS1_3gpuE7ELNS1_3repE0EEENS1_30default_config_static_selectorELNS0_4arch9wavefront6targetE1EEEvSP_,comdat
.Lfunc_end342:
	.size	_ZN7rocprim17ROCPRIM_400000_NS6detail17trampoline_kernelINS0_14default_configENS1_27upper_bound_config_selectorIfiEEZNS1_14transform_implILb0ES3_S5_N6thrust23THRUST_200600_302600_NS6detail15normal_iteratorINS8_10device_ptrIfEEEENSA_INSB_IiEEEEZNS1_13binary_searchIS3_S5_SD_SD_SF_NS1_21upper_bound_search_opENS9_16wrapped_functionINS0_4lessIvEEbEEEE10hipError_tPvRmT1_T2_T3_mmT4_T5_P12ihipStream_tbEUlRKfE_EESM_SQ_SR_mSS_SV_bEUlT_E_NS1_11comp_targetILNS1_3genE3ELNS1_11target_archE908ELNS1_3gpuE7ELNS1_3repE0EEENS1_30default_config_static_selectorELNS0_4arch9wavefront6targetE1EEEvSP_, .Lfunc_end342-_ZN7rocprim17ROCPRIM_400000_NS6detail17trampoline_kernelINS0_14default_configENS1_27upper_bound_config_selectorIfiEEZNS1_14transform_implILb0ES3_S5_N6thrust23THRUST_200600_302600_NS6detail15normal_iteratorINS8_10device_ptrIfEEEENSA_INSB_IiEEEEZNS1_13binary_searchIS3_S5_SD_SD_SF_NS1_21upper_bound_search_opENS9_16wrapped_functionINS0_4lessIvEEbEEEE10hipError_tPvRmT1_T2_T3_mmT4_T5_P12ihipStream_tbEUlRKfE_EESM_SQ_SR_mSS_SV_bEUlT_E_NS1_11comp_targetILNS1_3genE3ELNS1_11target_archE908ELNS1_3gpuE7ELNS1_3repE0EEENS1_30default_config_static_selectorELNS0_4arch9wavefront6targetE1EEEvSP_
                                        ; -- End function
	.section	.AMDGPU.csdata,"",@progbits
; Kernel info:
; codeLenInByte = 0
; NumSgprs: 4
; NumVgprs: 0
; NumAgprs: 0
; TotalNumVgprs: 0
; ScratchSize: 0
; MemoryBound: 0
; FloatMode: 240
; IeeeMode: 1
; LDSByteSize: 0 bytes/workgroup (compile time only)
; SGPRBlocks: 0
; VGPRBlocks: 0
; NumSGPRsForWavesPerEU: 4
; NumVGPRsForWavesPerEU: 1
; AccumOffset: 4
; Occupancy: 8
; WaveLimiterHint : 0
; COMPUTE_PGM_RSRC2:SCRATCH_EN: 0
; COMPUTE_PGM_RSRC2:USER_SGPR: 6
; COMPUTE_PGM_RSRC2:TRAP_HANDLER: 0
; COMPUTE_PGM_RSRC2:TGID_X_EN: 1
; COMPUTE_PGM_RSRC2:TGID_Y_EN: 0
; COMPUTE_PGM_RSRC2:TGID_Z_EN: 0
; COMPUTE_PGM_RSRC2:TIDIG_COMP_CNT: 0
; COMPUTE_PGM_RSRC3_GFX90A:ACCUM_OFFSET: 0
; COMPUTE_PGM_RSRC3_GFX90A:TG_SPLIT: 0
	.section	.text._ZN7rocprim17ROCPRIM_400000_NS6detail17trampoline_kernelINS0_14default_configENS1_27upper_bound_config_selectorIfiEEZNS1_14transform_implILb0ES3_S5_N6thrust23THRUST_200600_302600_NS6detail15normal_iteratorINS8_10device_ptrIfEEEENSA_INSB_IiEEEEZNS1_13binary_searchIS3_S5_SD_SD_SF_NS1_21upper_bound_search_opENS9_16wrapped_functionINS0_4lessIvEEbEEEE10hipError_tPvRmT1_T2_T3_mmT4_T5_P12ihipStream_tbEUlRKfE_EESM_SQ_SR_mSS_SV_bEUlT_E_NS1_11comp_targetILNS1_3genE2ELNS1_11target_archE906ELNS1_3gpuE6ELNS1_3repE0EEENS1_30default_config_static_selectorELNS0_4arch9wavefront6targetE1EEEvSP_,"axG",@progbits,_ZN7rocprim17ROCPRIM_400000_NS6detail17trampoline_kernelINS0_14default_configENS1_27upper_bound_config_selectorIfiEEZNS1_14transform_implILb0ES3_S5_N6thrust23THRUST_200600_302600_NS6detail15normal_iteratorINS8_10device_ptrIfEEEENSA_INSB_IiEEEEZNS1_13binary_searchIS3_S5_SD_SD_SF_NS1_21upper_bound_search_opENS9_16wrapped_functionINS0_4lessIvEEbEEEE10hipError_tPvRmT1_T2_T3_mmT4_T5_P12ihipStream_tbEUlRKfE_EESM_SQ_SR_mSS_SV_bEUlT_E_NS1_11comp_targetILNS1_3genE2ELNS1_11target_archE906ELNS1_3gpuE6ELNS1_3repE0EEENS1_30default_config_static_selectorELNS0_4arch9wavefront6targetE1EEEvSP_,comdat
	.protected	_ZN7rocprim17ROCPRIM_400000_NS6detail17trampoline_kernelINS0_14default_configENS1_27upper_bound_config_selectorIfiEEZNS1_14transform_implILb0ES3_S5_N6thrust23THRUST_200600_302600_NS6detail15normal_iteratorINS8_10device_ptrIfEEEENSA_INSB_IiEEEEZNS1_13binary_searchIS3_S5_SD_SD_SF_NS1_21upper_bound_search_opENS9_16wrapped_functionINS0_4lessIvEEbEEEE10hipError_tPvRmT1_T2_T3_mmT4_T5_P12ihipStream_tbEUlRKfE_EESM_SQ_SR_mSS_SV_bEUlT_E_NS1_11comp_targetILNS1_3genE2ELNS1_11target_archE906ELNS1_3gpuE6ELNS1_3repE0EEENS1_30default_config_static_selectorELNS0_4arch9wavefront6targetE1EEEvSP_ ; -- Begin function _ZN7rocprim17ROCPRIM_400000_NS6detail17trampoline_kernelINS0_14default_configENS1_27upper_bound_config_selectorIfiEEZNS1_14transform_implILb0ES3_S5_N6thrust23THRUST_200600_302600_NS6detail15normal_iteratorINS8_10device_ptrIfEEEENSA_INSB_IiEEEEZNS1_13binary_searchIS3_S5_SD_SD_SF_NS1_21upper_bound_search_opENS9_16wrapped_functionINS0_4lessIvEEbEEEE10hipError_tPvRmT1_T2_T3_mmT4_T5_P12ihipStream_tbEUlRKfE_EESM_SQ_SR_mSS_SV_bEUlT_E_NS1_11comp_targetILNS1_3genE2ELNS1_11target_archE906ELNS1_3gpuE6ELNS1_3repE0EEENS1_30default_config_static_selectorELNS0_4arch9wavefront6targetE1EEEvSP_
	.globl	_ZN7rocprim17ROCPRIM_400000_NS6detail17trampoline_kernelINS0_14default_configENS1_27upper_bound_config_selectorIfiEEZNS1_14transform_implILb0ES3_S5_N6thrust23THRUST_200600_302600_NS6detail15normal_iteratorINS8_10device_ptrIfEEEENSA_INSB_IiEEEEZNS1_13binary_searchIS3_S5_SD_SD_SF_NS1_21upper_bound_search_opENS9_16wrapped_functionINS0_4lessIvEEbEEEE10hipError_tPvRmT1_T2_T3_mmT4_T5_P12ihipStream_tbEUlRKfE_EESM_SQ_SR_mSS_SV_bEUlT_E_NS1_11comp_targetILNS1_3genE2ELNS1_11target_archE906ELNS1_3gpuE6ELNS1_3repE0EEENS1_30default_config_static_selectorELNS0_4arch9wavefront6targetE1EEEvSP_
	.p2align	8
	.type	_ZN7rocprim17ROCPRIM_400000_NS6detail17trampoline_kernelINS0_14default_configENS1_27upper_bound_config_selectorIfiEEZNS1_14transform_implILb0ES3_S5_N6thrust23THRUST_200600_302600_NS6detail15normal_iteratorINS8_10device_ptrIfEEEENSA_INSB_IiEEEEZNS1_13binary_searchIS3_S5_SD_SD_SF_NS1_21upper_bound_search_opENS9_16wrapped_functionINS0_4lessIvEEbEEEE10hipError_tPvRmT1_T2_T3_mmT4_T5_P12ihipStream_tbEUlRKfE_EESM_SQ_SR_mSS_SV_bEUlT_E_NS1_11comp_targetILNS1_3genE2ELNS1_11target_archE906ELNS1_3gpuE6ELNS1_3repE0EEENS1_30default_config_static_selectorELNS0_4arch9wavefront6targetE1EEEvSP_,@function
_ZN7rocprim17ROCPRIM_400000_NS6detail17trampoline_kernelINS0_14default_configENS1_27upper_bound_config_selectorIfiEEZNS1_14transform_implILb0ES3_S5_N6thrust23THRUST_200600_302600_NS6detail15normal_iteratorINS8_10device_ptrIfEEEENSA_INSB_IiEEEEZNS1_13binary_searchIS3_S5_SD_SD_SF_NS1_21upper_bound_search_opENS9_16wrapped_functionINS0_4lessIvEEbEEEE10hipError_tPvRmT1_T2_T3_mmT4_T5_P12ihipStream_tbEUlRKfE_EESM_SQ_SR_mSS_SV_bEUlT_E_NS1_11comp_targetILNS1_3genE2ELNS1_11target_archE906ELNS1_3gpuE6ELNS1_3repE0EEENS1_30default_config_static_selectorELNS0_4arch9wavefront6targetE1EEEvSP_: ; @_ZN7rocprim17ROCPRIM_400000_NS6detail17trampoline_kernelINS0_14default_configENS1_27upper_bound_config_selectorIfiEEZNS1_14transform_implILb0ES3_S5_N6thrust23THRUST_200600_302600_NS6detail15normal_iteratorINS8_10device_ptrIfEEEENSA_INSB_IiEEEEZNS1_13binary_searchIS3_S5_SD_SD_SF_NS1_21upper_bound_search_opENS9_16wrapped_functionINS0_4lessIvEEbEEEE10hipError_tPvRmT1_T2_T3_mmT4_T5_P12ihipStream_tbEUlRKfE_EESM_SQ_SR_mSS_SV_bEUlT_E_NS1_11comp_targetILNS1_3genE2ELNS1_11target_archE906ELNS1_3gpuE6ELNS1_3repE0EEENS1_30default_config_static_selectorELNS0_4arch9wavefront6targetE1EEEvSP_
; %bb.0:
	.section	.rodata,"a",@progbits
	.p2align	6, 0x0
	.amdhsa_kernel _ZN7rocprim17ROCPRIM_400000_NS6detail17trampoline_kernelINS0_14default_configENS1_27upper_bound_config_selectorIfiEEZNS1_14transform_implILb0ES3_S5_N6thrust23THRUST_200600_302600_NS6detail15normal_iteratorINS8_10device_ptrIfEEEENSA_INSB_IiEEEEZNS1_13binary_searchIS3_S5_SD_SD_SF_NS1_21upper_bound_search_opENS9_16wrapped_functionINS0_4lessIvEEbEEEE10hipError_tPvRmT1_T2_T3_mmT4_T5_P12ihipStream_tbEUlRKfE_EESM_SQ_SR_mSS_SV_bEUlT_E_NS1_11comp_targetILNS1_3genE2ELNS1_11target_archE906ELNS1_3gpuE6ELNS1_3repE0EEENS1_30default_config_static_selectorELNS0_4arch9wavefront6targetE1EEEvSP_
		.amdhsa_group_segment_fixed_size 0
		.amdhsa_private_segment_fixed_size 0
		.amdhsa_kernarg_size 56
		.amdhsa_user_sgpr_count 6
		.amdhsa_user_sgpr_private_segment_buffer 1
		.amdhsa_user_sgpr_dispatch_ptr 0
		.amdhsa_user_sgpr_queue_ptr 0
		.amdhsa_user_sgpr_kernarg_segment_ptr 1
		.amdhsa_user_sgpr_dispatch_id 0
		.amdhsa_user_sgpr_flat_scratch_init 0
		.amdhsa_user_sgpr_kernarg_preload_length 0
		.amdhsa_user_sgpr_kernarg_preload_offset 0
		.amdhsa_user_sgpr_private_segment_size 0
		.amdhsa_uses_dynamic_stack 0
		.amdhsa_system_sgpr_private_segment_wavefront_offset 0
		.amdhsa_system_sgpr_workgroup_id_x 1
		.amdhsa_system_sgpr_workgroup_id_y 0
		.amdhsa_system_sgpr_workgroup_id_z 0
		.amdhsa_system_sgpr_workgroup_info 0
		.amdhsa_system_vgpr_workitem_id 0
		.amdhsa_next_free_vgpr 1
		.amdhsa_next_free_sgpr 0
		.amdhsa_accum_offset 4
		.amdhsa_reserve_vcc 0
		.amdhsa_reserve_flat_scratch 0
		.amdhsa_float_round_mode_32 0
		.amdhsa_float_round_mode_16_64 0
		.amdhsa_float_denorm_mode_32 3
		.amdhsa_float_denorm_mode_16_64 3
		.amdhsa_dx10_clamp 1
		.amdhsa_ieee_mode 1
		.amdhsa_fp16_overflow 0
		.amdhsa_tg_split 0
		.amdhsa_exception_fp_ieee_invalid_op 0
		.amdhsa_exception_fp_denorm_src 0
		.amdhsa_exception_fp_ieee_div_zero 0
		.amdhsa_exception_fp_ieee_overflow 0
		.amdhsa_exception_fp_ieee_underflow 0
		.amdhsa_exception_fp_ieee_inexact 0
		.amdhsa_exception_int_div_zero 0
	.end_amdhsa_kernel
	.section	.text._ZN7rocprim17ROCPRIM_400000_NS6detail17trampoline_kernelINS0_14default_configENS1_27upper_bound_config_selectorIfiEEZNS1_14transform_implILb0ES3_S5_N6thrust23THRUST_200600_302600_NS6detail15normal_iteratorINS8_10device_ptrIfEEEENSA_INSB_IiEEEEZNS1_13binary_searchIS3_S5_SD_SD_SF_NS1_21upper_bound_search_opENS9_16wrapped_functionINS0_4lessIvEEbEEEE10hipError_tPvRmT1_T2_T3_mmT4_T5_P12ihipStream_tbEUlRKfE_EESM_SQ_SR_mSS_SV_bEUlT_E_NS1_11comp_targetILNS1_3genE2ELNS1_11target_archE906ELNS1_3gpuE6ELNS1_3repE0EEENS1_30default_config_static_selectorELNS0_4arch9wavefront6targetE1EEEvSP_,"axG",@progbits,_ZN7rocprim17ROCPRIM_400000_NS6detail17trampoline_kernelINS0_14default_configENS1_27upper_bound_config_selectorIfiEEZNS1_14transform_implILb0ES3_S5_N6thrust23THRUST_200600_302600_NS6detail15normal_iteratorINS8_10device_ptrIfEEEENSA_INSB_IiEEEEZNS1_13binary_searchIS3_S5_SD_SD_SF_NS1_21upper_bound_search_opENS9_16wrapped_functionINS0_4lessIvEEbEEEE10hipError_tPvRmT1_T2_T3_mmT4_T5_P12ihipStream_tbEUlRKfE_EESM_SQ_SR_mSS_SV_bEUlT_E_NS1_11comp_targetILNS1_3genE2ELNS1_11target_archE906ELNS1_3gpuE6ELNS1_3repE0EEENS1_30default_config_static_selectorELNS0_4arch9wavefront6targetE1EEEvSP_,comdat
.Lfunc_end343:
	.size	_ZN7rocprim17ROCPRIM_400000_NS6detail17trampoline_kernelINS0_14default_configENS1_27upper_bound_config_selectorIfiEEZNS1_14transform_implILb0ES3_S5_N6thrust23THRUST_200600_302600_NS6detail15normal_iteratorINS8_10device_ptrIfEEEENSA_INSB_IiEEEEZNS1_13binary_searchIS3_S5_SD_SD_SF_NS1_21upper_bound_search_opENS9_16wrapped_functionINS0_4lessIvEEbEEEE10hipError_tPvRmT1_T2_T3_mmT4_T5_P12ihipStream_tbEUlRKfE_EESM_SQ_SR_mSS_SV_bEUlT_E_NS1_11comp_targetILNS1_3genE2ELNS1_11target_archE906ELNS1_3gpuE6ELNS1_3repE0EEENS1_30default_config_static_selectorELNS0_4arch9wavefront6targetE1EEEvSP_, .Lfunc_end343-_ZN7rocprim17ROCPRIM_400000_NS6detail17trampoline_kernelINS0_14default_configENS1_27upper_bound_config_selectorIfiEEZNS1_14transform_implILb0ES3_S5_N6thrust23THRUST_200600_302600_NS6detail15normal_iteratorINS8_10device_ptrIfEEEENSA_INSB_IiEEEEZNS1_13binary_searchIS3_S5_SD_SD_SF_NS1_21upper_bound_search_opENS9_16wrapped_functionINS0_4lessIvEEbEEEE10hipError_tPvRmT1_T2_T3_mmT4_T5_P12ihipStream_tbEUlRKfE_EESM_SQ_SR_mSS_SV_bEUlT_E_NS1_11comp_targetILNS1_3genE2ELNS1_11target_archE906ELNS1_3gpuE6ELNS1_3repE0EEENS1_30default_config_static_selectorELNS0_4arch9wavefront6targetE1EEEvSP_
                                        ; -- End function
	.section	.AMDGPU.csdata,"",@progbits
; Kernel info:
; codeLenInByte = 0
; NumSgprs: 4
; NumVgprs: 0
; NumAgprs: 0
; TotalNumVgprs: 0
; ScratchSize: 0
; MemoryBound: 0
; FloatMode: 240
; IeeeMode: 1
; LDSByteSize: 0 bytes/workgroup (compile time only)
; SGPRBlocks: 0
; VGPRBlocks: 0
; NumSGPRsForWavesPerEU: 4
; NumVGPRsForWavesPerEU: 1
; AccumOffset: 4
; Occupancy: 8
; WaveLimiterHint : 0
; COMPUTE_PGM_RSRC2:SCRATCH_EN: 0
; COMPUTE_PGM_RSRC2:USER_SGPR: 6
; COMPUTE_PGM_RSRC2:TRAP_HANDLER: 0
; COMPUTE_PGM_RSRC2:TGID_X_EN: 1
; COMPUTE_PGM_RSRC2:TGID_Y_EN: 0
; COMPUTE_PGM_RSRC2:TGID_Z_EN: 0
; COMPUTE_PGM_RSRC2:TIDIG_COMP_CNT: 0
; COMPUTE_PGM_RSRC3_GFX90A:ACCUM_OFFSET: 0
; COMPUTE_PGM_RSRC3_GFX90A:TG_SPLIT: 0
	.section	.text._ZN7rocprim17ROCPRIM_400000_NS6detail17trampoline_kernelINS0_14default_configENS1_27upper_bound_config_selectorIfiEEZNS1_14transform_implILb0ES3_S5_N6thrust23THRUST_200600_302600_NS6detail15normal_iteratorINS8_10device_ptrIfEEEENSA_INSB_IiEEEEZNS1_13binary_searchIS3_S5_SD_SD_SF_NS1_21upper_bound_search_opENS9_16wrapped_functionINS0_4lessIvEEbEEEE10hipError_tPvRmT1_T2_T3_mmT4_T5_P12ihipStream_tbEUlRKfE_EESM_SQ_SR_mSS_SV_bEUlT_E_NS1_11comp_targetILNS1_3genE10ELNS1_11target_archE1201ELNS1_3gpuE5ELNS1_3repE0EEENS1_30default_config_static_selectorELNS0_4arch9wavefront6targetE1EEEvSP_,"axG",@progbits,_ZN7rocprim17ROCPRIM_400000_NS6detail17trampoline_kernelINS0_14default_configENS1_27upper_bound_config_selectorIfiEEZNS1_14transform_implILb0ES3_S5_N6thrust23THRUST_200600_302600_NS6detail15normal_iteratorINS8_10device_ptrIfEEEENSA_INSB_IiEEEEZNS1_13binary_searchIS3_S5_SD_SD_SF_NS1_21upper_bound_search_opENS9_16wrapped_functionINS0_4lessIvEEbEEEE10hipError_tPvRmT1_T2_T3_mmT4_T5_P12ihipStream_tbEUlRKfE_EESM_SQ_SR_mSS_SV_bEUlT_E_NS1_11comp_targetILNS1_3genE10ELNS1_11target_archE1201ELNS1_3gpuE5ELNS1_3repE0EEENS1_30default_config_static_selectorELNS0_4arch9wavefront6targetE1EEEvSP_,comdat
	.protected	_ZN7rocprim17ROCPRIM_400000_NS6detail17trampoline_kernelINS0_14default_configENS1_27upper_bound_config_selectorIfiEEZNS1_14transform_implILb0ES3_S5_N6thrust23THRUST_200600_302600_NS6detail15normal_iteratorINS8_10device_ptrIfEEEENSA_INSB_IiEEEEZNS1_13binary_searchIS3_S5_SD_SD_SF_NS1_21upper_bound_search_opENS9_16wrapped_functionINS0_4lessIvEEbEEEE10hipError_tPvRmT1_T2_T3_mmT4_T5_P12ihipStream_tbEUlRKfE_EESM_SQ_SR_mSS_SV_bEUlT_E_NS1_11comp_targetILNS1_3genE10ELNS1_11target_archE1201ELNS1_3gpuE5ELNS1_3repE0EEENS1_30default_config_static_selectorELNS0_4arch9wavefront6targetE1EEEvSP_ ; -- Begin function _ZN7rocprim17ROCPRIM_400000_NS6detail17trampoline_kernelINS0_14default_configENS1_27upper_bound_config_selectorIfiEEZNS1_14transform_implILb0ES3_S5_N6thrust23THRUST_200600_302600_NS6detail15normal_iteratorINS8_10device_ptrIfEEEENSA_INSB_IiEEEEZNS1_13binary_searchIS3_S5_SD_SD_SF_NS1_21upper_bound_search_opENS9_16wrapped_functionINS0_4lessIvEEbEEEE10hipError_tPvRmT1_T2_T3_mmT4_T5_P12ihipStream_tbEUlRKfE_EESM_SQ_SR_mSS_SV_bEUlT_E_NS1_11comp_targetILNS1_3genE10ELNS1_11target_archE1201ELNS1_3gpuE5ELNS1_3repE0EEENS1_30default_config_static_selectorELNS0_4arch9wavefront6targetE1EEEvSP_
	.globl	_ZN7rocprim17ROCPRIM_400000_NS6detail17trampoline_kernelINS0_14default_configENS1_27upper_bound_config_selectorIfiEEZNS1_14transform_implILb0ES3_S5_N6thrust23THRUST_200600_302600_NS6detail15normal_iteratorINS8_10device_ptrIfEEEENSA_INSB_IiEEEEZNS1_13binary_searchIS3_S5_SD_SD_SF_NS1_21upper_bound_search_opENS9_16wrapped_functionINS0_4lessIvEEbEEEE10hipError_tPvRmT1_T2_T3_mmT4_T5_P12ihipStream_tbEUlRKfE_EESM_SQ_SR_mSS_SV_bEUlT_E_NS1_11comp_targetILNS1_3genE10ELNS1_11target_archE1201ELNS1_3gpuE5ELNS1_3repE0EEENS1_30default_config_static_selectorELNS0_4arch9wavefront6targetE1EEEvSP_
	.p2align	8
	.type	_ZN7rocprim17ROCPRIM_400000_NS6detail17trampoline_kernelINS0_14default_configENS1_27upper_bound_config_selectorIfiEEZNS1_14transform_implILb0ES3_S5_N6thrust23THRUST_200600_302600_NS6detail15normal_iteratorINS8_10device_ptrIfEEEENSA_INSB_IiEEEEZNS1_13binary_searchIS3_S5_SD_SD_SF_NS1_21upper_bound_search_opENS9_16wrapped_functionINS0_4lessIvEEbEEEE10hipError_tPvRmT1_T2_T3_mmT4_T5_P12ihipStream_tbEUlRKfE_EESM_SQ_SR_mSS_SV_bEUlT_E_NS1_11comp_targetILNS1_3genE10ELNS1_11target_archE1201ELNS1_3gpuE5ELNS1_3repE0EEENS1_30default_config_static_selectorELNS0_4arch9wavefront6targetE1EEEvSP_,@function
_ZN7rocprim17ROCPRIM_400000_NS6detail17trampoline_kernelINS0_14default_configENS1_27upper_bound_config_selectorIfiEEZNS1_14transform_implILb0ES3_S5_N6thrust23THRUST_200600_302600_NS6detail15normal_iteratorINS8_10device_ptrIfEEEENSA_INSB_IiEEEEZNS1_13binary_searchIS3_S5_SD_SD_SF_NS1_21upper_bound_search_opENS9_16wrapped_functionINS0_4lessIvEEbEEEE10hipError_tPvRmT1_T2_T3_mmT4_T5_P12ihipStream_tbEUlRKfE_EESM_SQ_SR_mSS_SV_bEUlT_E_NS1_11comp_targetILNS1_3genE10ELNS1_11target_archE1201ELNS1_3gpuE5ELNS1_3repE0EEENS1_30default_config_static_selectorELNS0_4arch9wavefront6targetE1EEEvSP_: ; @_ZN7rocprim17ROCPRIM_400000_NS6detail17trampoline_kernelINS0_14default_configENS1_27upper_bound_config_selectorIfiEEZNS1_14transform_implILb0ES3_S5_N6thrust23THRUST_200600_302600_NS6detail15normal_iteratorINS8_10device_ptrIfEEEENSA_INSB_IiEEEEZNS1_13binary_searchIS3_S5_SD_SD_SF_NS1_21upper_bound_search_opENS9_16wrapped_functionINS0_4lessIvEEbEEEE10hipError_tPvRmT1_T2_T3_mmT4_T5_P12ihipStream_tbEUlRKfE_EESM_SQ_SR_mSS_SV_bEUlT_E_NS1_11comp_targetILNS1_3genE10ELNS1_11target_archE1201ELNS1_3gpuE5ELNS1_3repE0EEENS1_30default_config_static_selectorELNS0_4arch9wavefront6targetE1EEEvSP_
; %bb.0:
	.section	.rodata,"a",@progbits
	.p2align	6, 0x0
	.amdhsa_kernel _ZN7rocprim17ROCPRIM_400000_NS6detail17trampoline_kernelINS0_14default_configENS1_27upper_bound_config_selectorIfiEEZNS1_14transform_implILb0ES3_S5_N6thrust23THRUST_200600_302600_NS6detail15normal_iteratorINS8_10device_ptrIfEEEENSA_INSB_IiEEEEZNS1_13binary_searchIS3_S5_SD_SD_SF_NS1_21upper_bound_search_opENS9_16wrapped_functionINS0_4lessIvEEbEEEE10hipError_tPvRmT1_T2_T3_mmT4_T5_P12ihipStream_tbEUlRKfE_EESM_SQ_SR_mSS_SV_bEUlT_E_NS1_11comp_targetILNS1_3genE10ELNS1_11target_archE1201ELNS1_3gpuE5ELNS1_3repE0EEENS1_30default_config_static_selectorELNS0_4arch9wavefront6targetE1EEEvSP_
		.amdhsa_group_segment_fixed_size 0
		.amdhsa_private_segment_fixed_size 0
		.amdhsa_kernarg_size 56
		.amdhsa_user_sgpr_count 6
		.amdhsa_user_sgpr_private_segment_buffer 1
		.amdhsa_user_sgpr_dispatch_ptr 0
		.amdhsa_user_sgpr_queue_ptr 0
		.amdhsa_user_sgpr_kernarg_segment_ptr 1
		.amdhsa_user_sgpr_dispatch_id 0
		.amdhsa_user_sgpr_flat_scratch_init 0
		.amdhsa_user_sgpr_kernarg_preload_length 0
		.amdhsa_user_sgpr_kernarg_preload_offset 0
		.amdhsa_user_sgpr_private_segment_size 0
		.amdhsa_uses_dynamic_stack 0
		.amdhsa_system_sgpr_private_segment_wavefront_offset 0
		.amdhsa_system_sgpr_workgroup_id_x 1
		.amdhsa_system_sgpr_workgroup_id_y 0
		.amdhsa_system_sgpr_workgroup_id_z 0
		.amdhsa_system_sgpr_workgroup_info 0
		.amdhsa_system_vgpr_workitem_id 0
		.amdhsa_next_free_vgpr 1
		.amdhsa_next_free_sgpr 0
		.amdhsa_accum_offset 4
		.amdhsa_reserve_vcc 0
		.amdhsa_reserve_flat_scratch 0
		.amdhsa_float_round_mode_32 0
		.amdhsa_float_round_mode_16_64 0
		.amdhsa_float_denorm_mode_32 3
		.amdhsa_float_denorm_mode_16_64 3
		.amdhsa_dx10_clamp 1
		.amdhsa_ieee_mode 1
		.amdhsa_fp16_overflow 0
		.amdhsa_tg_split 0
		.amdhsa_exception_fp_ieee_invalid_op 0
		.amdhsa_exception_fp_denorm_src 0
		.amdhsa_exception_fp_ieee_div_zero 0
		.amdhsa_exception_fp_ieee_overflow 0
		.amdhsa_exception_fp_ieee_underflow 0
		.amdhsa_exception_fp_ieee_inexact 0
		.amdhsa_exception_int_div_zero 0
	.end_amdhsa_kernel
	.section	.text._ZN7rocprim17ROCPRIM_400000_NS6detail17trampoline_kernelINS0_14default_configENS1_27upper_bound_config_selectorIfiEEZNS1_14transform_implILb0ES3_S5_N6thrust23THRUST_200600_302600_NS6detail15normal_iteratorINS8_10device_ptrIfEEEENSA_INSB_IiEEEEZNS1_13binary_searchIS3_S5_SD_SD_SF_NS1_21upper_bound_search_opENS9_16wrapped_functionINS0_4lessIvEEbEEEE10hipError_tPvRmT1_T2_T3_mmT4_T5_P12ihipStream_tbEUlRKfE_EESM_SQ_SR_mSS_SV_bEUlT_E_NS1_11comp_targetILNS1_3genE10ELNS1_11target_archE1201ELNS1_3gpuE5ELNS1_3repE0EEENS1_30default_config_static_selectorELNS0_4arch9wavefront6targetE1EEEvSP_,"axG",@progbits,_ZN7rocprim17ROCPRIM_400000_NS6detail17trampoline_kernelINS0_14default_configENS1_27upper_bound_config_selectorIfiEEZNS1_14transform_implILb0ES3_S5_N6thrust23THRUST_200600_302600_NS6detail15normal_iteratorINS8_10device_ptrIfEEEENSA_INSB_IiEEEEZNS1_13binary_searchIS3_S5_SD_SD_SF_NS1_21upper_bound_search_opENS9_16wrapped_functionINS0_4lessIvEEbEEEE10hipError_tPvRmT1_T2_T3_mmT4_T5_P12ihipStream_tbEUlRKfE_EESM_SQ_SR_mSS_SV_bEUlT_E_NS1_11comp_targetILNS1_3genE10ELNS1_11target_archE1201ELNS1_3gpuE5ELNS1_3repE0EEENS1_30default_config_static_selectorELNS0_4arch9wavefront6targetE1EEEvSP_,comdat
.Lfunc_end344:
	.size	_ZN7rocprim17ROCPRIM_400000_NS6detail17trampoline_kernelINS0_14default_configENS1_27upper_bound_config_selectorIfiEEZNS1_14transform_implILb0ES3_S5_N6thrust23THRUST_200600_302600_NS6detail15normal_iteratorINS8_10device_ptrIfEEEENSA_INSB_IiEEEEZNS1_13binary_searchIS3_S5_SD_SD_SF_NS1_21upper_bound_search_opENS9_16wrapped_functionINS0_4lessIvEEbEEEE10hipError_tPvRmT1_T2_T3_mmT4_T5_P12ihipStream_tbEUlRKfE_EESM_SQ_SR_mSS_SV_bEUlT_E_NS1_11comp_targetILNS1_3genE10ELNS1_11target_archE1201ELNS1_3gpuE5ELNS1_3repE0EEENS1_30default_config_static_selectorELNS0_4arch9wavefront6targetE1EEEvSP_, .Lfunc_end344-_ZN7rocprim17ROCPRIM_400000_NS6detail17trampoline_kernelINS0_14default_configENS1_27upper_bound_config_selectorIfiEEZNS1_14transform_implILb0ES3_S5_N6thrust23THRUST_200600_302600_NS6detail15normal_iteratorINS8_10device_ptrIfEEEENSA_INSB_IiEEEEZNS1_13binary_searchIS3_S5_SD_SD_SF_NS1_21upper_bound_search_opENS9_16wrapped_functionINS0_4lessIvEEbEEEE10hipError_tPvRmT1_T2_T3_mmT4_T5_P12ihipStream_tbEUlRKfE_EESM_SQ_SR_mSS_SV_bEUlT_E_NS1_11comp_targetILNS1_3genE10ELNS1_11target_archE1201ELNS1_3gpuE5ELNS1_3repE0EEENS1_30default_config_static_selectorELNS0_4arch9wavefront6targetE1EEEvSP_
                                        ; -- End function
	.section	.AMDGPU.csdata,"",@progbits
; Kernel info:
; codeLenInByte = 0
; NumSgprs: 4
; NumVgprs: 0
; NumAgprs: 0
; TotalNumVgprs: 0
; ScratchSize: 0
; MemoryBound: 0
; FloatMode: 240
; IeeeMode: 1
; LDSByteSize: 0 bytes/workgroup (compile time only)
; SGPRBlocks: 0
; VGPRBlocks: 0
; NumSGPRsForWavesPerEU: 4
; NumVGPRsForWavesPerEU: 1
; AccumOffset: 4
; Occupancy: 8
; WaveLimiterHint : 0
; COMPUTE_PGM_RSRC2:SCRATCH_EN: 0
; COMPUTE_PGM_RSRC2:USER_SGPR: 6
; COMPUTE_PGM_RSRC2:TRAP_HANDLER: 0
; COMPUTE_PGM_RSRC2:TGID_X_EN: 1
; COMPUTE_PGM_RSRC2:TGID_Y_EN: 0
; COMPUTE_PGM_RSRC2:TGID_Z_EN: 0
; COMPUTE_PGM_RSRC2:TIDIG_COMP_CNT: 0
; COMPUTE_PGM_RSRC3_GFX90A:ACCUM_OFFSET: 0
; COMPUTE_PGM_RSRC3_GFX90A:TG_SPLIT: 0
	.section	.text._ZN7rocprim17ROCPRIM_400000_NS6detail17trampoline_kernelINS0_14default_configENS1_27upper_bound_config_selectorIfiEEZNS1_14transform_implILb0ES3_S5_N6thrust23THRUST_200600_302600_NS6detail15normal_iteratorINS8_10device_ptrIfEEEENSA_INSB_IiEEEEZNS1_13binary_searchIS3_S5_SD_SD_SF_NS1_21upper_bound_search_opENS9_16wrapped_functionINS0_4lessIvEEbEEEE10hipError_tPvRmT1_T2_T3_mmT4_T5_P12ihipStream_tbEUlRKfE_EESM_SQ_SR_mSS_SV_bEUlT_E_NS1_11comp_targetILNS1_3genE10ELNS1_11target_archE1200ELNS1_3gpuE4ELNS1_3repE0EEENS1_30default_config_static_selectorELNS0_4arch9wavefront6targetE1EEEvSP_,"axG",@progbits,_ZN7rocprim17ROCPRIM_400000_NS6detail17trampoline_kernelINS0_14default_configENS1_27upper_bound_config_selectorIfiEEZNS1_14transform_implILb0ES3_S5_N6thrust23THRUST_200600_302600_NS6detail15normal_iteratorINS8_10device_ptrIfEEEENSA_INSB_IiEEEEZNS1_13binary_searchIS3_S5_SD_SD_SF_NS1_21upper_bound_search_opENS9_16wrapped_functionINS0_4lessIvEEbEEEE10hipError_tPvRmT1_T2_T3_mmT4_T5_P12ihipStream_tbEUlRKfE_EESM_SQ_SR_mSS_SV_bEUlT_E_NS1_11comp_targetILNS1_3genE10ELNS1_11target_archE1200ELNS1_3gpuE4ELNS1_3repE0EEENS1_30default_config_static_selectorELNS0_4arch9wavefront6targetE1EEEvSP_,comdat
	.protected	_ZN7rocprim17ROCPRIM_400000_NS6detail17trampoline_kernelINS0_14default_configENS1_27upper_bound_config_selectorIfiEEZNS1_14transform_implILb0ES3_S5_N6thrust23THRUST_200600_302600_NS6detail15normal_iteratorINS8_10device_ptrIfEEEENSA_INSB_IiEEEEZNS1_13binary_searchIS3_S5_SD_SD_SF_NS1_21upper_bound_search_opENS9_16wrapped_functionINS0_4lessIvEEbEEEE10hipError_tPvRmT1_T2_T3_mmT4_T5_P12ihipStream_tbEUlRKfE_EESM_SQ_SR_mSS_SV_bEUlT_E_NS1_11comp_targetILNS1_3genE10ELNS1_11target_archE1200ELNS1_3gpuE4ELNS1_3repE0EEENS1_30default_config_static_selectorELNS0_4arch9wavefront6targetE1EEEvSP_ ; -- Begin function _ZN7rocprim17ROCPRIM_400000_NS6detail17trampoline_kernelINS0_14default_configENS1_27upper_bound_config_selectorIfiEEZNS1_14transform_implILb0ES3_S5_N6thrust23THRUST_200600_302600_NS6detail15normal_iteratorINS8_10device_ptrIfEEEENSA_INSB_IiEEEEZNS1_13binary_searchIS3_S5_SD_SD_SF_NS1_21upper_bound_search_opENS9_16wrapped_functionINS0_4lessIvEEbEEEE10hipError_tPvRmT1_T2_T3_mmT4_T5_P12ihipStream_tbEUlRKfE_EESM_SQ_SR_mSS_SV_bEUlT_E_NS1_11comp_targetILNS1_3genE10ELNS1_11target_archE1200ELNS1_3gpuE4ELNS1_3repE0EEENS1_30default_config_static_selectorELNS0_4arch9wavefront6targetE1EEEvSP_
	.globl	_ZN7rocprim17ROCPRIM_400000_NS6detail17trampoline_kernelINS0_14default_configENS1_27upper_bound_config_selectorIfiEEZNS1_14transform_implILb0ES3_S5_N6thrust23THRUST_200600_302600_NS6detail15normal_iteratorINS8_10device_ptrIfEEEENSA_INSB_IiEEEEZNS1_13binary_searchIS3_S5_SD_SD_SF_NS1_21upper_bound_search_opENS9_16wrapped_functionINS0_4lessIvEEbEEEE10hipError_tPvRmT1_T2_T3_mmT4_T5_P12ihipStream_tbEUlRKfE_EESM_SQ_SR_mSS_SV_bEUlT_E_NS1_11comp_targetILNS1_3genE10ELNS1_11target_archE1200ELNS1_3gpuE4ELNS1_3repE0EEENS1_30default_config_static_selectorELNS0_4arch9wavefront6targetE1EEEvSP_
	.p2align	8
	.type	_ZN7rocprim17ROCPRIM_400000_NS6detail17trampoline_kernelINS0_14default_configENS1_27upper_bound_config_selectorIfiEEZNS1_14transform_implILb0ES3_S5_N6thrust23THRUST_200600_302600_NS6detail15normal_iteratorINS8_10device_ptrIfEEEENSA_INSB_IiEEEEZNS1_13binary_searchIS3_S5_SD_SD_SF_NS1_21upper_bound_search_opENS9_16wrapped_functionINS0_4lessIvEEbEEEE10hipError_tPvRmT1_T2_T3_mmT4_T5_P12ihipStream_tbEUlRKfE_EESM_SQ_SR_mSS_SV_bEUlT_E_NS1_11comp_targetILNS1_3genE10ELNS1_11target_archE1200ELNS1_3gpuE4ELNS1_3repE0EEENS1_30default_config_static_selectorELNS0_4arch9wavefront6targetE1EEEvSP_,@function
_ZN7rocprim17ROCPRIM_400000_NS6detail17trampoline_kernelINS0_14default_configENS1_27upper_bound_config_selectorIfiEEZNS1_14transform_implILb0ES3_S5_N6thrust23THRUST_200600_302600_NS6detail15normal_iteratorINS8_10device_ptrIfEEEENSA_INSB_IiEEEEZNS1_13binary_searchIS3_S5_SD_SD_SF_NS1_21upper_bound_search_opENS9_16wrapped_functionINS0_4lessIvEEbEEEE10hipError_tPvRmT1_T2_T3_mmT4_T5_P12ihipStream_tbEUlRKfE_EESM_SQ_SR_mSS_SV_bEUlT_E_NS1_11comp_targetILNS1_3genE10ELNS1_11target_archE1200ELNS1_3gpuE4ELNS1_3repE0EEENS1_30default_config_static_selectorELNS0_4arch9wavefront6targetE1EEEvSP_: ; @_ZN7rocprim17ROCPRIM_400000_NS6detail17trampoline_kernelINS0_14default_configENS1_27upper_bound_config_selectorIfiEEZNS1_14transform_implILb0ES3_S5_N6thrust23THRUST_200600_302600_NS6detail15normal_iteratorINS8_10device_ptrIfEEEENSA_INSB_IiEEEEZNS1_13binary_searchIS3_S5_SD_SD_SF_NS1_21upper_bound_search_opENS9_16wrapped_functionINS0_4lessIvEEbEEEE10hipError_tPvRmT1_T2_T3_mmT4_T5_P12ihipStream_tbEUlRKfE_EESM_SQ_SR_mSS_SV_bEUlT_E_NS1_11comp_targetILNS1_3genE10ELNS1_11target_archE1200ELNS1_3gpuE4ELNS1_3repE0EEENS1_30default_config_static_selectorELNS0_4arch9wavefront6targetE1EEEvSP_
; %bb.0:
	.section	.rodata,"a",@progbits
	.p2align	6, 0x0
	.amdhsa_kernel _ZN7rocprim17ROCPRIM_400000_NS6detail17trampoline_kernelINS0_14default_configENS1_27upper_bound_config_selectorIfiEEZNS1_14transform_implILb0ES3_S5_N6thrust23THRUST_200600_302600_NS6detail15normal_iteratorINS8_10device_ptrIfEEEENSA_INSB_IiEEEEZNS1_13binary_searchIS3_S5_SD_SD_SF_NS1_21upper_bound_search_opENS9_16wrapped_functionINS0_4lessIvEEbEEEE10hipError_tPvRmT1_T2_T3_mmT4_T5_P12ihipStream_tbEUlRKfE_EESM_SQ_SR_mSS_SV_bEUlT_E_NS1_11comp_targetILNS1_3genE10ELNS1_11target_archE1200ELNS1_3gpuE4ELNS1_3repE0EEENS1_30default_config_static_selectorELNS0_4arch9wavefront6targetE1EEEvSP_
		.amdhsa_group_segment_fixed_size 0
		.amdhsa_private_segment_fixed_size 0
		.amdhsa_kernarg_size 56
		.amdhsa_user_sgpr_count 6
		.amdhsa_user_sgpr_private_segment_buffer 1
		.amdhsa_user_sgpr_dispatch_ptr 0
		.amdhsa_user_sgpr_queue_ptr 0
		.amdhsa_user_sgpr_kernarg_segment_ptr 1
		.amdhsa_user_sgpr_dispatch_id 0
		.amdhsa_user_sgpr_flat_scratch_init 0
		.amdhsa_user_sgpr_kernarg_preload_length 0
		.amdhsa_user_sgpr_kernarg_preload_offset 0
		.amdhsa_user_sgpr_private_segment_size 0
		.amdhsa_uses_dynamic_stack 0
		.amdhsa_system_sgpr_private_segment_wavefront_offset 0
		.amdhsa_system_sgpr_workgroup_id_x 1
		.amdhsa_system_sgpr_workgroup_id_y 0
		.amdhsa_system_sgpr_workgroup_id_z 0
		.amdhsa_system_sgpr_workgroup_info 0
		.amdhsa_system_vgpr_workitem_id 0
		.amdhsa_next_free_vgpr 1
		.amdhsa_next_free_sgpr 0
		.amdhsa_accum_offset 4
		.amdhsa_reserve_vcc 0
		.amdhsa_reserve_flat_scratch 0
		.amdhsa_float_round_mode_32 0
		.amdhsa_float_round_mode_16_64 0
		.amdhsa_float_denorm_mode_32 3
		.amdhsa_float_denorm_mode_16_64 3
		.amdhsa_dx10_clamp 1
		.amdhsa_ieee_mode 1
		.amdhsa_fp16_overflow 0
		.amdhsa_tg_split 0
		.amdhsa_exception_fp_ieee_invalid_op 0
		.amdhsa_exception_fp_denorm_src 0
		.amdhsa_exception_fp_ieee_div_zero 0
		.amdhsa_exception_fp_ieee_overflow 0
		.amdhsa_exception_fp_ieee_underflow 0
		.amdhsa_exception_fp_ieee_inexact 0
		.amdhsa_exception_int_div_zero 0
	.end_amdhsa_kernel
	.section	.text._ZN7rocprim17ROCPRIM_400000_NS6detail17trampoline_kernelINS0_14default_configENS1_27upper_bound_config_selectorIfiEEZNS1_14transform_implILb0ES3_S5_N6thrust23THRUST_200600_302600_NS6detail15normal_iteratorINS8_10device_ptrIfEEEENSA_INSB_IiEEEEZNS1_13binary_searchIS3_S5_SD_SD_SF_NS1_21upper_bound_search_opENS9_16wrapped_functionINS0_4lessIvEEbEEEE10hipError_tPvRmT1_T2_T3_mmT4_T5_P12ihipStream_tbEUlRKfE_EESM_SQ_SR_mSS_SV_bEUlT_E_NS1_11comp_targetILNS1_3genE10ELNS1_11target_archE1200ELNS1_3gpuE4ELNS1_3repE0EEENS1_30default_config_static_selectorELNS0_4arch9wavefront6targetE1EEEvSP_,"axG",@progbits,_ZN7rocprim17ROCPRIM_400000_NS6detail17trampoline_kernelINS0_14default_configENS1_27upper_bound_config_selectorIfiEEZNS1_14transform_implILb0ES3_S5_N6thrust23THRUST_200600_302600_NS6detail15normal_iteratorINS8_10device_ptrIfEEEENSA_INSB_IiEEEEZNS1_13binary_searchIS3_S5_SD_SD_SF_NS1_21upper_bound_search_opENS9_16wrapped_functionINS0_4lessIvEEbEEEE10hipError_tPvRmT1_T2_T3_mmT4_T5_P12ihipStream_tbEUlRKfE_EESM_SQ_SR_mSS_SV_bEUlT_E_NS1_11comp_targetILNS1_3genE10ELNS1_11target_archE1200ELNS1_3gpuE4ELNS1_3repE0EEENS1_30default_config_static_selectorELNS0_4arch9wavefront6targetE1EEEvSP_,comdat
.Lfunc_end345:
	.size	_ZN7rocprim17ROCPRIM_400000_NS6detail17trampoline_kernelINS0_14default_configENS1_27upper_bound_config_selectorIfiEEZNS1_14transform_implILb0ES3_S5_N6thrust23THRUST_200600_302600_NS6detail15normal_iteratorINS8_10device_ptrIfEEEENSA_INSB_IiEEEEZNS1_13binary_searchIS3_S5_SD_SD_SF_NS1_21upper_bound_search_opENS9_16wrapped_functionINS0_4lessIvEEbEEEE10hipError_tPvRmT1_T2_T3_mmT4_T5_P12ihipStream_tbEUlRKfE_EESM_SQ_SR_mSS_SV_bEUlT_E_NS1_11comp_targetILNS1_3genE10ELNS1_11target_archE1200ELNS1_3gpuE4ELNS1_3repE0EEENS1_30default_config_static_selectorELNS0_4arch9wavefront6targetE1EEEvSP_, .Lfunc_end345-_ZN7rocprim17ROCPRIM_400000_NS6detail17trampoline_kernelINS0_14default_configENS1_27upper_bound_config_selectorIfiEEZNS1_14transform_implILb0ES3_S5_N6thrust23THRUST_200600_302600_NS6detail15normal_iteratorINS8_10device_ptrIfEEEENSA_INSB_IiEEEEZNS1_13binary_searchIS3_S5_SD_SD_SF_NS1_21upper_bound_search_opENS9_16wrapped_functionINS0_4lessIvEEbEEEE10hipError_tPvRmT1_T2_T3_mmT4_T5_P12ihipStream_tbEUlRKfE_EESM_SQ_SR_mSS_SV_bEUlT_E_NS1_11comp_targetILNS1_3genE10ELNS1_11target_archE1200ELNS1_3gpuE4ELNS1_3repE0EEENS1_30default_config_static_selectorELNS0_4arch9wavefront6targetE1EEEvSP_
                                        ; -- End function
	.section	.AMDGPU.csdata,"",@progbits
; Kernel info:
; codeLenInByte = 0
; NumSgprs: 4
; NumVgprs: 0
; NumAgprs: 0
; TotalNumVgprs: 0
; ScratchSize: 0
; MemoryBound: 0
; FloatMode: 240
; IeeeMode: 1
; LDSByteSize: 0 bytes/workgroup (compile time only)
; SGPRBlocks: 0
; VGPRBlocks: 0
; NumSGPRsForWavesPerEU: 4
; NumVGPRsForWavesPerEU: 1
; AccumOffset: 4
; Occupancy: 8
; WaveLimiterHint : 0
; COMPUTE_PGM_RSRC2:SCRATCH_EN: 0
; COMPUTE_PGM_RSRC2:USER_SGPR: 6
; COMPUTE_PGM_RSRC2:TRAP_HANDLER: 0
; COMPUTE_PGM_RSRC2:TGID_X_EN: 1
; COMPUTE_PGM_RSRC2:TGID_Y_EN: 0
; COMPUTE_PGM_RSRC2:TGID_Z_EN: 0
; COMPUTE_PGM_RSRC2:TIDIG_COMP_CNT: 0
; COMPUTE_PGM_RSRC3_GFX90A:ACCUM_OFFSET: 0
; COMPUTE_PGM_RSRC3_GFX90A:TG_SPLIT: 0
	.section	.text._ZN7rocprim17ROCPRIM_400000_NS6detail17trampoline_kernelINS0_14default_configENS1_27upper_bound_config_selectorIfiEEZNS1_14transform_implILb0ES3_S5_N6thrust23THRUST_200600_302600_NS6detail15normal_iteratorINS8_10device_ptrIfEEEENSA_INSB_IiEEEEZNS1_13binary_searchIS3_S5_SD_SD_SF_NS1_21upper_bound_search_opENS9_16wrapped_functionINS0_4lessIvEEbEEEE10hipError_tPvRmT1_T2_T3_mmT4_T5_P12ihipStream_tbEUlRKfE_EESM_SQ_SR_mSS_SV_bEUlT_E_NS1_11comp_targetILNS1_3genE9ELNS1_11target_archE1100ELNS1_3gpuE3ELNS1_3repE0EEENS1_30default_config_static_selectorELNS0_4arch9wavefront6targetE1EEEvSP_,"axG",@progbits,_ZN7rocprim17ROCPRIM_400000_NS6detail17trampoline_kernelINS0_14default_configENS1_27upper_bound_config_selectorIfiEEZNS1_14transform_implILb0ES3_S5_N6thrust23THRUST_200600_302600_NS6detail15normal_iteratorINS8_10device_ptrIfEEEENSA_INSB_IiEEEEZNS1_13binary_searchIS3_S5_SD_SD_SF_NS1_21upper_bound_search_opENS9_16wrapped_functionINS0_4lessIvEEbEEEE10hipError_tPvRmT1_T2_T3_mmT4_T5_P12ihipStream_tbEUlRKfE_EESM_SQ_SR_mSS_SV_bEUlT_E_NS1_11comp_targetILNS1_3genE9ELNS1_11target_archE1100ELNS1_3gpuE3ELNS1_3repE0EEENS1_30default_config_static_selectorELNS0_4arch9wavefront6targetE1EEEvSP_,comdat
	.protected	_ZN7rocprim17ROCPRIM_400000_NS6detail17trampoline_kernelINS0_14default_configENS1_27upper_bound_config_selectorIfiEEZNS1_14transform_implILb0ES3_S5_N6thrust23THRUST_200600_302600_NS6detail15normal_iteratorINS8_10device_ptrIfEEEENSA_INSB_IiEEEEZNS1_13binary_searchIS3_S5_SD_SD_SF_NS1_21upper_bound_search_opENS9_16wrapped_functionINS0_4lessIvEEbEEEE10hipError_tPvRmT1_T2_T3_mmT4_T5_P12ihipStream_tbEUlRKfE_EESM_SQ_SR_mSS_SV_bEUlT_E_NS1_11comp_targetILNS1_3genE9ELNS1_11target_archE1100ELNS1_3gpuE3ELNS1_3repE0EEENS1_30default_config_static_selectorELNS0_4arch9wavefront6targetE1EEEvSP_ ; -- Begin function _ZN7rocprim17ROCPRIM_400000_NS6detail17trampoline_kernelINS0_14default_configENS1_27upper_bound_config_selectorIfiEEZNS1_14transform_implILb0ES3_S5_N6thrust23THRUST_200600_302600_NS6detail15normal_iteratorINS8_10device_ptrIfEEEENSA_INSB_IiEEEEZNS1_13binary_searchIS3_S5_SD_SD_SF_NS1_21upper_bound_search_opENS9_16wrapped_functionINS0_4lessIvEEbEEEE10hipError_tPvRmT1_T2_T3_mmT4_T5_P12ihipStream_tbEUlRKfE_EESM_SQ_SR_mSS_SV_bEUlT_E_NS1_11comp_targetILNS1_3genE9ELNS1_11target_archE1100ELNS1_3gpuE3ELNS1_3repE0EEENS1_30default_config_static_selectorELNS0_4arch9wavefront6targetE1EEEvSP_
	.globl	_ZN7rocprim17ROCPRIM_400000_NS6detail17trampoline_kernelINS0_14default_configENS1_27upper_bound_config_selectorIfiEEZNS1_14transform_implILb0ES3_S5_N6thrust23THRUST_200600_302600_NS6detail15normal_iteratorINS8_10device_ptrIfEEEENSA_INSB_IiEEEEZNS1_13binary_searchIS3_S5_SD_SD_SF_NS1_21upper_bound_search_opENS9_16wrapped_functionINS0_4lessIvEEbEEEE10hipError_tPvRmT1_T2_T3_mmT4_T5_P12ihipStream_tbEUlRKfE_EESM_SQ_SR_mSS_SV_bEUlT_E_NS1_11comp_targetILNS1_3genE9ELNS1_11target_archE1100ELNS1_3gpuE3ELNS1_3repE0EEENS1_30default_config_static_selectorELNS0_4arch9wavefront6targetE1EEEvSP_
	.p2align	8
	.type	_ZN7rocprim17ROCPRIM_400000_NS6detail17trampoline_kernelINS0_14default_configENS1_27upper_bound_config_selectorIfiEEZNS1_14transform_implILb0ES3_S5_N6thrust23THRUST_200600_302600_NS6detail15normal_iteratorINS8_10device_ptrIfEEEENSA_INSB_IiEEEEZNS1_13binary_searchIS3_S5_SD_SD_SF_NS1_21upper_bound_search_opENS9_16wrapped_functionINS0_4lessIvEEbEEEE10hipError_tPvRmT1_T2_T3_mmT4_T5_P12ihipStream_tbEUlRKfE_EESM_SQ_SR_mSS_SV_bEUlT_E_NS1_11comp_targetILNS1_3genE9ELNS1_11target_archE1100ELNS1_3gpuE3ELNS1_3repE0EEENS1_30default_config_static_selectorELNS0_4arch9wavefront6targetE1EEEvSP_,@function
_ZN7rocprim17ROCPRIM_400000_NS6detail17trampoline_kernelINS0_14default_configENS1_27upper_bound_config_selectorIfiEEZNS1_14transform_implILb0ES3_S5_N6thrust23THRUST_200600_302600_NS6detail15normal_iteratorINS8_10device_ptrIfEEEENSA_INSB_IiEEEEZNS1_13binary_searchIS3_S5_SD_SD_SF_NS1_21upper_bound_search_opENS9_16wrapped_functionINS0_4lessIvEEbEEEE10hipError_tPvRmT1_T2_T3_mmT4_T5_P12ihipStream_tbEUlRKfE_EESM_SQ_SR_mSS_SV_bEUlT_E_NS1_11comp_targetILNS1_3genE9ELNS1_11target_archE1100ELNS1_3gpuE3ELNS1_3repE0EEENS1_30default_config_static_selectorELNS0_4arch9wavefront6targetE1EEEvSP_: ; @_ZN7rocprim17ROCPRIM_400000_NS6detail17trampoline_kernelINS0_14default_configENS1_27upper_bound_config_selectorIfiEEZNS1_14transform_implILb0ES3_S5_N6thrust23THRUST_200600_302600_NS6detail15normal_iteratorINS8_10device_ptrIfEEEENSA_INSB_IiEEEEZNS1_13binary_searchIS3_S5_SD_SD_SF_NS1_21upper_bound_search_opENS9_16wrapped_functionINS0_4lessIvEEbEEEE10hipError_tPvRmT1_T2_T3_mmT4_T5_P12ihipStream_tbEUlRKfE_EESM_SQ_SR_mSS_SV_bEUlT_E_NS1_11comp_targetILNS1_3genE9ELNS1_11target_archE1100ELNS1_3gpuE3ELNS1_3repE0EEENS1_30default_config_static_selectorELNS0_4arch9wavefront6targetE1EEEvSP_
; %bb.0:
	.section	.rodata,"a",@progbits
	.p2align	6, 0x0
	.amdhsa_kernel _ZN7rocprim17ROCPRIM_400000_NS6detail17trampoline_kernelINS0_14default_configENS1_27upper_bound_config_selectorIfiEEZNS1_14transform_implILb0ES3_S5_N6thrust23THRUST_200600_302600_NS6detail15normal_iteratorINS8_10device_ptrIfEEEENSA_INSB_IiEEEEZNS1_13binary_searchIS3_S5_SD_SD_SF_NS1_21upper_bound_search_opENS9_16wrapped_functionINS0_4lessIvEEbEEEE10hipError_tPvRmT1_T2_T3_mmT4_T5_P12ihipStream_tbEUlRKfE_EESM_SQ_SR_mSS_SV_bEUlT_E_NS1_11comp_targetILNS1_3genE9ELNS1_11target_archE1100ELNS1_3gpuE3ELNS1_3repE0EEENS1_30default_config_static_selectorELNS0_4arch9wavefront6targetE1EEEvSP_
		.amdhsa_group_segment_fixed_size 0
		.amdhsa_private_segment_fixed_size 0
		.amdhsa_kernarg_size 56
		.amdhsa_user_sgpr_count 6
		.amdhsa_user_sgpr_private_segment_buffer 1
		.amdhsa_user_sgpr_dispatch_ptr 0
		.amdhsa_user_sgpr_queue_ptr 0
		.amdhsa_user_sgpr_kernarg_segment_ptr 1
		.amdhsa_user_sgpr_dispatch_id 0
		.amdhsa_user_sgpr_flat_scratch_init 0
		.amdhsa_user_sgpr_kernarg_preload_length 0
		.amdhsa_user_sgpr_kernarg_preload_offset 0
		.amdhsa_user_sgpr_private_segment_size 0
		.amdhsa_uses_dynamic_stack 0
		.amdhsa_system_sgpr_private_segment_wavefront_offset 0
		.amdhsa_system_sgpr_workgroup_id_x 1
		.amdhsa_system_sgpr_workgroup_id_y 0
		.amdhsa_system_sgpr_workgroup_id_z 0
		.amdhsa_system_sgpr_workgroup_info 0
		.amdhsa_system_vgpr_workitem_id 0
		.amdhsa_next_free_vgpr 1
		.amdhsa_next_free_sgpr 0
		.amdhsa_accum_offset 4
		.amdhsa_reserve_vcc 0
		.amdhsa_reserve_flat_scratch 0
		.amdhsa_float_round_mode_32 0
		.amdhsa_float_round_mode_16_64 0
		.amdhsa_float_denorm_mode_32 3
		.amdhsa_float_denorm_mode_16_64 3
		.amdhsa_dx10_clamp 1
		.amdhsa_ieee_mode 1
		.amdhsa_fp16_overflow 0
		.amdhsa_tg_split 0
		.amdhsa_exception_fp_ieee_invalid_op 0
		.amdhsa_exception_fp_denorm_src 0
		.amdhsa_exception_fp_ieee_div_zero 0
		.amdhsa_exception_fp_ieee_overflow 0
		.amdhsa_exception_fp_ieee_underflow 0
		.amdhsa_exception_fp_ieee_inexact 0
		.amdhsa_exception_int_div_zero 0
	.end_amdhsa_kernel
	.section	.text._ZN7rocprim17ROCPRIM_400000_NS6detail17trampoline_kernelINS0_14default_configENS1_27upper_bound_config_selectorIfiEEZNS1_14transform_implILb0ES3_S5_N6thrust23THRUST_200600_302600_NS6detail15normal_iteratorINS8_10device_ptrIfEEEENSA_INSB_IiEEEEZNS1_13binary_searchIS3_S5_SD_SD_SF_NS1_21upper_bound_search_opENS9_16wrapped_functionINS0_4lessIvEEbEEEE10hipError_tPvRmT1_T2_T3_mmT4_T5_P12ihipStream_tbEUlRKfE_EESM_SQ_SR_mSS_SV_bEUlT_E_NS1_11comp_targetILNS1_3genE9ELNS1_11target_archE1100ELNS1_3gpuE3ELNS1_3repE0EEENS1_30default_config_static_selectorELNS0_4arch9wavefront6targetE1EEEvSP_,"axG",@progbits,_ZN7rocprim17ROCPRIM_400000_NS6detail17trampoline_kernelINS0_14default_configENS1_27upper_bound_config_selectorIfiEEZNS1_14transform_implILb0ES3_S5_N6thrust23THRUST_200600_302600_NS6detail15normal_iteratorINS8_10device_ptrIfEEEENSA_INSB_IiEEEEZNS1_13binary_searchIS3_S5_SD_SD_SF_NS1_21upper_bound_search_opENS9_16wrapped_functionINS0_4lessIvEEbEEEE10hipError_tPvRmT1_T2_T3_mmT4_T5_P12ihipStream_tbEUlRKfE_EESM_SQ_SR_mSS_SV_bEUlT_E_NS1_11comp_targetILNS1_3genE9ELNS1_11target_archE1100ELNS1_3gpuE3ELNS1_3repE0EEENS1_30default_config_static_selectorELNS0_4arch9wavefront6targetE1EEEvSP_,comdat
.Lfunc_end346:
	.size	_ZN7rocprim17ROCPRIM_400000_NS6detail17trampoline_kernelINS0_14default_configENS1_27upper_bound_config_selectorIfiEEZNS1_14transform_implILb0ES3_S5_N6thrust23THRUST_200600_302600_NS6detail15normal_iteratorINS8_10device_ptrIfEEEENSA_INSB_IiEEEEZNS1_13binary_searchIS3_S5_SD_SD_SF_NS1_21upper_bound_search_opENS9_16wrapped_functionINS0_4lessIvEEbEEEE10hipError_tPvRmT1_T2_T3_mmT4_T5_P12ihipStream_tbEUlRKfE_EESM_SQ_SR_mSS_SV_bEUlT_E_NS1_11comp_targetILNS1_3genE9ELNS1_11target_archE1100ELNS1_3gpuE3ELNS1_3repE0EEENS1_30default_config_static_selectorELNS0_4arch9wavefront6targetE1EEEvSP_, .Lfunc_end346-_ZN7rocprim17ROCPRIM_400000_NS6detail17trampoline_kernelINS0_14default_configENS1_27upper_bound_config_selectorIfiEEZNS1_14transform_implILb0ES3_S5_N6thrust23THRUST_200600_302600_NS6detail15normal_iteratorINS8_10device_ptrIfEEEENSA_INSB_IiEEEEZNS1_13binary_searchIS3_S5_SD_SD_SF_NS1_21upper_bound_search_opENS9_16wrapped_functionINS0_4lessIvEEbEEEE10hipError_tPvRmT1_T2_T3_mmT4_T5_P12ihipStream_tbEUlRKfE_EESM_SQ_SR_mSS_SV_bEUlT_E_NS1_11comp_targetILNS1_3genE9ELNS1_11target_archE1100ELNS1_3gpuE3ELNS1_3repE0EEENS1_30default_config_static_selectorELNS0_4arch9wavefront6targetE1EEEvSP_
                                        ; -- End function
	.section	.AMDGPU.csdata,"",@progbits
; Kernel info:
; codeLenInByte = 0
; NumSgprs: 4
; NumVgprs: 0
; NumAgprs: 0
; TotalNumVgprs: 0
; ScratchSize: 0
; MemoryBound: 0
; FloatMode: 240
; IeeeMode: 1
; LDSByteSize: 0 bytes/workgroup (compile time only)
; SGPRBlocks: 0
; VGPRBlocks: 0
; NumSGPRsForWavesPerEU: 4
; NumVGPRsForWavesPerEU: 1
; AccumOffset: 4
; Occupancy: 8
; WaveLimiterHint : 0
; COMPUTE_PGM_RSRC2:SCRATCH_EN: 0
; COMPUTE_PGM_RSRC2:USER_SGPR: 6
; COMPUTE_PGM_RSRC2:TRAP_HANDLER: 0
; COMPUTE_PGM_RSRC2:TGID_X_EN: 1
; COMPUTE_PGM_RSRC2:TGID_Y_EN: 0
; COMPUTE_PGM_RSRC2:TGID_Z_EN: 0
; COMPUTE_PGM_RSRC2:TIDIG_COMP_CNT: 0
; COMPUTE_PGM_RSRC3_GFX90A:ACCUM_OFFSET: 0
; COMPUTE_PGM_RSRC3_GFX90A:TG_SPLIT: 0
	.section	.text._ZN7rocprim17ROCPRIM_400000_NS6detail17trampoline_kernelINS0_14default_configENS1_27upper_bound_config_selectorIfiEEZNS1_14transform_implILb0ES3_S5_N6thrust23THRUST_200600_302600_NS6detail15normal_iteratorINS8_10device_ptrIfEEEENSA_INSB_IiEEEEZNS1_13binary_searchIS3_S5_SD_SD_SF_NS1_21upper_bound_search_opENS9_16wrapped_functionINS0_4lessIvEEbEEEE10hipError_tPvRmT1_T2_T3_mmT4_T5_P12ihipStream_tbEUlRKfE_EESM_SQ_SR_mSS_SV_bEUlT_E_NS1_11comp_targetILNS1_3genE8ELNS1_11target_archE1030ELNS1_3gpuE2ELNS1_3repE0EEENS1_30default_config_static_selectorELNS0_4arch9wavefront6targetE1EEEvSP_,"axG",@progbits,_ZN7rocprim17ROCPRIM_400000_NS6detail17trampoline_kernelINS0_14default_configENS1_27upper_bound_config_selectorIfiEEZNS1_14transform_implILb0ES3_S5_N6thrust23THRUST_200600_302600_NS6detail15normal_iteratorINS8_10device_ptrIfEEEENSA_INSB_IiEEEEZNS1_13binary_searchIS3_S5_SD_SD_SF_NS1_21upper_bound_search_opENS9_16wrapped_functionINS0_4lessIvEEbEEEE10hipError_tPvRmT1_T2_T3_mmT4_T5_P12ihipStream_tbEUlRKfE_EESM_SQ_SR_mSS_SV_bEUlT_E_NS1_11comp_targetILNS1_3genE8ELNS1_11target_archE1030ELNS1_3gpuE2ELNS1_3repE0EEENS1_30default_config_static_selectorELNS0_4arch9wavefront6targetE1EEEvSP_,comdat
	.protected	_ZN7rocprim17ROCPRIM_400000_NS6detail17trampoline_kernelINS0_14default_configENS1_27upper_bound_config_selectorIfiEEZNS1_14transform_implILb0ES3_S5_N6thrust23THRUST_200600_302600_NS6detail15normal_iteratorINS8_10device_ptrIfEEEENSA_INSB_IiEEEEZNS1_13binary_searchIS3_S5_SD_SD_SF_NS1_21upper_bound_search_opENS9_16wrapped_functionINS0_4lessIvEEbEEEE10hipError_tPvRmT1_T2_T3_mmT4_T5_P12ihipStream_tbEUlRKfE_EESM_SQ_SR_mSS_SV_bEUlT_E_NS1_11comp_targetILNS1_3genE8ELNS1_11target_archE1030ELNS1_3gpuE2ELNS1_3repE0EEENS1_30default_config_static_selectorELNS0_4arch9wavefront6targetE1EEEvSP_ ; -- Begin function _ZN7rocprim17ROCPRIM_400000_NS6detail17trampoline_kernelINS0_14default_configENS1_27upper_bound_config_selectorIfiEEZNS1_14transform_implILb0ES3_S5_N6thrust23THRUST_200600_302600_NS6detail15normal_iteratorINS8_10device_ptrIfEEEENSA_INSB_IiEEEEZNS1_13binary_searchIS3_S5_SD_SD_SF_NS1_21upper_bound_search_opENS9_16wrapped_functionINS0_4lessIvEEbEEEE10hipError_tPvRmT1_T2_T3_mmT4_T5_P12ihipStream_tbEUlRKfE_EESM_SQ_SR_mSS_SV_bEUlT_E_NS1_11comp_targetILNS1_3genE8ELNS1_11target_archE1030ELNS1_3gpuE2ELNS1_3repE0EEENS1_30default_config_static_selectorELNS0_4arch9wavefront6targetE1EEEvSP_
	.globl	_ZN7rocprim17ROCPRIM_400000_NS6detail17trampoline_kernelINS0_14default_configENS1_27upper_bound_config_selectorIfiEEZNS1_14transform_implILb0ES3_S5_N6thrust23THRUST_200600_302600_NS6detail15normal_iteratorINS8_10device_ptrIfEEEENSA_INSB_IiEEEEZNS1_13binary_searchIS3_S5_SD_SD_SF_NS1_21upper_bound_search_opENS9_16wrapped_functionINS0_4lessIvEEbEEEE10hipError_tPvRmT1_T2_T3_mmT4_T5_P12ihipStream_tbEUlRKfE_EESM_SQ_SR_mSS_SV_bEUlT_E_NS1_11comp_targetILNS1_3genE8ELNS1_11target_archE1030ELNS1_3gpuE2ELNS1_3repE0EEENS1_30default_config_static_selectorELNS0_4arch9wavefront6targetE1EEEvSP_
	.p2align	8
	.type	_ZN7rocprim17ROCPRIM_400000_NS6detail17trampoline_kernelINS0_14default_configENS1_27upper_bound_config_selectorIfiEEZNS1_14transform_implILb0ES3_S5_N6thrust23THRUST_200600_302600_NS6detail15normal_iteratorINS8_10device_ptrIfEEEENSA_INSB_IiEEEEZNS1_13binary_searchIS3_S5_SD_SD_SF_NS1_21upper_bound_search_opENS9_16wrapped_functionINS0_4lessIvEEbEEEE10hipError_tPvRmT1_T2_T3_mmT4_T5_P12ihipStream_tbEUlRKfE_EESM_SQ_SR_mSS_SV_bEUlT_E_NS1_11comp_targetILNS1_3genE8ELNS1_11target_archE1030ELNS1_3gpuE2ELNS1_3repE0EEENS1_30default_config_static_selectorELNS0_4arch9wavefront6targetE1EEEvSP_,@function
_ZN7rocprim17ROCPRIM_400000_NS6detail17trampoline_kernelINS0_14default_configENS1_27upper_bound_config_selectorIfiEEZNS1_14transform_implILb0ES3_S5_N6thrust23THRUST_200600_302600_NS6detail15normal_iteratorINS8_10device_ptrIfEEEENSA_INSB_IiEEEEZNS1_13binary_searchIS3_S5_SD_SD_SF_NS1_21upper_bound_search_opENS9_16wrapped_functionINS0_4lessIvEEbEEEE10hipError_tPvRmT1_T2_T3_mmT4_T5_P12ihipStream_tbEUlRKfE_EESM_SQ_SR_mSS_SV_bEUlT_E_NS1_11comp_targetILNS1_3genE8ELNS1_11target_archE1030ELNS1_3gpuE2ELNS1_3repE0EEENS1_30default_config_static_selectorELNS0_4arch9wavefront6targetE1EEEvSP_: ; @_ZN7rocprim17ROCPRIM_400000_NS6detail17trampoline_kernelINS0_14default_configENS1_27upper_bound_config_selectorIfiEEZNS1_14transform_implILb0ES3_S5_N6thrust23THRUST_200600_302600_NS6detail15normal_iteratorINS8_10device_ptrIfEEEENSA_INSB_IiEEEEZNS1_13binary_searchIS3_S5_SD_SD_SF_NS1_21upper_bound_search_opENS9_16wrapped_functionINS0_4lessIvEEbEEEE10hipError_tPvRmT1_T2_T3_mmT4_T5_P12ihipStream_tbEUlRKfE_EESM_SQ_SR_mSS_SV_bEUlT_E_NS1_11comp_targetILNS1_3genE8ELNS1_11target_archE1030ELNS1_3gpuE2ELNS1_3repE0EEENS1_30default_config_static_selectorELNS0_4arch9wavefront6targetE1EEEvSP_
; %bb.0:
	.section	.rodata,"a",@progbits
	.p2align	6, 0x0
	.amdhsa_kernel _ZN7rocprim17ROCPRIM_400000_NS6detail17trampoline_kernelINS0_14default_configENS1_27upper_bound_config_selectorIfiEEZNS1_14transform_implILb0ES3_S5_N6thrust23THRUST_200600_302600_NS6detail15normal_iteratorINS8_10device_ptrIfEEEENSA_INSB_IiEEEEZNS1_13binary_searchIS3_S5_SD_SD_SF_NS1_21upper_bound_search_opENS9_16wrapped_functionINS0_4lessIvEEbEEEE10hipError_tPvRmT1_T2_T3_mmT4_T5_P12ihipStream_tbEUlRKfE_EESM_SQ_SR_mSS_SV_bEUlT_E_NS1_11comp_targetILNS1_3genE8ELNS1_11target_archE1030ELNS1_3gpuE2ELNS1_3repE0EEENS1_30default_config_static_selectorELNS0_4arch9wavefront6targetE1EEEvSP_
		.amdhsa_group_segment_fixed_size 0
		.amdhsa_private_segment_fixed_size 0
		.amdhsa_kernarg_size 56
		.amdhsa_user_sgpr_count 6
		.amdhsa_user_sgpr_private_segment_buffer 1
		.amdhsa_user_sgpr_dispatch_ptr 0
		.amdhsa_user_sgpr_queue_ptr 0
		.amdhsa_user_sgpr_kernarg_segment_ptr 1
		.amdhsa_user_sgpr_dispatch_id 0
		.amdhsa_user_sgpr_flat_scratch_init 0
		.amdhsa_user_sgpr_kernarg_preload_length 0
		.amdhsa_user_sgpr_kernarg_preload_offset 0
		.amdhsa_user_sgpr_private_segment_size 0
		.amdhsa_uses_dynamic_stack 0
		.amdhsa_system_sgpr_private_segment_wavefront_offset 0
		.amdhsa_system_sgpr_workgroup_id_x 1
		.amdhsa_system_sgpr_workgroup_id_y 0
		.amdhsa_system_sgpr_workgroup_id_z 0
		.amdhsa_system_sgpr_workgroup_info 0
		.amdhsa_system_vgpr_workitem_id 0
		.amdhsa_next_free_vgpr 1
		.amdhsa_next_free_sgpr 0
		.amdhsa_accum_offset 4
		.amdhsa_reserve_vcc 0
		.amdhsa_reserve_flat_scratch 0
		.amdhsa_float_round_mode_32 0
		.amdhsa_float_round_mode_16_64 0
		.amdhsa_float_denorm_mode_32 3
		.amdhsa_float_denorm_mode_16_64 3
		.amdhsa_dx10_clamp 1
		.amdhsa_ieee_mode 1
		.amdhsa_fp16_overflow 0
		.amdhsa_tg_split 0
		.amdhsa_exception_fp_ieee_invalid_op 0
		.amdhsa_exception_fp_denorm_src 0
		.amdhsa_exception_fp_ieee_div_zero 0
		.amdhsa_exception_fp_ieee_overflow 0
		.amdhsa_exception_fp_ieee_underflow 0
		.amdhsa_exception_fp_ieee_inexact 0
		.amdhsa_exception_int_div_zero 0
	.end_amdhsa_kernel
	.section	.text._ZN7rocprim17ROCPRIM_400000_NS6detail17trampoline_kernelINS0_14default_configENS1_27upper_bound_config_selectorIfiEEZNS1_14transform_implILb0ES3_S5_N6thrust23THRUST_200600_302600_NS6detail15normal_iteratorINS8_10device_ptrIfEEEENSA_INSB_IiEEEEZNS1_13binary_searchIS3_S5_SD_SD_SF_NS1_21upper_bound_search_opENS9_16wrapped_functionINS0_4lessIvEEbEEEE10hipError_tPvRmT1_T2_T3_mmT4_T5_P12ihipStream_tbEUlRKfE_EESM_SQ_SR_mSS_SV_bEUlT_E_NS1_11comp_targetILNS1_3genE8ELNS1_11target_archE1030ELNS1_3gpuE2ELNS1_3repE0EEENS1_30default_config_static_selectorELNS0_4arch9wavefront6targetE1EEEvSP_,"axG",@progbits,_ZN7rocprim17ROCPRIM_400000_NS6detail17trampoline_kernelINS0_14default_configENS1_27upper_bound_config_selectorIfiEEZNS1_14transform_implILb0ES3_S5_N6thrust23THRUST_200600_302600_NS6detail15normal_iteratorINS8_10device_ptrIfEEEENSA_INSB_IiEEEEZNS1_13binary_searchIS3_S5_SD_SD_SF_NS1_21upper_bound_search_opENS9_16wrapped_functionINS0_4lessIvEEbEEEE10hipError_tPvRmT1_T2_T3_mmT4_T5_P12ihipStream_tbEUlRKfE_EESM_SQ_SR_mSS_SV_bEUlT_E_NS1_11comp_targetILNS1_3genE8ELNS1_11target_archE1030ELNS1_3gpuE2ELNS1_3repE0EEENS1_30default_config_static_selectorELNS0_4arch9wavefront6targetE1EEEvSP_,comdat
.Lfunc_end347:
	.size	_ZN7rocprim17ROCPRIM_400000_NS6detail17trampoline_kernelINS0_14default_configENS1_27upper_bound_config_selectorIfiEEZNS1_14transform_implILb0ES3_S5_N6thrust23THRUST_200600_302600_NS6detail15normal_iteratorINS8_10device_ptrIfEEEENSA_INSB_IiEEEEZNS1_13binary_searchIS3_S5_SD_SD_SF_NS1_21upper_bound_search_opENS9_16wrapped_functionINS0_4lessIvEEbEEEE10hipError_tPvRmT1_T2_T3_mmT4_T5_P12ihipStream_tbEUlRKfE_EESM_SQ_SR_mSS_SV_bEUlT_E_NS1_11comp_targetILNS1_3genE8ELNS1_11target_archE1030ELNS1_3gpuE2ELNS1_3repE0EEENS1_30default_config_static_selectorELNS0_4arch9wavefront6targetE1EEEvSP_, .Lfunc_end347-_ZN7rocprim17ROCPRIM_400000_NS6detail17trampoline_kernelINS0_14default_configENS1_27upper_bound_config_selectorIfiEEZNS1_14transform_implILb0ES3_S5_N6thrust23THRUST_200600_302600_NS6detail15normal_iteratorINS8_10device_ptrIfEEEENSA_INSB_IiEEEEZNS1_13binary_searchIS3_S5_SD_SD_SF_NS1_21upper_bound_search_opENS9_16wrapped_functionINS0_4lessIvEEbEEEE10hipError_tPvRmT1_T2_T3_mmT4_T5_P12ihipStream_tbEUlRKfE_EESM_SQ_SR_mSS_SV_bEUlT_E_NS1_11comp_targetILNS1_3genE8ELNS1_11target_archE1030ELNS1_3gpuE2ELNS1_3repE0EEENS1_30default_config_static_selectorELNS0_4arch9wavefront6targetE1EEEvSP_
                                        ; -- End function
	.section	.AMDGPU.csdata,"",@progbits
; Kernel info:
; codeLenInByte = 0
; NumSgprs: 4
; NumVgprs: 0
; NumAgprs: 0
; TotalNumVgprs: 0
; ScratchSize: 0
; MemoryBound: 0
; FloatMode: 240
; IeeeMode: 1
; LDSByteSize: 0 bytes/workgroup (compile time only)
; SGPRBlocks: 0
; VGPRBlocks: 0
; NumSGPRsForWavesPerEU: 4
; NumVGPRsForWavesPerEU: 1
; AccumOffset: 4
; Occupancy: 8
; WaveLimiterHint : 0
; COMPUTE_PGM_RSRC2:SCRATCH_EN: 0
; COMPUTE_PGM_RSRC2:USER_SGPR: 6
; COMPUTE_PGM_RSRC2:TRAP_HANDLER: 0
; COMPUTE_PGM_RSRC2:TGID_X_EN: 1
; COMPUTE_PGM_RSRC2:TGID_Y_EN: 0
; COMPUTE_PGM_RSRC2:TGID_Z_EN: 0
; COMPUTE_PGM_RSRC2:TIDIG_COMP_CNT: 0
; COMPUTE_PGM_RSRC3_GFX90A:ACCUM_OFFSET: 0
; COMPUTE_PGM_RSRC3_GFX90A:TG_SPLIT: 0
	.section	.text._ZN7rocprim17ROCPRIM_400000_NS6detail17trampoline_kernelINS0_14default_configENS1_27upper_bound_config_selectorIyiEEZNS1_14transform_implILb0ES3_S5_N6thrust23THRUST_200600_302600_NS6detail15normal_iteratorINS8_10device_ptrIyEEEENSA_INSB_IiEEEEZNS1_13binary_searchIS3_S5_SD_SD_SF_NS1_21upper_bound_search_opENS9_16wrapped_functionINS0_4lessIvEEbEEEE10hipError_tPvRmT1_T2_T3_mmT4_T5_P12ihipStream_tbEUlRKyE_EESM_SQ_SR_mSS_SV_bEUlT_E_NS1_11comp_targetILNS1_3genE0ELNS1_11target_archE4294967295ELNS1_3gpuE0ELNS1_3repE0EEENS1_30default_config_static_selectorELNS0_4arch9wavefront6targetE1EEEvSP_,"axG",@progbits,_ZN7rocprim17ROCPRIM_400000_NS6detail17trampoline_kernelINS0_14default_configENS1_27upper_bound_config_selectorIyiEEZNS1_14transform_implILb0ES3_S5_N6thrust23THRUST_200600_302600_NS6detail15normal_iteratorINS8_10device_ptrIyEEEENSA_INSB_IiEEEEZNS1_13binary_searchIS3_S5_SD_SD_SF_NS1_21upper_bound_search_opENS9_16wrapped_functionINS0_4lessIvEEbEEEE10hipError_tPvRmT1_T2_T3_mmT4_T5_P12ihipStream_tbEUlRKyE_EESM_SQ_SR_mSS_SV_bEUlT_E_NS1_11comp_targetILNS1_3genE0ELNS1_11target_archE4294967295ELNS1_3gpuE0ELNS1_3repE0EEENS1_30default_config_static_selectorELNS0_4arch9wavefront6targetE1EEEvSP_,comdat
	.protected	_ZN7rocprim17ROCPRIM_400000_NS6detail17trampoline_kernelINS0_14default_configENS1_27upper_bound_config_selectorIyiEEZNS1_14transform_implILb0ES3_S5_N6thrust23THRUST_200600_302600_NS6detail15normal_iteratorINS8_10device_ptrIyEEEENSA_INSB_IiEEEEZNS1_13binary_searchIS3_S5_SD_SD_SF_NS1_21upper_bound_search_opENS9_16wrapped_functionINS0_4lessIvEEbEEEE10hipError_tPvRmT1_T2_T3_mmT4_T5_P12ihipStream_tbEUlRKyE_EESM_SQ_SR_mSS_SV_bEUlT_E_NS1_11comp_targetILNS1_3genE0ELNS1_11target_archE4294967295ELNS1_3gpuE0ELNS1_3repE0EEENS1_30default_config_static_selectorELNS0_4arch9wavefront6targetE1EEEvSP_ ; -- Begin function _ZN7rocprim17ROCPRIM_400000_NS6detail17trampoline_kernelINS0_14default_configENS1_27upper_bound_config_selectorIyiEEZNS1_14transform_implILb0ES3_S5_N6thrust23THRUST_200600_302600_NS6detail15normal_iteratorINS8_10device_ptrIyEEEENSA_INSB_IiEEEEZNS1_13binary_searchIS3_S5_SD_SD_SF_NS1_21upper_bound_search_opENS9_16wrapped_functionINS0_4lessIvEEbEEEE10hipError_tPvRmT1_T2_T3_mmT4_T5_P12ihipStream_tbEUlRKyE_EESM_SQ_SR_mSS_SV_bEUlT_E_NS1_11comp_targetILNS1_3genE0ELNS1_11target_archE4294967295ELNS1_3gpuE0ELNS1_3repE0EEENS1_30default_config_static_selectorELNS0_4arch9wavefront6targetE1EEEvSP_
	.globl	_ZN7rocprim17ROCPRIM_400000_NS6detail17trampoline_kernelINS0_14default_configENS1_27upper_bound_config_selectorIyiEEZNS1_14transform_implILb0ES3_S5_N6thrust23THRUST_200600_302600_NS6detail15normal_iteratorINS8_10device_ptrIyEEEENSA_INSB_IiEEEEZNS1_13binary_searchIS3_S5_SD_SD_SF_NS1_21upper_bound_search_opENS9_16wrapped_functionINS0_4lessIvEEbEEEE10hipError_tPvRmT1_T2_T3_mmT4_T5_P12ihipStream_tbEUlRKyE_EESM_SQ_SR_mSS_SV_bEUlT_E_NS1_11comp_targetILNS1_3genE0ELNS1_11target_archE4294967295ELNS1_3gpuE0ELNS1_3repE0EEENS1_30default_config_static_selectorELNS0_4arch9wavefront6targetE1EEEvSP_
	.p2align	8
	.type	_ZN7rocprim17ROCPRIM_400000_NS6detail17trampoline_kernelINS0_14default_configENS1_27upper_bound_config_selectorIyiEEZNS1_14transform_implILb0ES3_S5_N6thrust23THRUST_200600_302600_NS6detail15normal_iteratorINS8_10device_ptrIyEEEENSA_INSB_IiEEEEZNS1_13binary_searchIS3_S5_SD_SD_SF_NS1_21upper_bound_search_opENS9_16wrapped_functionINS0_4lessIvEEbEEEE10hipError_tPvRmT1_T2_T3_mmT4_T5_P12ihipStream_tbEUlRKyE_EESM_SQ_SR_mSS_SV_bEUlT_E_NS1_11comp_targetILNS1_3genE0ELNS1_11target_archE4294967295ELNS1_3gpuE0ELNS1_3repE0EEENS1_30default_config_static_selectorELNS0_4arch9wavefront6targetE1EEEvSP_,@function
_ZN7rocprim17ROCPRIM_400000_NS6detail17trampoline_kernelINS0_14default_configENS1_27upper_bound_config_selectorIyiEEZNS1_14transform_implILb0ES3_S5_N6thrust23THRUST_200600_302600_NS6detail15normal_iteratorINS8_10device_ptrIyEEEENSA_INSB_IiEEEEZNS1_13binary_searchIS3_S5_SD_SD_SF_NS1_21upper_bound_search_opENS9_16wrapped_functionINS0_4lessIvEEbEEEE10hipError_tPvRmT1_T2_T3_mmT4_T5_P12ihipStream_tbEUlRKyE_EESM_SQ_SR_mSS_SV_bEUlT_E_NS1_11comp_targetILNS1_3genE0ELNS1_11target_archE4294967295ELNS1_3gpuE0ELNS1_3repE0EEENS1_30default_config_static_selectorELNS0_4arch9wavefront6targetE1EEEvSP_: ; @_ZN7rocprim17ROCPRIM_400000_NS6detail17trampoline_kernelINS0_14default_configENS1_27upper_bound_config_selectorIyiEEZNS1_14transform_implILb0ES3_S5_N6thrust23THRUST_200600_302600_NS6detail15normal_iteratorINS8_10device_ptrIyEEEENSA_INSB_IiEEEEZNS1_13binary_searchIS3_S5_SD_SD_SF_NS1_21upper_bound_search_opENS9_16wrapped_functionINS0_4lessIvEEbEEEE10hipError_tPvRmT1_T2_T3_mmT4_T5_P12ihipStream_tbEUlRKyE_EESM_SQ_SR_mSS_SV_bEUlT_E_NS1_11comp_targetILNS1_3genE0ELNS1_11target_archE4294967295ELNS1_3gpuE0ELNS1_3repE0EEENS1_30default_config_static_selectorELNS0_4arch9wavefront6targetE1EEEvSP_
; %bb.0:
	.section	.rodata,"a",@progbits
	.p2align	6, 0x0
	.amdhsa_kernel _ZN7rocprim17ROCPRIM_400000_NS6detail17trampoline_kernelINS0_14default_configENS1_27upper_bound_config_selectorIyiEEZNS1_14transform_implILb0ES3_S5_N6thrust23THRUST_200600_302600_NS6detail15normal_iteratorINS8_10device_ptrIyEEEENSA_INSB_IiEEEEZNS1_13binary_searchIS3_S5_SD_SD_SF_NS1_21upper_bound_search_opENS9_16wrapped_functionINS0_4lessIvEEbEEEE10hipError_tPvRmT1_T2_T3_mmT4_T5_P12ihipStream_tbEUlRKyE_EESM_SQ_SR_mSS_SV_bEUlT_E_NS1_11comp_targetILNS1_3genE0ELNS1_11target_archE4294967295ELNS1_3gpuE0ELNS1_3repE0EEENS1_30default_config_static_selectorELNS0_4arch9wavefront6targetE1EEEvSP_
		.amdhsa_group_segment_fixed_size 0
		.amdhsa_private_segment_fixed_size 0
		.amdhsa_kernarg_size 56
		.amdhsa_user_sgpr_count 6
		.amdhsa_user_sgpr_private_segment_buffer 1
		.amdhsa_user_sgpr_dispatch_ptr 0
		.amdhsa_user_sgpr_queue_ptr 0
		.amdhsa_user_sgpr_kernarg_segment_ptr 1
		.amdhsa_user_sgpr_dispatch_id 0
		.amdhsa_user_sgpr_flat_scratch_init 0
		.amdhsa_user_sgpr_kernarg_preload_length 0
		.amdhsa_user_sgpr_kernarg_preload_offset 0
		.amdhsa_user_sgpr_private_segment_size 0
		.amdhsa_uses_dynamic_stack 0
		.amdhsa_system_sgpr_private_segment_wavefront_offset 0
		.amdhsa_system_sgpr_workgroup_id_x 1
		.amdhsa_system_sgpr_workgroup_id_y 0
		.amdhsa_system_sgpr_workgroup_id_z 0
		.amdhsa_system_sgpr_workgroup_info 0
		.amdhsa_system_vgpr_workitem_id 0
		.amdhsa_next_free_vgpr 1
		.amdhsa_next_free_sgpr 0
		.amdhsa_accum_offset 4
		.amdhsa_reserve_vcc 0
		.amdhsa_reserve_flat_scratch 0
		.amdhsa_float_round_mode_32 0
		.amdhsa_float_round_mode_16_64 0
		.amdhsa_float_denorm_mode_32 3
		.amdhsa_float_denorm_mode_16_64 3
		.amdhsa_dx10_clamp 1
		.amdhsa_ieee_mode 1
		.amdhsa_fp16_overflow 0
		.amdhsa_tg_split 0
		.amdhsa_exception_fp_ieee_invalid_op 0
		.amdhsa_exception_fp_denorm_src 0
		.amdhsa_exception_fp_ieee_div_zero 0
		.amdhsa_exception_fp_ieee_overflow 0
		.amdhsa_exception_fp_ieee_underflow 0
		.amdhsa_exception_fp_ieee_inexact 0
		.amdhsa_exception_int_div_zero 0
	.end_amdhsa_kernel
	.section	.text._ZN7rocprim17ROCPRIM_400000_NS6detail17trampoline_kernelINS0_14default_configENS1_27upper_bound_config_selectorIyiEEZNS1_14transform_implILb0ES3_S5_N6thrust23THRUST_200600_302600_NS6detail15normal_iteratorINS8_10device_ptrIyEEEENSA_INSB_IiEEEEZNS1_13binary_searchIS3_S5_SD_SD_SF_NS1_21upper_bound_search_opENS9_16wrapped_functionINS0_4lessIvEEbEEEE10hipError_tPvRmT1_T2_T3_mmT4_T5_P12ihipStream_tbEUlRKyE_EESM_SQ_SR_mSS_SV_bEUlT_E_NS1_11comp_targetILNS1_3genE0ELNS1_11target_archE4294967295ELNS1_3gpuE0ELNS1_3repE0EEENS1_30default_config_static_selectorELNS0_4arch9wavefront6targetE1EEEvSP_,"axG",@progbits,_ZN7rocprim17ROCPRIM_400000_NS6detail17trampoline_kernelINS0_14default_configENS1_27upper_bound_config_selectorIyiEEZNS1_14transform_implILb0ES3_S5_N6thrust23THRUST_200600_302600_NS6detail15normal_iteratorINS8_10device_ptrIyEEEENSA_INSB_IiEEEEZNS1_13binary_searchIS3_S5_SD_SD_SF_NS1_21upper_bound_search_opENS9_16wrapped_functionINS0_4lessIvEEbEEEE10hipError_tPvRmT1_T2_T3_mmT4_T5_P12ihipStream_tbEUlRKyE_EESM_SQ_SR_mSS_SV_bEUlT_E_NS1_11comp_targetILNS1_3genE0ELNS1_11target_archE4294967295ELNS1_3gpuE0ELNS1_3repE0EEENS1_30default_config_static_selectorELNS0_4arch9wavefront6targetE1EEEvSP_,comdat
.Lfunc_end348:
	.size	_ZN7rocprim17ROCPRIM_400000_NS6detail17trampoline_kernelINS0_14default_configENS1_27upper_bound_config_selectorIyiEEZNS1_14transform_implILb0ES3_S5_N6thrust23THRUST_200600_302600_NS6detail15normal_iteratorINS8_10device_ptrIyEEEENSA_INSB_IiEEEEZNS1_13binary_searchIS3_S5_SD_SD_SF_NS1_21upper_bound_search_opENS9_16wrapped_functionINS0_4lessIvEEbEEEE10hipError_tPvRmT1_T2_T3_mmT4_T5_P12ihipStream_tbEUlRKyE_EESM_SQ_SR_mSS_SV_bEUlT_E_NS1_11comp_targetILNS1_3genE0ELNS1_11target_archE4294967295ELNS1_3gpuE0ELNS1_3repE0EEENS1_30default_config_static_selectorELNS0_4arch9wavefront6targetE1EEEvSP_, .Lfunc_end348-_ZN7rocprim17ROCPRIM_400000_NS6detail17trampoline_kernelINS0_14default_configENS1_27upper_bound_config_selectorIyiEEZNS1_14transform_implILb0ES3_S5_N6thrust23THRUST_200600_302600_NS6detail15normal_iteratorINS8_10device_ptrIyEEEENSA_INSB_IiEEEEZNS1_13binary_searchIS3_S5_SD_SD_SF_NS1_21upper_bound_search_opENS9_16wrapped_functionINS0_4lessIvEEbEEEE10hipError_tPvRmT1_T2_T3_mmT4_T5_P12ihipStream_tbEUlRKyE_EESM_SQ_SR_mSS_SV_bEUlT_E_NS1_11comp_targetILNS1_3genE0ELNS1_11target_archE4294967295ELNS1_3gpuE0ELNS1_3repE0EEENS1_30default_config_static_selectorELNS0_4arch9wavefront6targetE1EEEvSP_
                                        ; -- End function
	.section	.AMDGPU.csdata,"",@progbits
; Kernel info:
; codeLenInByte = 0
; NumSgprs: 4
; NumVgprs: 0
; NumAgprs: 0
; TotalNumVgprs: 0
; ScratchSize: 0
; MemoryBound: 0
; FloatMode: 240
; IeeeMode: 1
; LDSByteSize: 0 bytes/workgroup (compile time only)
; SGPRBlocks: 0
; VGPRBlocks: 0
; NumSGPRsForWavesPerEU: 4
; NumVGPRsForWavesPerEU: 1
; AccumOffset: 4
; Occupancy: 8
; WaveLimiterHint : 0
; COMPUTE_PGM_RSRC2:SCRATCH_EN: 0
; COMPUTE_PGM_RSRC2:USER_SGPR: 6
; COMPUTE_PGM_RSRC2:TRAP_HANDLER: 0
; COMPUTE_PGM_RSRC2:TGID_X_EN: 1
; COMPUTE_PGM_RSRC2:TGID_Y_EN: 0
; COMPUTE_PGM_RSRC2:TGID_Z_EN: 0
; COMPUTE_PGM_RSRC2:TIDIG_COMP_CNT: 0
; COMPUTE_PGM_RSRC3_GFX90A:ACCUM_OFFSET: 0
; COMPUTE_PGM_RSRC3_GFX90A:TG_SPLIT: 0
	.section	.text._ZN7rocprim17ROCPRIM_400000_NS6detail17trampoline_kernelINS0_14default_configENS1_27upper_bound_config_selectorIyiEEZNS1_14transform_implILb0ES3_S5_N6thrust23THRUST_200600_302600_NS6detail15normal_iteratorINS8_10device_ptrIyEEEENSA_INSB_IiEEEEZNS1_13binary_searchIS3_S5_SD_SD_SF_NS1_21upper_bound_search_opENS9_16wrapped_functionINS0_4lessIvEEbEEEE10hipError_tPvRmT1_T2_T3_mmT4_T5_P12ihipStream_tbEUlRKyE_EESM_SQ_SR_mSS_SV_bEUlT_E_NS1_11comp_targetILNS1_3genE5ELNS1_11target_archE942ELNS1_3gpuE9ELNS1_3repE0EEENS1_30default_config_static_selectorELNS0_4arch9wavefront6targetE1EEEvSP_,"axG",@progbits,_ZN7rocprim17ROCPRIM_400000_NS6detail17trampoline_kernelINS0_14default_configENS1_27upper_bound_config_selectorIyiEEZNS1_14transform_implILb0ES3_S5_N6thrust23THRUST_200600_302600_NS6detail15normal_iteratorINS8_10device_ptrIyEEEENSA_INSB_IiEEEEZNS1_13binary_searchIS3_S5_SD_SD_SF_NS1_21upper_bound_search_opENS9_16wrapped_functionINS0_4lessIvEEbEEEE10hipError_tPvRmT1_T2_T3_mmT4_T5_P12ihipStream_tbEUlRKyE_EESM_SQ_SR_mSS_SV_bEUlT_E_NS1_11comp_targetILNS1_3genE5ELNS1_11target_archE942ELNS1_3gpuE9ELNS1_3repE0EEENS1_30default_config_static_selectorELNS0_4arch9wavefront6targetE1EEEvSP_,comdat
	.protected	_ZN7rocprim17ROCPRIM_400000_NS6detail17trampoline_kernelINS0_14default_configENS1_27upper_bound_config_selectorIyiEEZNS1_14transform_implILb0ES3_S5_N6thrust23THRUST_200600_302600_NS6detail15normal_iteratorINS8_10device_ptrIyEEEENSA_INSB_IiEEEEZNS1_13binary_searchIS3_S5_SD_SD_SF_NS1_21upper_bound_search_opENS9_16wrapped_functionINS0_4lessIvEEbEEEE10hipError_tPvRmT1_T2_T3_mmT4_T5_P12ihipStream_tbEUlRKyE_EESM_SQ_SR_mSS_SV_bEUlT_E_NS1_11comp_targetILNS1_3genE5ELNS1_11target_archE942ELNS1_3gpuE9ELNS1_3repE0EEENS1_30default_config_static_selectorELNS0_4arch9wavefront6targetE1EEEvSP_ ; -- Begin function _ZN7rocprim17ROCPRIM_400000_NS6detail17trampoline_kernelINS0_14default_configENS1_27upper_bound_config_selectorIyiEEZNS1_14transform_implILb0ES3_S5_N6thrust23THRUST_200600_302600_NS6detail15normal_iteratorINS8_10device_ptrIyEEEENSA_INSB_IiEEEEZNS1_13binary_searchIS3_S5_SD_SD_SF_NS1_21upper_bound_search_opENS9_16wrapped_functionINS0_4lessIvEEbEEEE10hipError_tPvRmT1_T2_T3_mmT4_T5_P12ihipStream_tbEUlRKyE_EESM_SQ_SR_mSS_SV_bEUlT_E_NS1_11comp_targetILNS1_3genE5ELNS1_11target_archE942ELNS1_3gpuE9ELNS1_3repE0EEENS1_30default_config_static_selectorELNS0_4arch9wavefront6targetE1EEEvSP_
	.globl	_ZN7rocprim17ROCPRIM_400000_NS6detail17trampoline_kernelINS0_14default_configENS1_27upper_bound_config_selectorIyiEEZNS1_14transform_implILb0ES3_S5_N6thrust23THRUST_200600_302600_NS6detail15normal_iteratorINS8_10device_ptrIyEEEENSA_INSB_IiEEEEZNS1_13binary_searchIS3_S5_SD_SD_SF_NS1_21upper_bound_search_opENS9_16wrapped_functionINS0_4lessIvEEbEEEE10hipError_tPvRmT1_T2_T3_mmT4_T5_P12ihipStream_tbEUlRKyE_EESM_SQ_SR_mSS_SV_bEUlT_E_NS1_11comp_targetILNS1_3genE5ELNS1_11target_archE942ELNS1_3gpuE9ELNS1_3repE0EEENS1_30default_config_static_selectorELNS0_4arch9wavefront6targetE1EEEvSP_
	.p2align	8
	.type	_ZN7rocprim17ROCPRIM_400000_NS6detail17trampoline_kernelINS0_14default_configENS1_27upper_bound_config_selectorIyiEEZNS1_14transform_implILb0ES3_S5_N6thrust23THRUST_200600_302600_NS6detail15normal_iteratorINS8_10device_ptrIyEEEENSA_INSB_IiEEEEZNS1_13binary_searchIS3_S5_SD_SD_SF_NS1_21upper_bound_search_opENS9_16wrapped_functionINS0_4lessIvEEbEEEE10hipError_tPvRmT1_T2_T3_mmT4_T5_P12ihipStream_tbEUlRKyE_EESM_SQ_SR_mSS_SV_bEUlT_E_NS1_11comp_targetILNS1_3genE5ELNS1_11target_archE942ELNS1_3gpuE9ELNS1_3repE0EEENS1_30default_config_static_selectorELNS0_4arch9wavefront6targetE1EEEvSP_,@function
_ZN7rocprim17ROCPRIM_400000_NS6detail17trampoline_kernelINS0_14default_configENS1_27upper_bound_config_selectorIyiEEZNS1_14transform_implILb0ES3_S5_N6thrust23THRUST_200600_302600_NS6detail15normal_iteratorINS8_10device_ptrIyEEEENSA_INSB_IiEEEEZNS1_13binary_searchIS3_S5_SD_SD_SF_NS1_21upper_bound_search_opENS9_16wrapped_functionINS0_4lessIvEEbEEEE10hipError_tPvRmT1_T2_T3_mmT4_T5_P12ihipStream_tbEUlRKyE_EESM_SQ_SR_mSS_SV_bEUlT_E_NS1_11comp_targetILNS1_3genE5ELNS1_11target_archE942ELNS1_3gpuE9ELNS1_3repE0EEENS1_30default_config_static_selectorELNS0_4arch9wavefront6targetE1EEEvSP_: ; @_ZN7rocprim17ROCPRIM_400000_NS6detail17trampoline_kernelINS0_14default_configENS1_27upper_bound_config_selectorIyiEEZNS1_14transform_implILb0ES3_S5_N6thrust23THRUST_200600_302600_NS6detail15normal_iteratorINS8_10device_ptrIyEEEENSA_INSB_IiEEEEZNS1_13binary_searchIS3_S5_SD_SD_SF_NS1_21upper_bound_search_opENS9_16wrapped_functionINS0_4lessIvEEbEEEE10hipError_tPvRmT1_T2_T3_mmT4_T5_P12ihipStream_tbEUlRKyE_EESM_SQ_SR_mSS_SV_bEUlT_E_NS1_11comp_targetILNS1_3genE5ELNS1_11target_archE942ELNS1_3gpuE9ELNS1_3repE0EEENS1_30default_config_static_selectorELNS0_4arch9wavefront6targetE1EEEvSP_
; %bb.0:
	.section	.rodata,"a",@progbits
	.p2align	6, 0x0
	.amdhsa_kernel _ZN7rocprim17ROCPRIM_400000_NS6detail17trampoline_kernelINS0_14default_configENS1_27upper_bound_config_selectorIyiEEZNS1_14transform_implILb0ES3_S5_N6thrust23THRUST_200600_302600_NS6detail15normal_iteratorINS8_10device_ptrIyEEEENSA_INSB_IiEEEEZNS1_13binary_searchIS3_S5_SD_SD_SF_NS1_21upper_bound_search_opENS9_16wrapped_functionINS0_4lessIvEEbEEEE10hipError_tPvRmT1_T2_T3_mmT4_T5_P12ihipStream_tbEUlRKyE_EESM_SQ_SR_mSS_SV_bEUlT_E_NS1_11comp_targetILNS1_3genE5ELNS1_11target_archE942ELNS1_3gpuE9ELNS1_3repE0EEENS1_30default_config_static_selectorELNS0_4arch9wavefront6targetE1EEEvSP_
		.amdhsa_group_segment_fixed_size 0
		.amdhsa_private_segment_fixed_size 0
		.amdhsa_kernarg_size 56
		.amdhsa_user_sgpr_count 6
		.amdhsa_user_sgpr_private_segment_buffer 1
		.amdhsa_user_sgpr_dispatch_ptr 0
		.amdhsa_user_sgpr_queue_ptr 0
		.amdhsa_user_sgpr_kernarg_segment_ptr 1
		.amdhsa_user_sgpr_dispatch_id 0
		.amdhsa_user_sgpr_flat_scratch_init 0
		.amdhsa_user_sgpr_kernarg_preload_length 0
		.amdhsa_user_sgpr_kernarg_preload_offset 0
		.amdhsa_user_sgpr_private_segment_size 0
		.amdhsa_uses_dynamic_stack 0
		.amdhsa_system_sgpr_private_segment_wavefront_offset 0
		.amdhsa_system_sgpr_workgroup_id_x 1
		.amdhsa_system_sgpr_workgroup_id_y 0
		.amdhsa_system_sgpr_workgroup_id_z 0
		.amdhsa_system_sgpr_workgroup_info 0
		.amdhsa_system_vgpr_workitem_id 0
		.amdhsa_next_free_vgpr 1
		.amdhsa_next_free_sgpr 0
		.amdhsa_accum_offset 4
		.amdhsa_reserve_vcc 0
		.amdhsa_reserve_flat_scratch 0
		.amdhsa_float_round_mode_32 0
		.amdhsa_float_round_mode_16_64 0
		.amdhsa_float_denorm_mode_32 3
		.amdhsa_float_denorm_mode_16_64 3
		.amdhsa_dx10_clamp 1
		.amdhsa_ieee_mode 1
		.amdhsa_fp16_overflow 0
		.amdhsa_tg_split 0
		.amdhsa_exception_fp_ieee_invalid_op 0
		.amdhsa_exception_fp_denorm_src 0
		.amdhsa_exception_fp_ieee_div_zero 0
		.amdhsa_exception_fp_ieee_overflow 0
		.amdhsa_exception_fp_ieee_underflow 0
		.amdhsa_exception_fp_ieee_inexact 0
		.amdhsa_exception_int_div_zero 0
	.end_amdhsa_kernel
	.section	.text._ZN7rocprim17ROCPRIM_400000_NS6detail17trampoline_kernelINS0_14default_configENS1_27upper_bound_config_selectorIyiEEZNS1_14transform_implILb0ES3_S5_N6thrust23THRUST_200600_302600_NS6detail15normal_iteratorINS8_10device_ptrIyEEEENSA_INSB_IiEEEEZNS1_13binary_searchIS3_S5_SD_SD_SF_NS1_21upper_bound_search_opENS9_16wrapped_functionINS0_4lessIvEEbEEEE10hipError_tPvRmT1_T2_T3_mmT4_T5_P12ihipStream_tbEUlRKyE_EESM_SQ_SR_mSS_SV_bEUlT_E_NS1_11comp_targetILNS1_3genE5ELNS1_11target_archE942ELNS1_3gpuE9ELNS1_3repE0EEENS1_30default_config_static_selectorELNS0_4arch9wavefront6targetE1EEEvSP_,"axG",@progbits,_ZN7rocprim17ROCPRIM_400000_NS6detail17trampoline_kernelINS0_14default_configENS1_27upper_bound_config_selectorIyiEEZNS1_14transform_implILb0ES3_S5_N6thrust23THRUST_200600_302600_NS6detail15normal_iteratorINS8_10device_ptrIyEEEENSA_INSB_IiEEEEZNS1_13binary_searchIS3_S5_SD_SD_SF_NS1_21upper_bound_search_opENS9_16wrapped_functionINS0_4lessIvEEbEEEE10hipError_tPvRmT1_T2_T3_mmT4_T5_P12ihipStream_tbEUlRKyE_EESM_SQ_SR_mSS_SV_bEUlT_E_NS1_11comp_targetILNS1_3genE5ELNS1_11target_archE942ELNS1_3gpuE9ELNS1_3repE0EEENS1_30default_config_static_selectorELNS0_4arch9wavefront6targetE1EEEvSP_,comdat
.Lfunc_end349:
	.size	_ZN7rocprim17ROCPRIM_400000_NS6detail17trampoline_kernelINS0_14default_configENS1_27upper_bound_config_selectorIyiEEZNS1_14transform_implILb0ES3_S5_N6thrust23THRUST_200600_302600_NS6detail15normal_iteratorINS8_10device_ptrIyEEEENSA_INSB_IiEEEEZNS1_13binary_searchIS3_S5_SD_SD_SF_NS1_21upper_bound_search_opENS9_16wrapped_functionINS0_4lessIvEEbEEEE10hipError_tPvRmT1_T2_T3_mmT4_T5_P12ihipStream_tbEUlRKyE_EESM_SQ_SR_mSS_SV_bEUlT_E_NS1_11comp_targetILNS1_3genE5ELNS1_11target_archE942ELNS1_3gpuE9ELNS1_3repE0EEENS1_30default_config_static_selectorELNS0_4arch9wavefront6targetE1EEEvSP_, .Lfunc_end349-_ZN7rocprim17ROCPRIM_400000_NS6detail17trampoline_kernelINS0_14default_configENS1_27upper_bound_config_selectorIyiEEZNS1_14transform_implILb0ES3_S5_N6thrust23THRUST_200600_302600_NS6detail15normal_iteratorINS8_10device_ptrIyEEEENSA_INSB_IiEEEEZNS1_13binary_searchIS3_S5_SD_SD_SF_NS1_21upper_bound_search_opENS9_16wrapped_functionINS0_4lessIvEEbEEEE10hipError_tPvRmT1_T2_T3_mmT4_T5_P12ihipStream_tbEUlRKyE_EESM_SQ_SR_mSS_SV_bEUlT_E_NS1_11comp_targetILNS1_3genE5ELNS1_11target_archE942ELNS1_3gpuE9ELNS1_3repE0EEENS1_30default_config_static_selectorELNS0_4arch9wavefront6targetE1EEEvSP_
                                        ; -- End function
	.section	.AMDGPU.csdata,"",@progbits
; Kernel info:
; codeLenInByte = 0
; NumSgprs: 4
; NumVgprs: 0
; NumAgprs: 0
; TotalNumVgprs: 0
; ScratchSize: 0
; MemoryBound: 0
; FloatMode: 240
; IeeeMode: 1
; LDSByteSize: 0 bytes/workgroup (compile time only)
; SGPRBlocks: 0
; VGPRBlocks: 0
; NumSGPRsForWavesPerEU: 4
; NumVGPRsForWavesPerEU: 1
; AccumOffset: 4
; Occupancy: 8
; WaveLimiterHint : 0
; COMPUTE_PGM_RSRC2:SCRATCH_EN: 0
; COMPUTE_PGM_RSRC2:USER_SGPR: 6
; COMPUTE_PGM_RSRC2:TRAP_HANDLER: 0
; COMPUTE_PGM_RSRC2:TGID_X_EN: 1
; COMPUTE_PGM_RSRC2:TGID_Y_EN: 0
; COMPUTE_PGM_RSRC2:TGID_Z_EN: 0
; COMPUTE_PGM_RSRC2:TIDIG_COMP_CNT: 0
; COMPUTE_PGM_RSRC3_GFX90A:ACCUM_OFFSET: 0
; COMPUTE_PGM_RSRC3_GFX90A:TG_SPLIT: 0
	.section	.text._ZN7rocprim17ROCPRIM_400000_NS6detail17trampoline_kernelINS0_14default_configENS1_27upper_bound_config_selectorIyiEEZNS1_14transform_implILb0ES3_S5_N6thrust23THRUST_200600_302600_NS6detail15normal_iteratorINS8_10device_ptrIyEEEENSA_INSB_IiEEEEZNS1_13binary_searchIS3_S5_SD_SD_SF_NS1_21upper_bound_search_opENS9_16wrapped_functionINS0_4lessIvEEbEEEE10hipError_tPvRmT1_T2_T3_mmT4_T5_P12ihipStream_tbEUlRKyE_EESM_SQ_SR_mSS_SV_bEUlT_E_NS1_11comp_targetILNS1_3genE4ELNS1_11target_archE910ELNS1_3gpuE8ELNS1_3repE0EEENS1_30default_config_static_selectorELNS0_4arch9wavefront6targetE1EEEvSP_,"axG",@progbits,_ZN7rocprim17ROCPRIM_400000_NS6detail17trampoline_kernelINS0_14default_configENS1_27upper_bound_config_selectorIyiEEZNS1_14transform_implILb0ES3_S5_N6thrust23THRUST_200600_302600_NS6detail15normal_iteratorINS8_10device_ptrIyEEEENSA_INSB_IiEEEEZNS1_13binary_searchIS3_S5_SD_SD_SF_NS1_21upper_bound_search_opENS9_16wrapped_functionINS0_4lessIvEEbEEEE10hipError_tPvRmT1_T2_T3_mmT4_T5_P12ihipStream_tbEUlRKyE_EESM_SQ_SR_mSS_SV_bEUlT_E_NS1_11comp_targetILNS1_3genE4ELNS1_11target_archE910ELNS1_3gpuE8ELNS1_3repE0EEENS1_30default_config_static_selectorELNS0_4arch9wavefront6targetE1EEEvSP_,comdat
	.protected	_ZN7rocprim17ROCPRIM_400000_NS6detail17trampoline_kernelINS0_14default_configENS1_27upper_bound_config_selectorIyiEEZNS1_14transform_implILb0ES3_S5_N6thrust23THRUST_200600_302600_NS6detail15normal_iteratorINS8_10device_ptrIyEEEENSA_INSB_IiEEEEZNS1_13binary_searchIS3_S5_SD_SD_SF_NS1_21upper_bound_search_opENS9_16wrapped_functionINS0_4lessIvEEbEEEE10hipError_tPvRmT1_T2_T3_mmT4_T5_P12ihipStream_tbEUlRKyE_EESM_SQ_SR_mSS_SV_bEUlT_E_NS1_11comp_targetILNS1_3genE4ELNS1_11target_archE910ELNS1_3gpuE8ELNS1_3repE0EEENS1_30default_config_static_selectorELNS0_4arch9wavefront6targetE1EEEvSP_ ; -- Begin function _ZN7rocprim17ROCPRIM_400000_NS6detail17trampoline_kernelINS0_14default_configENS1_27upper_bound_config_selectorIyiEEZNS1_14transform_implILb0ES3_S5_N6thrust23THRUST_200600_302600_NS6detail15normal_iteratorINS8_10device_ptrIyEEEENSA_INSB_IiEEEEZNS1_13binary_searchIS3_S5_SD_SD_SF_NS1_21upper_bound_search_opENS9_16wrapped_functionINS0_4lessIvEEbEEEE10hipError_tPvRmT1_T2_T3_mmT4_T5_P12ihipStream_tbEUlRKyE_EESM_SQ_SR_mSS_SV_bEUlT_E_NS1_11comp_targetILNS1_3genE4ELNS1_11target_archE910ELNS1_3gpuE8ELNS1_3repE0EEENS1_30default_config_static_selectorELNS0_4arch9wavefront6targetE1EEEvSP_
	.globl	_ZN7rocprim17ROCPRIM_400000_NS6detail17trampoline_kernelINS0_14default_configENS1_27upper_bound_config_selectorIyiEEZNS1_14transform_implILb0ES3_S5_N6thrust23THRUST_200600_302600_NS6detail15normal_iteratorINS8_10device_ptrIyEEEENSA_INSB_IiEEEEZNS1_13binary_searchIS3_S5_SD_SD_SF_NS1_21upper_bound_search_opENS9_16wrapped_functionINS0_4lessIvEEbEEEE10hipError_tPvRmT1_T2_T3_mmT4_T5_P12ihipStream_tbEUlRKyE_EESM_SQ_SR_mSS_SV_bEUlT_E_NS1_11comp_targetILNS1_3genE4ELNS1_11target_archE910ELNS1_3gpuE8ELNS1_3repE0EEENS1_30default_config_static_selectorELNS0_4arch9wavefront6targetE1EEEvSP_
	.p2align	8
	.type	_ZN7rocprim17ROCPRIM_400000_NS6detail17trampoline_kernelINS0_14default_configENS1_27upper_bound_config_selectorIyiEEZNS1_14transform_implILb0ES3_S5_N6thrust23THRUST_200600_302600_NS6detail15normal_iteratorINS8_10device_ptrIyEEEENSA_INSB_IiEEEEZNS1_13binary_searchIS3_S5_SD_SD_SF_NS1_21upper_bound_search_opENS9_16wrapped_functionINS0_4lessIvEEbEEEE10hipError_tPvRmT1_T2_T3_mmT4_T5_P12ihipStream_tbEUlRKyE_EESM_SQ_SR_mSS_SV_bEUlT_E_NS1_11comp_targetILNS1_3genE4ELNS1_11target_archE910ELNS1_3gpuE8ELNS1_3repE0EEENS1_30default_config_static_selectorELNS0_4arch9wavefront6targetE1EEEvSP_,@function
_ZN7rocprim17ROCPRIM_400000_NS6detail17trampoline_kernelINS0_14default_configENS1_27upper_bound_config_selectorIyiEEZNS1_14transform_implILb0ES3_S5_N6thrust23THRUST_200600_302600_NS6detail15normal_iteratorINS8_10device_ptrIyEEEENSA_INSB_IiEEEEZNS1_13binary_searchIS3_S5_SD_SD_SF_NS1_21upper_bound_search_opENS9_16wrapped_functionINS0_4lessIvEEbEEEE10hipError_tPvRmT1_T2_T3_mmT4_T5_P12ihipStream_tbEUlRKyE_EESM_SQ_SR_mSS_SV_bEUlT_E_NS1_11comp_targetILNS1_3genE4ELNS1_11target_archE910ELNS1_3gpuE8ELNS1_3repE0EEENS1_30default_config_static_selectorELNS0_4arch9wavefront6targetE1EEEvSP_: ; @_ZN7rocprim17ROCPRIM_400000_NS6detail17trampoline_kernelINS0_14default_configENS1_27upper_bound_config_selectorIyiEEZNS1_14transform_implILb0ES3_S5_N6thrust23THRUST_200600_302600_NS6detail15normal_iteratorINS8_10device_ptrIyEEEENSA_INSB_IiEEEEZNS1_13binary_searchIS3_S5_SD_SD_SF_NS1_21upper_bound_search_opENS9_16wrapped_functionINS0_4lessIvEEbEEEE10hipError_tPvRmT1_T2_T3_mmT4_T5_P12ihipStream_tbEUlRKyE_EESM_SQ_SR_mSS_SV_bEUlT_E_NS1_11comp_targetILNS1_3genE4ELNS1_11target_archE910ELNS1_3gpuE8ELNS1_3repE0EEENS1_30default_config_static_selectorELNS0_4arch9wavefront6targetE1EEEvSP_
; %bb.0:
	s_load_dwordx4 s[16:19], s[4:5], 0x0
	s_load_dwordx4 s[0:3], s[4:5], 0x18
	s_load_dwordx2 s[10:11], s[4:5], 0x28
	s_load_dword s15, s[4:5], 0x38
	s_waitcnt lgkmcnt(0)
	s_lshl_b64 s[8:9], s[18:19], 3
	s_add_u32 s7, s16, s8
	s_addc_u32 s14, s17, s9
	s_lshl_b64 s[8:9], s[18:19], 2
	s_add_u32 s12, s0, s8
	s_addc_u32 s13, s1, s9
	s_lshl_b32 s8, s6, 6
	s_add_i32 s15, s15, -1
	s_mov_b32 s9, 0
	s_cmp_lg_u32 s6, s15
	s_mov_b64 s[0:1], -1
	s_cbranch_scc0 .LBB350_6
; %bb.1:
	v_mov_b32_e32 v2, 0
	s_cmp_eq_u64 s[10:11], 0
	s_mov_b64 s[0:1], 0
	s_cbranch_scc1 .LBB350_5
; %bb.2:
	s_lshl_b64 s[16:17], s[8:9], 3
	s_add_u32 s6, s7, s16
	s_addc_u32 s15, s14, s17
	v_lshlrev_b32_e32 v1, 3, v0
	v_mov_b32_e32 v3, s15
	v_add_co_u32_e32 v2, vcc, s6, v1
	v_addc_co_u32_e32 v3, vcc, 0, v3, vcc
	flat_load_dwordx2 v[4:5], v[2:3]
	v_pk_mov_b32 v[2:3], 0, 0
	v_pk_mov_b32 v[6:7], s[10:11], s[10:11] op_sel:[0,1]
	v_mov_b32_e32 v1, s3
.LBB350_3:                              ; =>This Inner Loop Header: Depth=1
	v_sub_co_u32_e32 v8, vcc, v6, v2
	v_subb_co_u32_e32 v9, vcc, v7, v3, vcc
	v_lshrrev_b64 v[10:11], 1, v[8:9]
	v_add_co_u32_e32 v10, vcc, v10, v2
	v_lshrrev_b64 v[8:9], 6, v[8:9]
	v_addc_co_u32_e32 v11, vcc, v11, v3, vcc
	v_add_co_u32_e32 v8, vcc, v10, v8
	v_addc_co_u32_e32 v9, vcc, v11, v9, vcc
	v_lshlrev_b64 v[10:11], 3, v[8:9]
	v_add_co_u32_e32 v10, vcc, s2, v10
	v_addc_co_u32_e32 v11, vcc, v1, v11, vcc
	global_load_dwordx2 v[10:11], v[10:11], off
	v_add_co_u32_e32 v12, vcc, 1, v8
	v_addc_co_u32_e32 v13, vcc, 0, v9, vcc
	s_waitcnt vmcnt(0) lgkmcnt(0)
	v_cmp_gt_u64_e32 vcc, v[10:11], v[4:5]
	v_cndmask_b32_e32 v7, v7, v9, vcc
	v_cndmask_b32_e32 v6, v6, v8, vcc
	;; [unrolled: 1-line block ×4, first 2 shown]
	v_cmp_ge_u64_e32 vcc, v[2:3], v[6:7]
	s_or_b64 s[0:1], vcc, s[0:1]
	s_andn2_b64 exec, exec, s[0:1]
	s_cbranch_execnz .LBB350_3
; %bb.4:
	s_or_b64 exec, exec, s[0:1]
.LBB350_5:
	s_lshl_b64 s[0:1], s[8:9], 2
	s_add_u32 s0, s12, s0
	s_addc_u32 s1, s13, s1
	v_lshlrev_b32_e32 v1, 2, v0
	v_mov_b32_e32 v3, s1
	v_add_co_u32_e32 v4, vcc, s0, v1
	v_addc_co_u32_e32 v5, vcc, 0, v3, vcc
	s_mov_b64 s[0:1], 0
	flat_store_dword v[4:5], v2
.LBB350_6:
	s_and_b64 vcc, exec, s[0:1]
	s_cbranch_vccz .LBB350_11
; %bb.7:
	s_load_dword s0, s[4:5], 0x10
                                        ; implicit-def: $vgpr4_vgpr5
	s_waitcnt lgkmcnt(0)
	s_sub_i32 s0, s0, s8
	v_cmp_gt_u32_e32 vcc, s0, v0
	s_and_saveexec_b64 s[4:5], vcc
	s_cbranch_execnz .LBB350_12
; %bb.8:
	s_or_b64 exec, exec, s[4:5]
                                        ; implicit-def: $vgpr2
	s_and_saveexec_b64 s[4:5], vcc
	s_cbranch_execnz .LBB350_13
.LBB350_9:
	s_or_b64 exec, exec, s[4:5]
	s_and_saveexec_b64 s[0:1], vcc
	s_cbranch_execz .LBB350_11
.LBB350_10:
	s_lshl_b64 s[0:1], s[8:9], 2
	s_add_u32 s0, s12, s0
	s_addc_u32 s1, s13, s1
	v_lshlrev_b32_e32 v0, 2, v0
	v_mov_b32_e32 v1, s1
	v_add_co_u32_e32 v0, vcc, s0, v0
	v_addc_co_u32_e32 v1, vcc, 0, v1, vcc
	flat_store_dword v[0:1], v2
.LBB350_11:
	s_endpgm
.LBB350_12:
	s_lshl_b64 s[0:1], s[8:9], 3
	s_add_u32 s0, s7, s0
	s_addc_u32 s1, s14, s1
	v_lshlrev_b32_e32 v1, 3, v0
	v_mov_b32_e32 v3, s1
	v_add_co_u32_e64 v2, s[0:1], s0, v1
	v_addc_co_u32_e64 v3, s[0:1], 0, v3, s[0:1]
	flat_load_dwordx2 v[4:5], v[2:3]
	s_or_b64 exec, exec, s[4:5]
                                        ; implicit-def: $vgpr2
	s_and_saveexec_b64 s[4:5], vcc
	s_cbranch_execz .LBB350_9
.LBB350_13:
	s_cmp_eq_u64 s[10:11], 0
	s_mov_b64 s[6:7], 0
	s_cbranch_scc1 .LBB350_17
; %bb.14:
	v_pk_mov_b32 v[2:3], 0, 0
	v_pk_mov_b32 v[6:7], s[10:11], s[10:11] op_sel:[0,1]
	v_mov_b32_e32 v1, s3
.LBB350_15:                             ; =>This Inner Loop Header: Depth=1
	v_sub_co_u32_e64 v8, s[0:1], v6, v2
	v_subb_co_u32_e64 v9, s[0:1], v7, v3, s[0:1]
	v_lshrrev_b64 v[10:11], 1, v[8:9]
	v_add_co_u32_e64 v10, s[0:1], v10, v2
	v_lshrrev_b64 v[8:9], 6, v[8:9]
	v_addc_co_u32_e64 v11, s[0:1], v11, v3, s[0:1]
	v_add_co_u32_e64 v8, s[0:1], v10, v8
	v_addc_co_u32_e64 v9, s[0:1], v11, v9, s[0:1]
	v_lshlrev_b64 v[10:11], 3, v[8:9]
	v_add_co_u32_e64 v10, s[0:1], s2, v10
	v_addc_co_u32_e64 v11, s[0:1], v1, v11, s[0:1]
	global_load_dwordx2 v[10:11], v[10:11], off
	v_add_co_u32_e64 v12, s[0:1], 1, v8
	v_addc_co_u32_e64 v13, s[0:1], 0, v9, s[0:1]
	s_waitcnt vmcnt(0) lgkmcnt(0)
	v_cmp_gt_u64_e64 s[0:1], v[10:11], v[4:5]
	v_cndmask_b32_e64 v7, v7, v9, s[0:1]
	v_cndmask_b32_e64 v6, v6, v8, s[0:1]
	;; [unrolled: 1-line block ×4, first 2 shown]
	v_cmp_ge_u64_e64 s[0:1], v[2:3], v[6:7]
	s_or_b64 s[6:7], s[0:1], s[6:7]
	s_andn2_b64 exec, exec, s[6:7]
	s_cbranch_execnz .LBB350_15
; %bb.16:
	s_or_b64 exec, exec, s[6:7]
	s_or_b64 exec, exec, s[4:5]
	s_and_saveexec_b64 s[0:1], vcc
	s_cbranch_execnz .LBB350_10
	s_branch .LBB350_11
.LBB350_17:
	v_mov_b32_e32 v2, 0
	s_or_b64 exec, exec, s[4:5]
	s_and_saveexec_b64 s[0:1], vcc
	s_cbranch_execnz .LBB350_10
	s_branch .LBB350_11
	.section	.rodata,"a",@progbits
	.p2align	6, 0x0
	.amdhsa_kernel _ZN7rocprim17ROCPRIM_400000_NS6detail17trampoline_kernelINS0_14default_configENS1_27upper_bound_config_selectorIyiEEZNS1_14transform_implILb0ES3_S5_N6thrust23THRUST_200600_302600_NS6detail15normal_iteratorINS8_10device_ptrIyEEEENSA_INSB_IiEEEEZNS1_13binary_searchIS3_S5_SD_SD_SF_NS1_21upper_bound_search_opENS9_16wrapped_functionINS0_4lessIvEEbEEEE10hipError_tPvRmT1_T2_T3_mmT4_T5_P12ihipStream_tbEUlRKyE_EESM_SQ_SR_mSS_SV_bEUlT_E_NS1_11comp_targetILNS1_3genE4ELNS1_11target_archE910ELNS1_3gpuE8ELNS1_3repE0EEENS1_30default_config_static_selectorELNS0_4arch9wavefront6targetE1EEEvSP_
		.amdhsa_group_segment_fixed_size 0
		.amdhsa_private_segment_fixed_size 0
		.amdhsa_kernarg_size 312
		.amdhsa_user_sgpr_count 6
		.amdhsa_user_sgpr_private_segment_buffer 1
		.amdhsa_user_sgpr_dispatch_ptr 0
		.amdhsa_user_sgpr_queue_ptr 0
		.amdhsa_user_sgpr_kernarg_segment_ptr 1
		.amdhsa_user_sgpr_dispatch_id 0
		.amdhsa_user_sgpr_flat_scratch_init 0
		.amdhsa_user_sgpr_kernarg_preload_length 0
		.amdhsa_user_sgpr_kernarg_preload_offset 0
		.amdhsa_user_sgpr_private_segment_size 0
		.amdhsa_uses_dynamic_stack 0
		.amdhsa_system_sgpr_private_segment_wavefront_offset 0
		.amdhsa_system_sgpr_workgroup_id_x 1
		.amdhsa_system_sgpr_workgroup_id_y 0
		.amdhsa_system_sgpr_workgroup_id_z 0
		.amdhsa_system_sgpr_workgroup_info 0
		.amdhsa_system_vgpr_workitem_id 0
		.amdhsa_next_free_vgpr 14
		.amdhsa_next_free_sgpr 20
		.amdhsa_accum_offset 16
		.amdhsa_reserve_vcc 1
		.amdhsa_reserve_flat_scratch 0
		.amdhsa_float_round_mode_32 0
		.amdhsa_float_round_mode_16_64 0
		.amdhsa_float_denorm_mode_32 3
		.amdhsa_float_denorm_mode_16_64 3
		.amdhsa_dx10_clamp 1
		.amdhsa_ieee_mode 1
		.amdhsa_fp16_overflow 0
		.amdhsa_tg_split 0
		.amdhsa_exception_fp_ieee_invalid_op 0
		.amdhsa_exception_fp_denorm_src 0
		.amdhsa_exception_fp_ieee_div_zero 0
		.amdhsa_exception_fp_ieee_overflow 0
		.amdhsa_exception_fp_ieee_underflow 0
		.amdhsa_exception_fp_ieee_inexact 0
		.amdhsa_exception_int_div_zero 0
	.end_amdhsa_kernel
	.section	.text._ZN7rocprim17ROCPRIM_400000_NS6detail17trampoline_kernelINS0_14default_configENS1_27upper_bound_config_selectorIyiEEZNS1_14transform_implILb0ES3_S5_N6thrust23THRUST_200600_302600_NS6detail15normal_iteratorINS8_10device_ptrIyEEEENSA_INSB_IiEEEEZNS1_13binary_searchIS3_S5_SD_SD_SF_NS1_21upper_bound_search_opENS9_16wrapped_functionINS0_4lessIvEEbEEEE10hipError_tPvRmT1_T2_T3_mmT4_T5_P12ihipStream_tbEUlRKyE_EESM_SQ_SR_mSS_SV_bEUlT_E_NS1_11comp_targetILNS1_3genE4ELNS1_11target_archE910ELNS1_3gpuE8ELNS1_3repE0EEENS1_30default_config_static_selectorELNS0_4arch9wavefront6targetE1EEEvSP_,"axG",@progbits,_ZN7rocprim17ROCPRIM_400000_NS6detail17trampoline_kernelINS0_14default_configENS1_27upper_bound_config_selectorIyiEEZNS1_14transform_implILb0ES3_S5_N6thrust23THRUST_200600_302600_NS6detail15normal_iteratorINS8_10device_ptrIyEEEENSA_INSB_IiEEEEZNS1_13binary_searchIS3_S5_SD_SD_SF_NS1_21upper_bound_search_opENS9_16wrapped_functionINS0_4lessIvEEbEEEE10hipError_tPvRmT1_T2_T3_mmT4_T5_P12ihipStream_tbEUlRKyE_EESM_SQ_SR_mSS_SV_bEUlT_E_NS1_11comp_targetILNS1_3genE4ELNS1_11target_archE910ELNS1_3gpuE8ELNS1_3repE0EEENS1_30default_config_static_selectorELNS0_4arch9wavefront6targetE1EEEvSP_,comdat
.Lfunc_end350:
	.size	_ZN7rocprim17ROCPRIM_400000_NS6detail17trampoline_kernelINS0_14default_configENS1_27upper_bound_config_selectorIyiEEZNS1_14transform_implILb0ES3_S5_N6thrust23THRUST_200600_302600_NS6detail15normal_iteratorINS8_10device_ptrIyEEEENSA_INSB_IiEEEEZNS1_13binary_searchIS3_S5_SD_SD_SF_NS1_21upper_bound_search_opENS9_16wrapped_functionINS0_4lessIvEEbEEEE10hipError_tPvRmT1_T2_T3_mmT4_T5_P12ihipStream_tbEUlRKyE_EESM_SQ_SR_mSS_SV_bEUlT_E_NS1_11comp_targetILNS1_3genE4ELNS1_11target_archE910ELNS1_3gpuE8ELNS1_3repE0EEENS1_30default_config_static_selectorELNS0_4arch9wavefront6targetE1EEEvSP_, .Lfunc_end350-_ZN7rocprim17ROCPRIM_400000_NS6detail17trampoline_kernelINS0_14default_configENS1_27upper_bound_config_selectorIyiEEZNS1_14transform_implILb0ES3_S5_N6thrust23THRUST_200600_302600_NS6detail15normal_iteratorINS8_10device_ptrIyEEEENSA_INSB_IiEEEEZNS1_13binary_searchIS3_S5_SD_SD_SF_NS1_21upper_bound_search_opENS9_16wrapped_functionINS0_4lessIvEEbEEEE10hipError_tPvRmT1_T2_T3_mmT4_T5_P12ihipStream_tbEUlRKyE_EESM_SQ_SR_mSS_SV_bEUlT_E_NS1_11comp_targetILNS1_3genE4ELNS1_11target_archE910ELNS1_3gpuE8ELNS1_3repE0EEENS1_30default_config_static_selectorELNS0_4arch9wavefront6targetE1EEEvSP_
                                        ; -- End function
	.section	.AMDGPU.csdata,"",@progbits
; Kernel info:
; codeLenInByte = 716
; NumSgprs: 24
; NumVgprs: 14
; NumAgprs: 0
; TotalNumVgprs: 14
; ScratchSize: 0
; MemoryBound: 0
; FloatMode: 240
; IeeeMode: 1
; LDSByteSize: 0 bytes/workgroup (compile time only)
; SGPRBlocks: 2
; VGPRBlocks: 1
; NumSGPRsForWavesPerEU: 24
; NumVGPRsForWavesPerEU: 14
; AccumOffset: 16
; Occupancy: 8
; WaveLimiterHint : 0
; COMPUTE_PGM_RSRC2:SCRATCH_EN: 0
; COMPUTE_PGM_RSRC2:USER_SGPR: 6
; COMPUTE_PGM_RSRC2:TRAP_HANDLER: 0
; COMPUTE_PGM_RSRC2:TGID_X_EN: 1
; COMPUTE_PGM_RSRC2:TGID_Y_EN: 0
; COMPUTE_PGM_RSRC2:TGID_Z_EN: 0
; COMPUTE_PGM_RSRC2:TIDIG_COMP_CNT: 0
; COMPUTE_PGM_RSRC3_GFX90A:ACCUM_OFFSET: 3
; COMPUTE_PGM_RSRC3_GFX90A:TG_SPLIT: 0
	.section	.text._ZN7rocprim17ROCPRIM_400000_NS6detail17trampoline_kernelINS0_14default_configENS1_27upper_bound_config_selectorIyiEEZNS1_14transform_implILb0ES3_S5_N6thrust23THRUST_200600_302600_NS6detail15normal_iteratorINS8_10device_ptrIyEEEENSA_INSB_IiEEEEZNS1_13binary_searchIS3_S5_SD_SD_SF_NS1_21upper_bound_search_opENS9_16wrapped_functionINS0_4lessIvEEbEEEE10hipError_tPvRmT1_T2_T3_mmT4_T5_P12ihipStream_tbEUlRKyE_EESM_SQ_SR_mSS_SV_bEUlT_E_NS1_11comp_targetILNS1_3genE3ELNS1_11target_archE908ELNS1_3gpuE7ELNS1_3repE0EEENS1_30default_config_static_selectorELNS0_4arch9wavefront6targetE1EEEvSP_,"axG",@progbits,_ZN7rocprim17ROCPRIM_400000_NS6detail17trampoline_kernelINS0_14default_configENS1_27upper_bound_config_selectorIyiEEZNS1_14transform_implILb0ES3_S5_N6thrust23THRUST_200600_302600_NS6detail15normal_iteratorINS8_10device_ptrIyEEEENSA_INSB_IiEEEEZNS1_13binary_searchIS3_S5_SD_SD_SF_NS1_21upper_bound_search_opENS9_16wrapped_functionINS0_4lessIvEEbEEEE10hipError_tPvRmT1_T2_T3_mmT4_T5_P12ihipStream_tbEUlRKyE_EESM_SQ_SR_mSS_SV_bEUlT_E_NS1_11comp_targetILNS1_3genE3ELNS1_11target_archE908ELNS1_3gpuE7ELNS1_3repE0EEENS1_30default_config_static_selectorELNS0_4arch9wavefront6targetE1EEEvSP_,comdat
	.protected	_ZN7rocprim17ROCPRIM_400000_NS6detail17trampoline_kernelINS0_14default_configENS1_27upper_bound_config_selectorIyiEEZNS1_14transform_implILb0ES3_S5_N6thrust23THRUST_200600_302600_NS6detail15normal_iteratorINS8_10device_ptrIyEEEENSA_INSB_IiEEEEZNS1_13binary_searchIS3_S5_SD_SD_SF_NS1_21upper_bound_search_opENS9_16wrapped_functionINS0_4lessIvEEbEEEE10hipError_tPvRmT1_T2_T3_mmT4_T5_P12ihipStream_tbEUlRKyE_EESM_SQ_SR_mSS_SV_bEUlT_E_NS1_11comp_targetILNS1_3genE3ELNS1_11target_archE908ELNS1_3gpuE7ELNS1_3repE0EEENS1_30default_config_static_selectorELNS0_4arch9wavefront6targetE1EEEvSP_ ; -- Begin function _ZN7rocprim17ROCPRIM_400000_NS6detail17trampoline_kernelINS0_14default_configENS1_27upper_bound_config_selectorIyiEEZNS1_14transform_implILb0ES3_S5_N6thrust23THRUST_200600_302600_NS6detail15normal_iteratorINS8_10device_ptrIyEEEENSA_INSB_IiEEEEZNS1_13binary_searchIS3_S5_SD_SD_SF_NS1_21upper_bound_search_opENS9_16wrapped_functionINS0_4lessIvEEbEEEE10hipError_tPvRmT1_T2_T3_mmT4_T5_P12ihipStream_tbEUlRKyE_EESM_SQ_SR_mSS_SV_bEUlT_E_NS1_11comp_targetILNS1_3genE3ELNS1_11target_archE908ELNS1_3gpuE7ELNS1_3repE0EEENS1_30default_config_static_selectorELNS0_4arch9wavefront6targetE1EEEvSP_
	.globl	_ZN7rocprim17ROCPRIM_400000_NS6detail17trampoline_kernelINS0_14default_configENS1_27upper_bound_config_selectorIyiEEZNS1_14transform_implILb0ES3_S5_N6thrust23THRUST_200600_302600_NS6detail15normal_iteratorINS8_10device_ptrIyEEEENSA_INSB_IiEEEEZNS1_13binary_searchIS3_S5_SD_SD_SF_NS1_21upper_bound_search_opENS9_16wrapped_functionINS0_4lessIvEEbEEEE10hipError_tPvRmT1_T2_T3_mmT4_T5_P12ihipStream_tbEUlRKyE_EESM_SQ_SR_mSS_SV_bEUlT_E_NS1_11comp_targetILNS1_3genE3ELNS1_11target_archE908ELNS1_3gpuE7ELNS1_3repE0EEENS1_30default_config_static_selectorELNS0_4arch9wavefront6targetE1EEEvSP_
	.p2align	8
	.type	_ZN7rocprim17ROCPRIM_400000_NS6detail17trampoline_kernelINS0_14default_configENS1_27upper_bound_config_selectorIyiEEZNS1_14transform_implILb0ES3_S5_N6thrust23THRUST_200600_302600_NS6detail15normal_iteratorINS8_10device_ptrIyEEEENSA_INSB_IiEEEEZNS1_13binary_searchIS3_S5_SD_SD_SF_NS1_21upper_bound_search_opENS9_16wrapped_functionINS0_4lessIvEEbEEEE10hipError_tPvRmT1_T2_T3_mmT4_T5_P12ihipStream_tbEUlRKyE_EESM_SQ_SR_mSS_SV_bEUlT_E_NS1_11comp_targetILNS1_3genE3ELNS1_11target_archE908ELNS1_3gpuE7ELNS1_3repE0EEENS1_30default_config_static_selectorELNS0_4arch9wavefront6targetE1EEEvSP_,@function
_ZN7rocprim17ROCPRIM_400000_NS6detail17trampoline_kernelINS0_14default_configENS1_27upper_bound_config_selectorIyiEEZNS1_14transform_implILb0ES3_S5_N6thrust23THRUST_200600_302600_NS6detail15normal_iteratorINS8_10device_ptrIyEEEENSA_INSB_IiEEEEZNS1_13binary_searchIS3_S5_SD_SD_SF_NS1_21upper_bound_search_opENS9_16wrapped_functionINS0_4lessIvEEbEEEE10hipError_tPvRmT1_T2_T3_mmT4_T5_P12ihipStream_tbEUlRKyE_EESM_SQ_SR_mSS_SV_bEUlT_E_NS1_11comp_targetILNS1_3genE3ELNS1_11target_archE908ELNS1_3gpuE7ELNS1_3repE0EEENS1_30default_config_static_selectorELNS0_4arch9wavefront6targetE1EEEvSP_: ; @_ZN7rocprim17ROCPRIM_400000_NS6detail17trampoline_kernelINS0_14default_configENS1_27upper_bound_config_selectorIyiEEZNS1_14transform_implILb0ES3_S5_N6thrust23THRUST_200600_302600_NS6detail15normal_iteratorINS8_10device_ptrIyEEEENSA_INSB_IiEEEEZNS1_13binary_searchIS3_S5_SD_SD_SF_NS1_21upper_bound_search_opENS9_16wrapped_functionINS0_4lessIvEEbEEEE10hipError_tPvRmT1_T2_T3_mmT4_T5_P12ihipStream_tbEUlRKyE_EESM_SQ_SR_mSS_SV_bEUlT_E_NS1_11comp_targetILNS1_3genE3ELNS1_11target_archE908ELNS1_3gpuE7ELNS1_3repE0EEENS1_30default_config_static_selectorELNS0_4arch9wavefront6targetE1EEEvSP_
; %bb.0:
	.section	.rodata,"a",@progbits
	.p2align	6, 0x0
	.amdhsa_kernel _ZN7rocprim17ROCPRIM_400000_NS6detail17trampoline_kernelINS0_14default_configENS1_27upper_bound_config_selectorIyiEEZNS1_14transform_implILb0ES3_S5_N6thrust23THRUST_200600_302600_NS6detail15normal_iteratorINS8_10device_ptrIyEEEENSA_INSB_IiEEEEZNS1_13binary_searchIS3_S5_SD_SD_SF_NS1_21upper_bound_search_opENS9_16wrapped_functionINS0_4lessIvEEbEEEE10hipError_tPvRmT1_T2_T3_mmT4_T5_P12ihipStream_tbEUlRKyE_EESM_SQ_SR_mSS_SV_bEUlT_E_NS1_11comp_targetILNS1_3genE3ELNS1_11target_archE908ELNS1_3gpuE7ELNS1_3repE0EEENS1_30default_config_static_selectorELNS0_4arch9wavefront6targetE1EEEvSP_
		.amdhsa_group_segment_fixed_size 0
		.amdhsa_private_segment_fixed_size 0
		.amdhsa_kernarg_size 56
		.amdhsa_user_sgpr_count 6
		.amdhsa_user_sgpr_private_segment_buffer 1
		.amdhsa_user_sgpr_dispatch_ptr 0
		.amdhsa_user_sgpr_queue_ptr 0
		.amdhsa_user_sgpr_kernarg_segment_ptr 1
		.amdhsa_user_sgpr_dispatch_id 0
		.amdhsa_user_sgpr_flat_scratch_init 0
		.amdhsa_user_sgpr_kernarg_preload_length 0
		.amdhsa_user_sgpr_kernarg_preload_offset 0
		.amdhsa_user_sgpr_private_segment_size 0
		.amdhsa_uses_dynamic_stack 0
		.amdhsa_system_sgpr_private_segment_wavefront_offset 0
		.amdhsa_system_sgpr_workgroup_id_x 1
		.amdhsa_system_sgpr_workgroup_id_y 0
		.amdhsa_system_sgpr_workgroup_id_z 0
		.amdhsa_system_sgpr_workgroup_info 0
		.amdhsa_system_vgpr_workitem_id 0
		.amdhsa_next_free_vgpr 1
		.amdhsa_next_free_sgpr 0
		.amdhsa_accum_offset 4
		.amdhsa_reserve_vcc 0
		.amdhsa_reserve_flat_scratch 0
		.amdhsa_float_round_mode_32 0
		.amdhsa_float_round_mode_16_64 0
		.amdhsa_float_denorm_mode_32 3
		.amdhsa_float_denorm_mode_16_64 3
		.amdhsa_dx10_clamp 1
		.amdhsa_ieee_mode 1
		.amdhsa_fp16_overflow 0
		.amdhsa_tg_split 0
		.amdhsa_exception_fp_ieee_invalid_op 0
		.amdhsa_exception_fp_denorm_src 0
		.amdhsa_exception_fp_ieee_div_zero 0
		.amdhsa_exception_fp_ieee_overflow 0
		.amdhsa_exception_fp_ieee_underflow 0
		.amdhsa_exception_fp_ieee_inexact 0
		.amdhsa_exception_int_div_zero 0
	.end_amdhsa_kernel
	.section	.text._ZN7rocprim17ROCPRIM_400000_NS6detail17trampoline_kernelINS0_14default_configENS1_27upper_bound_config_selectorIyiEEZNS1_14transform_implILb0ES3_S5_N6thrust23THRUST_200600_302600_NS6detail15normal_iteratorINS8_10device_ptrIyEEEENSA_INSB_IiEEEEZNS1_13binary_searchIS3_S5_SD_SD_SF_NS1_21upper_bound_search_opENS9_16wrapped_functionINS0_4lessIvEEbEEEE10hipError_tPvRmT1_T2_T3_mmT4_T5_P12ihipStream_tbEUlRKyE_EESM_SQ_SR_mSS_SV_bEUlT_E_NS1_11comp_targetILNS1_3genE3ELNS1_11target_archE908ELNS1_3gpuE7ELNS1_3repE0EEENS1_30default_config_static_selectorELNS0_4arch9wavefront6targetE1EEEvSP_,"axG",@progbits,_ZN7rocprim17ROCPRIM_400000_NS6detail17trampoline_kernelINS0_14default_configENS1_27upper_bound_config_selectorIyiEEZNS1_14transform_implILb0ES3_S5_N6thrust23THRUST_200600_302600_NS6detail15normal_iteratorINS8_10device_ptrIyEEEENSA_INSB_IiEEEEZNS1_13binary_searchIS3_S5_SD_SD_SF_NS1_21upper_bound_search_opENS9_16wrapped_functionINS0_4lessIvEEbEEEE10hipError_tPvRmT1_T2_T3_mmT4_T5_P12ihipStream_tbEUlRKyE_EESM_SQ_SR_mSS_SV_bEUlT_E_NS1_11comp_targetILNS1_3genE3ELNS1_11target_archE908ELNS1_3gpuE7ELNS1_3repE0EEENS1_30default_config_static_selectorELNS0_4arch9wavefront6targetE1EEEvSP_,comdat
.Lfunc_end351:
	.size	_ZN7rocprim17ROCPRIM_400000_NS6detail17trampoline_kernelINS0_14default_configENS1_27upper_bound_config_selectorIyiEEZNS1_14transform_implILb0ES3_S5_N6thrust23THRUST_200600_302600_NS6detail15normal_iteratorINS8_10device_ptrIyEEEENSA_INSB_IiEEEEZNS1_13binary_searchIS3_S5_SD_SD_SF_NS1_21upper_bound_search_opENS9_16wrapped_functionINS0_4lessIvEEbEEEE10hipError_tPvRmT1_T2_T3_mmT4_T5_P12ihipStream_tbEUlRKyE_EESM_SQ_SR_mSS_SV_bEUlT_E_NS1_11comp_targetILNS1_3genE3ELNS1_11target_archE908ELNS1_3gpuE7ELNS1_3repE0EEENS1_30default_config_static_selectorELNS0_4arch9wavefront6targetE1EEEvSP_, .Lfunc_end351-_ZN7rocprim17ROCPRIM_400000_NS6detail17trampoline_kernelINS0_14default_configENS1_27upper_bound_config_selectorIyiEEZNS1_14transform_implILb0ES3_S5_N6thrust23THRUST_200600_302600_NS6detail15normal_iteratorINS8_10device_ptrIyEEEENSA_INSB_IiEEEEZNS1_13binary_searchIS3_S5_SD_SD_SF_NS1_21upper_bound_search_opENS9_16wrapped_functionINS0_4lessIvEEbEEEE10hipError_tPvRmT1_T2_T3_mmT4_T5_P12ihipStream_tbEUlRKyE_EESM_SQ_SR_mSS_SV_bEUlT_E_NS1_11comp_targetILNS1_3genE3ELNS1_11target_archE908ELNS1_3gpuE7ELNS1_3repE0EEENS1_30default_config_static_selectorELNS0_4arch9wavefront6targetE1EEEvSP_
                                        ; -- End function
	.section	.AMDGPU.csdata,"",@progbits
; Kernel info:
; codeLenInByte = 0
; NumSgprs: 4
; NumVgprs: 0
; NumAgprs: 0
; TotalNumVgprs: 0
; ScratchSize: 0
; MemoryBound: 0
; FloatMode: 240
; IeeeMode: 1
; LDSByteSize: 0 bytes/workgroup (compile time only)
; SGPRBlocks: 0
; VGPRBlocks: 0
; NumSGPRsForWavesPerEU: 4
; NumVGPRsForWavesPerEU: 1
; AccumOffset: 4
; Occupancy: 8
; WaveLimiterHint : 0
; COMPUTE_PGM_RSRC2:SCRATCH_EN: 0
; COMPUTE_PGM_RSRC2:USER_SGPR: 6
; COMPUTE_PGM_RSRC2:TRAP_HANDLER: 0
; COMPUTE_PGM_RSRC2:TGID_X_EN: 1
; COMPUTE_PGM_RSRC2:TGID_Y_EN: 0
; COMPUTE_PGM_RSRC2:TGID_Z_EN: 0
; COMPUTE_PGM_RSRC2:TIDIG_COMP_CNT: 0
; COMPUTE_PGM_RSRC3_GFX90A:ACCUM_OFFSET: 0
; COMPUTE_PGM_RSRC3_GFX90A:TG_SPLIT: 0
	.section	.text._ZN7rocprim17ROCPRIM_400000_NS6detail17trampoline_kernelINS0_14default_configENS1_27upper_bound_config_selectorIyiEEZNS1_14transform_implILb0ES3_S5_N6thrust23THRUST_200600_302600_NS6detail15normal_iteratorINS8_10device_ptrIyEEEENSA_INSB_IiEEEEZNS1_13binary_searchIS3_S5_SD_SD_SF_NS1_21upper_bound_search_opENS9_16wrapped_functionINS0_4lessIvEEbEEEE10hipError_tPvRmT1_T2_T3_mmT4_T5_P12ihipStream_tbEUlRKyE_EESM_SQ_SR_mSS_SV_bEUlT_E_NS1_11comp_targetILNS1_3genE2ELNS1_11target_archE906ELNS1_3gpuE6ELNS1_3repE0EEENS1_30default_config_static_selectorELNS0_4arch9wavefront6targetE1EEEvSP_,"axG",@progbits,_ZN7rocprim17ROCPRIM_400000_NS6detail17trampoline_kernelINS0_14default_configENS1_27upper_bound_config_selectorIyiEEZNS1_14transform_implILb0ES3_S5_N6thrust23THRUST_200600_302600_NS6detail15normal_iteratorINS8_10device_ptrIyEEEENSA_INSB_IiEEEEZNS1_13binary_searchIS3_S5_SD_SD_SF_NS1_21upper_bound_search_opENS9_16wrapped_functionINS0_4lessIvEEbEEEE10hipError_tPvRmT1_T2_T3_mmT4_T5_P12ihipStream_tbEUlRKyE_EESM_SQ_SR_mSS_SV_bEUlT_E_NS1_11comp_targetILNS1_3genE2ELNS1_11target_archE906ELNS1_3gpuE6ELNS1_3repE0EEENS1_30default_config_static_selectorELNS0_4arch9wavefront6targetE1EEEvSP_,comdat
	.protected	_ZN7rocprim17ROCPRIM_400000_NS6detail17trampoline_kernelINS0_14default_configENS1_27upper_bound_config_selectorIyiEEZNS1_14transform_implILb0ES3_S5_N6thrust23THRUST_200600_302600_NS6detail15normal_iteratorINS8_10device_ptrIyEEEENSA_INSB_IiEEEEZNS1_13binary_searchIS3_S5_SD_SD_SF_NS1_21upper_bound_search_opENS9_16wrapped_functionINS0_4lessIvEEbEEEE10hipError_tPvRmT1_T2_T3_mmT4_T5_P12ihipStream_tbEUlRKyE_EESM_SQ_SR_mSS_SV_bEUlT_E_NS1_11comp_targetILNS1_3genE2ELNS1_11target_archE906ELNS1_3gpuE6ELNS1_3repE0EEENS1_30default_config_static_selectorELNS0_4arch9wavefront6targetE1EEEvSP_ ; -- Begin function _ZN7rocprim17ROCPRIM_400000_NS6detail17trampoline_kernelINS0_14default_configENS1_27upper_bound_config_selectorIyiEEZNS1_14transform_implILb0ES3_S5_N6thrust23THRUST_200600_302600_NS6detail15normal_iteratorINS8_10device_ptrIyEEEENSA_INSB_IiEEEEZNS1_13binary_searchIS3_S5_SD_SD_SF_NS1_21upper_bound_search_opENS9_16wrapped_functionINS0_4lessIvEEbEEEE10hipError_tPvRmT1_T2_T3_mmT4_T5_P12ihipStream_tbEUlRKyE_EESM_SQ_SR_mSS_SV_bEUlT_E_NS1_11comp_targetILNS1_3genE2ELNS1_11target_archE906ELNS1_3gpuE6ELNS1_3repE0EEENS1_30default_config_static_selectorELNS0_4arch9wavefront6targetE1EEEvSP_
	.globl	_ZN7rocprim17ROCPRIM_400000_NS6detail17trampoline_kernelINS0_14default_configENS1_27upper_bound_config_selectorIyiEEZNS1_14transform_implILb0ES3_S5_N6thrust23THRUST_200600_302600_NS6detail15normal_iteratorINS8_10device_ptrIyEEEENSA_INSB_IiEEEEZNS1_13binary_searchIS3_S5_SD_SD_SF_NS1_21upper_bound_search_opENS9_16wrapped_functionINS0_4lessIvEEbEEEE10hipError_tPvRmT1_T2_T3_mmT4_T5_P12ihipStream_tbEUlRKyE_EESM_SQ_SR_mSS_SV_bEUlT_E_NS1_11comp_targetILNS1_3genE2ELNS1_11target_archE906ELNS1_3gpuE6ELNS1_3repE0EEENS1_30default_config_static_selectorELNS0_4arch9wavefront6targetE1EEEvSP_
	.p2align	8
	.type	_ZN7rocprim17ROCPRIM_400000_NS6detail17trampoline_kernelINS0_14default_configENS1_27upper_bound_config_selectorIyiEEZNS1_14transform_implILb0ES3_S5_N6thrust23THRUST_200600_302600_NS6detail15normal_iteratorINS8_10device_ptrIyEEEENSA_INSB_IiEEEEZNS1_13binary_searchIS3_S5_SD_SD_SF_NS1_21upper_bound_search_opENS9_16wrapped_functionINS0_4lessIvEEbEEEE10hipError_tPvRmT1_T2_T3_mmT4_T5_P12ihipStream_tbEUlRKyE_EESM_SQ_SR_mSS_SV_bEUlT_E_NS1_11comp_targetILNS1_3genE2ELNS1_11target_archE906ELNS1_3gpuE6ELNS1_3repE0EEENS1_30default_config_static_selectorELNS0_4arch9wavefront6targetE1EEEvSP_,@function
_ZN7rocprim17ROCPRIM_400000_NS6detail17trampoline_kernelINS0_14default_configENS1_27upper_bound_config_selectorIyiEEZNS1_14transform_implILb0ES3_S5_N6thrust23THRUST_200600_302600_NS6detail15normal_iteratorINS8_10device_ptrIyEEEENSA_INSB_IiEEEEZNS1_13binary_searchIS3_S5_SD_SD_SF_NS1_21upper_bound_search_opENS9_16wrapped_functionINS0_4lessIvEEbEEEE10hipError_tPvRmT1_T2_T3_mmT4_T5_P12ihipStream_tbEUlRKyE_EESM_SQ_SR_mSS_SV_bEUlT_E_NS1_11comp_targetILNS1_3genE2ELNS1_11target_archE906ELNS1_3gpuE6ELNS1_3repE0EEENS1_30default_config_static_selectorELNS0_4arch9wavefront6targetE1EEEvSP_: ; @_ZN7rocprim17ROCPRIM_400000_NS6detail17trampoline_kernelINS0_14default_configENS1_27upper_bound_config_selectorIyiEEZNS1_14transform_implILb0ES3_S5_N6thrust23THRUST_200600_302600_NS6detail15normal_iteratorINS8_10device_ptrIyEEEENSA_INSB_IiEEEEZNS1_13binary_searchIS3_S5_SD_SD_SF_NS1_21upper_bound_search_opENS9_16wrapped_functionINS0_4lessIvEEbEEEE10hipError_tPvRmT1_T2_T3_mmT4_T5_P12ihipStream_tbEUlRKyE_EESM_SQ_SR_mSS_SV_bEUlT_E_NS1_11comp_targetILNS1_3genE2ELNS1_11target_archE906ELNS1_3gpuE6ELNS1_3repE0EEENS1_30default_config_static_selectorELNS0_4arch9wavefront6targetE1EEEvSP_
; %bb.0:
	.section	.rodata,"a",@progbits
	.p2align	6, 0x0
	.amdhsa_kernel _ZN7rocprim17ROCPRIM_400000_NS6detail17trampoline_kernelINS0_14default_configENS1_27upper_bound_config_selectorIyiEEZNS1_14transform_implILb0ES3_S5_N6thrust23THRUST_200600_302600_NS6detail15normal_iteratorINS8_10device_ptrIyEEEENSA_INSB_IiEEEEZNS1_13binary_searchIS3_S5_SD_SD_SF_NS1_21upper_bound_search_opENS9_16wrapped_functionINS0_4lessIvEEbEEEE10hipError_tPvRmT1_T2_T3_mmT4_T5_P12ihipStream_tbEUlRKyE_EESM_SQ_SR_mSS_SV_bEUlT_E_NS1_11comp_targetILNS1_3genE2ELNS1_11target_archE906ELNS1_3gpuE6ELNS1_3repE0EEENS1_30default_config_static_selectorELNS0_4arch9wavefront6targetE1EEEvSP_
		.amdhsa_group_segment_fixed_size 0
		.amdhsa_private_segment_fixed_size 0
		.amdhsa_kernarg_size 56
		.amdhsa_user_sgpr_count 6
		.amdhsa_user_sgpr_private_segment_buffer 1
		.amdhsa_user_sgpr_dispatch_ptr 0
		.amdhsa_user_sgpr_queue_ptr 0
		.amdhsa_user_sgpr_kernarg_segment_ptr 1
		.amdhsa_user_sgpr_dispatch_id 0
		.amdhsa_user_sgpr_flat_scratch_init 0
		.amdhsa_user_sgpr_kernarg_preload_length 0
		.amdhsa_user_sgpr_kernarg_preload_offset 0
		.amdhsa_user_sgpr_private_segment_size 0
		.amdhsa_uses_dynamic_stack 0
		.amdhsa_system_sgpr_private_segment_wavefront_offset 0
		.amdhsa_system_sgpr_workgroup_id_x 1
		.amdhsa_system_sgpr_workgroup_id_y 0
		.amdhsa_system_sgpr_workgroup_id_z 0
		.amdhsa_system_sgpr_workgroup_info 0
		.amdhsa_system_vgpr_workitem_id 0
		.amdhsa_next_free_vgpr 1
		.amdhsa_next_free_sgpr 0
		.amdhsa_accum_offset 4
		.amdhsa_reserve_vcc 0
		.amdhsa_reserve_flat_scratch 0
		.amdhsa_float_round_mode_32 0
		.amdhsa_float_round_mode_16_64 0
		.amdhsa_float_denorm_mode_32 3
		.amdhsa_float_denorm_mode_16_64 3
		.amdhsa_dx10_clamp 1
		.amdhsa_ieee_mode 1
		.amdhsa_fp16_overflow 0
		.amdhsa_tg_split 0
		.amdhsa_exception_fp_ieee_invalid_op 0
		.amdhsa_exception_fp_denorm_src 0
		.amdhsa_exception_fp_ieee_div_zero 0
		.amdhsa_exception_fp_ieee_overflow 0
		.amdhsa_exception_fp_ieee_underflow 0
		.amdhsa_exception_fp_ieee_inexact 0
		.amdhsa_exception_int_div_zero 0
	.end_amdhsa_kernel
	.section	.text._ZN7rocprim17ROCPRIM_400000_NS6detail17trampoline_kernelINS0_14default_configENS1_27upper_bound_config_selectorIyiEEZNS1_14transform_implILb0ES3_S5_N6thrust23THRUST_200600_302600_NS6detail15normal_iteratorINS8_10device_ptrIyEEEENSA_INSB_IiEEEEZNS1_13binary_searchIS3_S5_SD_SD_SF_NS1_21upper_bound_search_opENS9_16wrapped_functionINS0_4lessIvEEbEEEE10hipError_tPvRmT1_T2_T3_mmT4_T5_P12ihipStream_tbEUlRKyE_EESM_SQ_SR_mSS_SV_bEUlT_E_NS1_11comp_targetILNS1_3genE2ELNS1_11target_archE906ELNS1_3gpuE6ELNS1_3repE0EEENS1_30default_config_static_selectorELNS0_4arch9wavefront6targetE1EEEvSP_,"axG",@progbits,_ZN7rocprim17ROCPRIM_400000_NS6detail17trampoline_kernelINS0_14default_configENS1_27upper_bound_config_selectorIyiEEZNS1_14transform_implILb0ES3_S5_N6thrust23THRUST_200600_302600_NS6detail15normal_iteratorINS8_10device_ptrIyEEEENSA_INSB_IiEEEEZNS1_13binary_searchIS3_S5_SD_SD_SF_NS1_21upper_bound_search_opENS9_16wrapped_functionINS0_4lessIvEEbEEEE10hipError_tPvRmT1_T2_T3_mmT4_T5_P12ihipStream_tbEUlRKyE_EESM_SQ_SR_mSS_SV_bEUlT_E_NS1_11comp_targetILNS1_3genE2ELNS1_11target_archE906ELNS1_3gpuE6ELNS1_3repE0EEENS1_30default_config_static_selectorELNS0_4arch9wavefront6targetE1EEEvSP_,comdat
.Lfunc_end352:
	.size	_ZN7rocprim17ROCPRIM_400000_NS6detail17trampoline_kernelINS0_14default_configENS1_27upper_bound_config_selectorIyiEEZNS1_14transform_implILb0ES3_S5_N6thrust23THRUST_200600_302600_NS6detail15normal_iteratorINS8_10device_ptrIyEEEENSA_INSB_IiEEEEZNS1_13binary_searchIS3_S5_SD_SD_SF_NS1_21upper_bound_search_opENS9_16wrapped_functionINS0_4lessIvEEbEEEE10hipError_tPvRmT1_T2_T3_mmT4_T5_P12ihipStream_tbEUlRKyE_EESM_SQ_SR_mSS_SV_bEUlT_E_NS1_11comp_targetILNS1_3genE2ELNS1_11target_archE906ELNS1_3gpuE6ELNS1_3repE0EEENS1_30default_config_static_selectorELNS0_4arch9wavefront6targetE1EEEvSP_, .Lfunc_end352-_ZN7rocprim17ROCPRIM_400000_NS6detail17trampoline_kernelINS0_14default_configENS1_27upper_bound_config_selectorIyiEEZNS1_14transform_implILb0ES3_S5_N6thrust23THRUST_200600_302600_NS6detail15normal_iteratorINS8_10device_ptrIyEEEENSA_INSB_IiEEEEZNS1_13binary_searchIS3_S5_SD_SD_SF_NS1_21upper_bound_search_opENS9_16wrapped_functionINS0_4lessIvEEbEEEE10hipError_tPvRmT1_T2_T3_mmT4_T5_P12ihipStream_tbEUlRKyE_EESM_SQ_SR_mSS_SV_bEUlT_E_NS1_11comp_targetILNS1_3genE2ELNS1_11target_archE906ELNS1_3gpuE6ELNS1_3repE0EEENS1_30default_config_static_selectorELNS0_4arch9wavefront6targetE1EEEvSP_
                                        ; -- End function
	.section	.AMDGPU.csdata,"",@progbits
; Kernel info:
; codeLenInByte = 0
; NumSgprs: 4
; NumVgprs: 0
; NumAgprs: 0
; TotalNumVgprs: 0
; ScratchSize: 0
; MemoryBound: 0
; FloatMode: 240
; IeeeMode: 1
; LDSByteSize: 0 bytes/workgroup (compile time only)
; SGPRBlocks: 0
; VGPRBlocks: 0
; NumSGPRsForWavesPerEU: 4
; NumVGPRsForWavesPerEU: 1
; AccumOffset: 4
; Occupancy: 8
; WaveLimiterHint : 0
; COMPUTE_PGM_RSRC2:SCRATCH_EN: 0
; COMPUTE_PGM_RSRC2:USER_SGPR: 6
; COMPUTE_PGM_RSRC2:TRAP_HANDLER: 0
; COMPUTE_PGM_RSRC2:TGID_X_EN: 1
; COMPUTE_PGM_RSRC2:TGID_Y_EN: 0
; COMPUTE_PGM_RSRC2:TGID_Z_EN: 0
; COMPUTE_PGM_RSRC2:TIDIG_COMP_CNT: 0
; COMPUTE_PGM_RSRC3_GFX90A:ACCUM_OFFSET: 0
; COMPUTE_PGM_RSRC3_GFX90A:TG_SPLIT: 0
	.section	.text._ZN7rocprim17ROCPRIM_400000_NS6detail17trampoline_kernelINS0_14default_configENS1_27upper_bound_config_selectorIyiEEZNS1_14transform_implILb0ES3_S5_N6thrust23THRUST_200600_302600_NS6detail15normal_iteratorINS8_10device_ptrIyEEEENSA_INSB_IiEEEEZNS1_13binary_searchIS3_S5_SD_SD_SF_NS1_21upper_bound_search_opENS9_16wrapped_functionINS0_4lessIvEEbEEEE10hipError_tPvRmT1_T2_T3_mmT4_T5_P12ihipStream_tbEUlRKyE_EESM_SQ_SR_mSS_SV_bEUlT_E_NS1_11comp_targetILNS1_3genE10ELNS1_11target_archE1201ELNS1_3gpuE5ELNS1_3repE0EEENS1_30default_config_static_selectorELNS0_4arch9wavefront6targetE1EEEvSP_,"axG",@progbits,_ZN7rocprim17ROCPRIM_400000_NS6detail17trampoline_kernelINS0_14default_configENS1_27upper_bound_config_selectorIyiEEZNS1_14transform_implILb0ES3_S5_N6thrust23THRUST_200600_302600_NS6detail15normal_iteratorINS8_10device_ptrIyEEEENSA_INSB_IiEEEEZNS1_13binary_searchIS3_S5_SD_SD_SF_NS1_21upper_bound_search_opENS9_16wrapped_functionINS0_4lessIvEEbEEEE10hipError_tPvRmT1_T2_T3_mmT4_T5_P12ihipStream_tbEUlRKyE_EESM_SQ_SR_mSS_SV_bEUlT_E_NS1_11comp_targetILNS1_3genE10ELNS1_11target_archE1201ELNS1_3gpuE5ELNS1_3repE0EEENS1_30default_config_static_selectorELNS0_4arch9wavefront6targetE1EEEvSP_,comdat
	.protected	_ZN7rocprim17ROCPRIM_400000_NS6detail17trampoline_kernelINS0_14default_configENS1_27upper_bound_config_selectorIyiEEZNS1_14transform_implILb0ES3_S5_N6thrust23THRUST_200600_302600_NS6detail15normal_iteratorINS8_10device_ptrIyEEEENSA_INSB_IiEEEEZNS1_13binary_searchIS3_S5_SD_SD_SF_NS1_21upper_bound_search_opENS9_16wrapped_functionINS0_4lessIvEEbEEEE10hipError_tPvRmT1_T2_T3_mmT4_T5_P12ihipStream_tbEUlRKyE_EESM_SQ_SR_mSS_SV_bEUlT_E_NS1_11comp_targetILNS1_3genE10ELNS1_11target_archE1201ELNS1_3gpuE5ELNS1_3repE0EEENS1_30default_config_static_selectorELNS0_4arch9wavefront6targetE1EEEvSP_ ; -- Begin function _ZN7rocprim17ROCPRIM_400000_NS6detail17trampoline_kernelINS0_14default_configENS1_27upper_bound_config_selectorIyiEEZNS1_14transform_implILb0ES3_S5_N6thrust23THRUST_200600_302600_NS6detail15normal_iteratorINS8_10device_ptrIyEEEENSA_INSB_IiEEEEZNS1_13binary_searchIS3_S5_SD_SD_SF_NS1_21upper_bound_search_opENS9_16wrapped_functionINS0_4lessIvEEbEEEE10hipError_tPvRmT1_T2_T3_mmT4_T5_P12ihipStream_tbEUlRKyE_EESM_SQ_SR_mSS_SV_bEUlT_E_NS1_11comp_targetILNS1_3genE10ELNS1_11target_archE1201ELNS1_3gpuE5ELNS1_3repE0EEENS1_30default_config_static_selectorELNS0_4arch9wavefront6targetE1EEEvSP_
	.globl	_ZN7rocprim17ROCPRIM_400000_NS6detail17trampoline_kernelINS0_14default_configENS1_27upper_bound_config_selectorIyiEEZNS1_14transform_implILb0ES3_S5_N6thrust23THRUST_200600_302600_NS6detail15normal_iteratorINS8_10device_ptrIyEEEENSA_INSB_IiEEEEZNS1_13binary_searchIS3_S5_SD_SD_SF_NS1_21upper_bound_search_opENS9_16wrapped_functionINS0_4lessIvEEbEEEE10hipError_tPvRmT1_T2_T3_mmT4_T5_P12ihipStream_tbEUlRKyE_EESM_SQ_SR_mSS_SV_bEUlT_E_NS1_11comp_targetILNS1_3genE10ELNS1_11target_archE1201ELNS1_3gpuE5ELNS1_3repE0EEENS1_30default_config_static_selectorELNS0_4arch9wavefront6targetE1EEEvSP_
	.p2align	8
	.type	_ZN7rocprim17ROCPRIM_400000_NS6detail17trampoline_kernelINS0_14default_configENS1_27upper_bound_config_selectorIyiEEZNS1_14transform_implILb0ES3_S5_N6thrust23THRUST_200600_302600_NS6detail15normal_iteratorINS8_10device_ptrIyEEEENSA_INSB_IiEEEEZNS1_13binary_searchIS3_S5_SD_SD_SF_NS1_21upper_bound_search_opENS9_16wrapped_functionINS0_4lessIvEEbEEEE10hipError_tPvRmT1_T2_T3_mmT4_T5_P12ihipStream_tbEUlRKyE_EESM_SQ_SR_mSS_SV_bEUlT_E_NS1_11comp_targetILNS1_3genE10ELNS1_11target_archE1201ELNS1_3gpuE5ELNS1_3repE0EEENS1_30default_config_static_selectorELNS0_4arch9wavefront6targetE1EEEvSP_,@function
_ZN7rocprim17ROCPRIM_400000_NS6detail17trampoline_kernelINS0_14default_configENS1_27upper_bound_config_selectorIyiEEZNS1_14transform_implILb0ES3_S5_N6thrust23THRUST_200600_302600_NS6detail15normal_iteratorINS8_10device_ptrIyEEEENSA_INSB_IiEEEEZNS1_13binary_searchIS3_S5_SD_SD_SF_NS1_21upper_bound_search_opENS9_16wrapped_functionINS0_4lessIvEEbEEEE10hipError_tPvRmT1_T2_T3_mmT4_T5_P12ihipStream_tbEUlRKyE_EESM_SQ_SR_mSS_SV_bEUlT_E_NS1_11comp_targetILNS1_3genE10ELNS1_11target_archE1201ELNS1_3gpuE5ELNS1_3repE0EEENS1_30default_config_static_selectorELNS0_4arch9wavefront6targetE1EEEvSP_: ; @_ZN7rocprim17ROCPRIM_400000_NS6detail17trampoline_kernelINS0_14default_configENS1_27upper_bound_config_selectorIyiEEZNS1_14transform_implILb0ES3_S5_N6thrust23THRUST_200600_302600_NS6detail15normal_iteratorINS8_10device_ptrIyEEEENSA_INSB_IiEEEEZNS1_13binary_searchIS3_S5_SD_SD_SF_NS1_21upper_bound_search_opENS9_16wrapped_functionINS0_4lessIvEEbEEEE10hipError_tPvRmT1_T2_T3_mmT4_T5_P12ihipStream_tbEUlRKyE_EESM_SQ_SR_mSS_SV_bEUlT_E_NS1_11comp_targetILNS1_3genE10ELNS1_11target_archE1201ELNS1_3gpuE5ELNS1_3repE0EEENS1_30default_config_static_selectorELNS0_4arch9wavefront6targetE1EEEvSP_
; %bb.0:
	.section	.rodata,"a",@progbits
	.p2align	6, 0x0
	.amdhsa_kernel _ZN7rocprim17ROCPRIM_400000_NS6detail17trampoline_kernelINS0_14default_configENS1_27upper_bound_config_selectorIyiEEZNS1_14transform_implILb0ES3_S5_N6thrust23THRUST_200600_302600_NS6detail15normal_iteratorINS8_10device_ptrIyEEEENSA_INSB_IiEEEEZNS1_13binary_searchIS3_S5_SD_SD_SF_NS1_21upper_bound_search_opENS9_16wrapped_functionINS0_4lessIvEEbEEEE10hipError_tPvRmT1_T2_T3_mmT4_T5_P12ihipStream_tbEUlRKyE_EESM_SQ_SR_mSS_SV_bEUlT_E_NS1_11comp_targetILNS1_3genE10ELNS1_11target_archE1201ELNS1_3gpuE5ELNS1_3repE0EEENS1_30default_config_static_selectorELNS0_4arch9wavefront6targetE1EEEvSP_
		.amdhsa_group_segment_fixed_size 0
		.amdhsa_private_segment_fixed_size 0
		.amdhsa_kernarg_size 56
		.amdhsa_user_sgpr_count 6
		.amdhsa_user_sgpr_private_segment_buffer 1
		.amdhsa_user_sgpr_dispatch_ptr 0
		.amdhsa_user_sgpr_queue_ptr 0
		.amdhsa_user_sgpr_kernarg_segment_ptr 1
		.amdhsa_user_sgpr_dispatch_id 0
		.amdhsa_user_sgpr_flat_scratch_init 0
		.amdhsa_user_sgpr_kernarg_preload_length 0
		.amdhsa_user_sgpr_kernarg_preload_offset 0
		.amdhsa_user_sgpr_private_segment_size 0
		.amdhsa_uses_dynamic_stack 0
		.amdhsa_system_sgpr_private_segment_wavefront_offset 0
		.amdhsa_system_sgpr_workgroup_id_x 1
		.amdhsa_system_sgpr_workgroup_id_y 0
		.amdhsa_system_sgpr_workgroup_id_z 0
		.amdhsa_system_sgpr_workgroup_info 0
		.amdhsa_system_vgpr_workitem_id 0
		.amdhsa_next_free_vgpr 1
		.amdhsa_next_free_sgpr 0
		.amdhsa_accum_offset 4
		.amdhsa_reserve_vcc 0
		.amdhsa_reserve_flat_scratch 0
		.amdhsa_float_round_mode_32 0
		.amdhsa_float_round_mode_16_64 0
		.amdhsa_float_denorm_mode_32 3
		.amdhsa_float_denorm_mode_16_64 3
		.amdhsa_dx10_clamp 1
		.amdhsa_ieee_mode 1
		.amdhsa_fp16_overflow 0
		.amdhsa_tg_split 0
		.amdhsa_exception_fp_ieee_invalid_op 0
		.amdhsa_exception_fp_denorm_src 0
		.amdhsa_exception_fp_ieee_div_zero 0
		.amdhsa_exception_fp_ieee_overflow 0
		.amdhsa_exception_fp_ieee_underflow 0
		.amdhsa_exception_fp_ieee_inexact 0
		.amdhsa_exception_int_div_zero 0
	.end_amdhsa_kernel
	.section	.text._ZN7rocprim17ROCPRIM_400000_NS6detail17trampoline_kernelINS0_14default_configENS1_27upper_bound_config_selectorIyiEEZNS1_14transform_implILb0ES3_S5_N6thrust23THRUST_200600_302600_NS6detail15normal_iteratorINS8_10device_ptrIyEEEENSA_INSB_IiEEEEZNS1_13binary_searchIS3_S5_SD_SD_SF_NS1_21upper_bound_search_opENS9_16wrapped_functionINS0_4lessIvEEbEEEE10hipError_tPvRmT1_T2_T3_mmT4_T5_P12ihipStream_tbEUlRKyE_EESM_SQ_SR_mSS_SV_bEUlT_E_NS1_11comp_targetILNS1_3genE10ELNS1_11target_archE1201ELNS1_3gpuE5ELNS1_3repE0EEENS1_30default_config_static_selectorELNS0_4arch9wavefront6targetE1EEEvSP_,"axG",@progbits,_ZN7rocprim17ROCPRIM_400000_NS6detail17trampoline_kernelINS0_14default_configENS1_27upper_bound_config_selectorIyiEEZNS1_14transform_implILb0ES3_S5_N6thrust23THRUST_200600_302600_NS6detail15normal_iteratorINS8_10device_ptrIyEEEENSA_INSB_IiEEEEZNS1_13binary_searchIS3_S5_SD_SD_SF_NS1_21upper_bound_search_opENS9_16wrapped_functionINS0_4lessIvEEbEEEE10hipError_tPvRmT1_T2_T3_mmT4_T5_P12ihipStream_tbEUlRKyE_EESM_SQ_SR_mSS_SV_bEUlT_E_NS1_11comp_targetILNS1_3genE10ELNS1_11target_archE1201ELNS1_3gpuE5ELNS1_3repE0EEENS1_30default_config_static_selectorELNS0_4arch9wavefront6targetE1EEEvSP_,comdat
.Lfunc_end353:
	.size	_ZN7rocprim17ROCPRIM_400000_NS6detail17trampoline_kernelINS0_14default_configENS1_27upper_bound_config_selectorIyiEEZNS1_14transform_implILb0ES3_S5_N6thrust23THRUST_200600_302600_NS6detail15normal_iteratorINS8_10device_ptrIyEEEENSA_INSB_IiEEEEZNS1_13binary_searchIS3_S5_SD_SD_SF_NS1_21upper_bound_search_opENS9_16wrapped_functionINS0_4lessIvEEbEEEE10hipError_tPvRmT1_T2_T3_mmT4_T5_P12ihipStream_tbEUlRKyE_EESM_SQ_SR_mSS_SV_bEUlT_E_NS1_11comp_targetILNS1_3genE10ELNS1_11target_archE1201ELNS1_3gpuE5ELNS1_3repE0EEENS1_30default_config_static_selectorELNS0_4arch9wavefront6targetE1EEEvSP_, .Lfunc_end353-_ZN7rocprim17ROCPRIM_400000_NS6detail17trampoline_kernelINS0_14default_configENS1_27upper_bound_config_selectorIyiEEZNS1_14transform_implILb0ES3_S5_N6thrust23THRUST_200600_302600_NS6detail15normal_iteratorINS8_10device_ptrIyEEEENSA_INSB_IiEEEEZNS1_13binary_searchIS3_S5_SD_SD_SF_NS1_21upper_bound_search_opENS9_16wrapped_functionINS0_4lessIvEEbEEEE10hipError_tPvRmT1_T2_T3_mmT4_T5_P12ihipStream_tbEUlRKyE_EESM_SQ_SR_mSS_SV_bEUlT_E_NS1_11comp_targetILNS1_3genE10ELNS1_11target_archE1201ELNS1_3gpuE5ELNS1_3repE0EEENS1_30default_config_static_selectorELNS0_4arch9wavefront6targetE1EEEvSP_
                                        ; -- End function
	.section	.AMDGPU.csdata,"",@progbits
; Kernel info:
; codeLenInByte = 0
; NumSgprs: 4
; NumVgprs: 0
; NumAgprs: 0
; TotalNumVgprs: 0
; ScratchSize: 0
; MemoryBound: 0
; FloatMode: 240
; IeeeMode: 1
; LDSByteSize: 0 bytes/workgroup (compile time only)
; SGPRBlocks: 0
; VGPRBlocks: 0
; NumSGPRsForWavesPerEU: 4
; NumVGPRsForWavesPerEU: 1
; AccumOffset: 4
; Occupancy: 8
; WaveLimiterHint : 0
; COMPUTE_PGM_RSRC2:SCRATCH_EN: 0
; COMPUTE_PGM_RSRC2:USER_SGPR: 6
; COMPUTE_PGM_RSRC2:TRAP_HANDLER: 0
; COMPUTE_PGM_RSRC2:TGID_X_EN: 1
; COMPUTE_PGM_RSRC2:TGID_Y_EN: 0
; COMPUTE_PGM_RSRC2:TGID_Z_EN: 0
; COMPUTE_PGM_RSRC2:TIDIG_COMP_CNT: 0
; COMPUTE_PGM_RSRC3_GFX90A:ACCUM_OFFSET: 0
; COMPUTE_PGM_RSRC3_GFX90A:TG_SPLIT: 0
	.section	.text._ZN7rocprim17ROCPRIM_400000_NS6detail17trampoline_kernelINS0_14default_configENS1_27upper_bound_config_selectorIyiEEZNS1_14transform_implILb0ES3_S5_N6thrust23THRUST_200600_302600_NS6detail15normal_iteratorINS8_10device_ptrIyEEEENSA_INSB_IiEEEEZNS1_13binary_searchIS3_S5_SD_SD_SF_NS1_21upper_bound_search_opENS9_16wrapped_functionINS0_4lessIvEEbEEEE10hipError_tPvRmT1_T2_T3_mmT4_T5_P12ihipStream_tbEUlRKyE_EESM_SQ_SR_mSS_SV_bEUlT_E_NS1_11comp_targetILNS1_3genE10ELNS1_11target_archE1200ELNS1_3gpuE4ELNS1_3repE0EEENS1_30default_config_static_selectorELNS0_4arch9wavefront6targetE1EEEvSP_,"axG",@progbits,_ZN7rocprim17ROCPRIM_400000_NS6detail17trampoline_kernelINS0_14default_configENS1_27upper_bound_config_selectorIyiEEZNS1_14transform_implILb0ES3_S5_N6thrust23THRUST_200600_302600_NS6detail15normal_iteratorINS8_10device_ptrIyEEEENSA_INSB_IiEEEEZNS1_13binary_searchIS3_S5_SD_SD_SF_NS1_21upper_bound_search_opENS9_16wrapped_functionINS0_4lessIvEEbEEEE10hipError_tPvRmT1_T2_T3_mmT4_T5_P12ihipStream_tbEUlRKyE_EESM_SQ_SR_mSS_SV_bEUlT_E_NS1_11comp_targetILNS1_3genE10ELNS1_11target_archE1200ELNS1_3gpuE4ELNS1_3repE0EEENS1_30default_config_static_selectorELNS0_4arch9wavefront6targetE1EEEvSP_,comdat
	.protected	_ZN7rocprim17ROCPRIM_400000_NS6detail17trampoline_kernelINS0_14default_configENS1_27upper_bound_config_selectorIyiEEZNS1_14transform_implILb0ES3_S5_N6thrust23THRUST_200600_302600_NS6detail15normal_iteratorINS8_10device_ptrIyEEEENSA_INSB_IiEEEEZNS1_13binary_searchIS3_S5_SD_SD_SF_NS1_21upper_bound_search_opENS9_16wrapped_functionINS0_4lessIvEEbEEEE10hipError_tPvRmT1_T2_T3_mmT4_T5_P12ihipStream_tbEUlRKyE_EESM_SQ_SR_mSS_SV_bEUlT_E_NS1_11comp_targetILNS1_3genE10ELNS1_11target_archE1200ELNS1_3gpuE4ELNS1_3repE0EEENS1_30default_config_static_selectorELNS0_4arch9wavefront6targetE1EEEvSP_ ; -- Begin function _ZN7rocprim17ROCPRIM_400000_NS6detail17trampoline_kernelINS0_14default_configENS1_27upper_bound_config_selectorIyiEEZNS1_14transform_implILb0ES3_S5_N6thrust23THRUST_200600_302600_NS6detail15normal_iteratorINS8_10device_ptrIyEEEENSA_INSB_IiEEEEZNS1_13binary_searchIS3_S5_SD_SD_SF_NS1_21upper_bound_search_opENS9_16wrapped_functionINS0_4lessIvEEbEEEE10hipError_tPvRmT1_T2_T3_mmT4_T5_P12ihipStream_tbEUlRKyE_EESM_SQ_SR_mSS_SV_bEUlT_E_NS1_11comp_targetILNS1_3genE10ELNS1_11target_archE1200ELNS1_3gpuE4ELNS1_3repE0EEENS1_30default_config_static_selectorELNS0_4arch9wavefront6targetE1EEEvSP_
	.globl	_ZN7rocprim17ROCPRIM_400000_NS6detail17trampoline_kernelINS0_14default_configENS1_27upper_bound_config_selectorIyiEEZNS1_14transform_implILb0ES3_S5_N6thrust23THRUST_200600_302600_NS6detail15normal_iteratorINS8_10device_ptrIyEEEENSA_INSB_IiEEEEZNS1_13binary_searchIS3_S5_SD_SD_SF_NS1_21upper_bound_search_opENS9_16wrapped_functionINS0_4lessIvEEbEEEE10hipError_tPvRmT1_T2_T3_mmT4_T5_P12ihipStream_tbEUlRKyE_EESM_SQ_SR_mSS_SV_bEUlT_E_NS1_11comp_targetILNS1_3genE10ELNS1_11target_archE1200ELNS1_3gpuE4ELNS1_3repE0EEENS1_30default_config_static_selectorELNS0_4arch9wavefront6targetE1EEEvSP_
	.p2align	8
	.type	_ZN7rocprim17ROCPRIM_400000_NS6detail17trampoline_kernelINS0_14default_configENS1_27upper_bound_config_selectorIyiEEZNS1_14transform_implILb0ES3_S5_N6thrust23THRUST_200600_302600_NS6detail15normal_iteratorINS8_10device_ptrIyEEEENSA_INSB_IiEEEEZNS1_13binary_searchIS3_S5_SD_SD_SF_NS1_21upper_bound_search_opENS9_16wrapped_functionINS0_4lessIvEEbEEEE10hipError_tPvRmT1_T2_T3_mmT4_T5_P12ihipStream_tbEUlRKyE_EESM_SQ_SR_mSS_SV_bEUlT_E_NS1_11comp_targetILNS1_3genE10ELNS1_11target_archE1200ELNS1_3gpuE4ELNS1_3repE0EEENS1_30default_config_static_selectorELNS0_4arch9wavefront6targetE1EEEvSP_,@function
_ZN7rocprim17ROCPRIM_400000_NS6detail17trampoline_kernelINS0_14default_configENS1_27upper_bound_config_selectorIyiEEZNS1_14transform_implILb0ES3_S5_N6thrust23THRUST_200600_302600_NS6detail15normal_iteratorINS8_10device_ptrIyEEEENSA_INSB_IiEEEEZNS1_13binary_searchIS3_S5_SD_SD_SF_NS1_21upper_bound_search_opENS9_16wrapped_functionINS0_4lessIvEEbEEEE10hipError_tPvRmT1_T2_T3_mmT4_T5_P12ihipStream_tbEUlRKyE_EESM_SQ_SR_mSS_SV_bEUlT_E_NS1_11comp_targetILNS1_3genE10ELNS1_11target_archE1200ELNS1_3gpuE4ELNS1_3repE0EEENS1_30default_config_static_selectorELNS0_4arch9wavefront6targetE1EEEvSP_: ; @_ZN7rocprim17ROCPRIM_400000_NS6detail17trampoline_kernelINS0_14default_configENS1_27upper_bound_config_selectorIyiEEZNS1_14transform_implILb0ES3_S5_N6thrust23THRUST_200600_302600_NS6detail15normal_iteratorINS8_10device_ptrIyEEEENSA_INSB_IiEEEEZNS1_13binary_searchIS3_S5_SD_SD_SF_NS1_21upper_bound_search_opENS9_16wrapped_functionINS0_4lessIvEEbEEEE10hipError_tPvRmT1_T2_T3_mmT4_T5_P12ihipStream_tbEUlRKyE_EESM_SQ_SR_mSS_SV_bEUlT_E_NS1_11comp_targetILNS1_3genE10ELNS1_11target_archE1200ELNS1_3gpuE4ELNS1_3repE0EEENS1_30default_config_static_selectorELNS0_4arch9wavefront6targetE1EEEvSP_
; %bb.0:
	.section	.rodata,"a",@progbits
	.p2align	6, 0x0
	.amdhsa_kernel _ZN7rocprim17ROCPRIM_400000_NS6detail17trampoline_kernelINS0_14default_configENS1_27upper_bound_config_selectorIyiEEZNS1_14transform_implILb0ES3_S5_N6thrust23THRUST_200600_302600_NS6detail15normal_iteratorINS8_10device_ptrIyEEEENSA_INSB_IiEEEEZNS1_13binary_searchIS3_S5_SD_SD_SF_NS1_21upper_bound_search_opENS9_16wrapped_functionINS0_4lessIvEEbEEEE10hipError_tPvRmT1_T2_T3_mmT4_T5_P12ihipStream_tbEUlRKyE_EESM_SQ_SR_mSS_SV_bEUlT_E_NS1_11comp_targetILNS1_3genE10ELNS1_11target_archE1200ELNS1_3gpuE4ELNS1_3repE0EEENS1_30default_config_static_selectorELNS0_4arch9wavefront6targetE1EEEvSP_
		.amdhsa_group_segment_fixed_size 0
		.amdhsa_private_segment_fixed_size 0
		.amdhsa_kernarg_size 56
		.amdhsa_user_sgpr_count 6
		.amdhsa_user_sgpr_private_segment_buffer 1
		.amdhsa_user_sgpr_dispatch_ptr 0
		.amdhsa_user_sgpr_queue_ptr 0
		.amdhsa_user_sgpr_kernarg_segment_ptr 1
		.amdhsa_user_sgpr_dispatch_id 0
		.amdhsa_user_sgpr_flat_scratch_init 0
		.amdhsa_user_sgpr_kernarg_preload_length 0
		.amdhsa_user_sgpr_kernarg_preload_offset 0
		.amdhsa_user_sgpr_private_segment_size 0
		.amdhsa_uses_dynamic_stack 0
		.amdhsa_system_sgpr_private_segment_wavefront_offset 0
		.amdhsa_system_sgpr_workgroup_id_x 1
		.amdhsa_system_sgpr_workgroup_id_y 0
		.amdhsa_system_sgpr_workgroup_id_z 0
		.amdhsa_system_sgpr_workgroup_info 0
		.amdhsa_system_vgpr_workitem_id 0
		.amdhsa_next_free_vgpr 1
		.amdhsa_next_free_sgpr 0
		.amdhsa_accum_offset 4
		.amdhsa_reserve_vcc 0
		.amdhsa_reserve_flat_scratch 0
		.amdhsa_float_round_mode_32 0
		.amdhsa_float_round_mode_16_64 0
		.amdhsa_float_denorm_mode_32 3
		.amdhsa_float_denorm_mode_16_64 3
		.amdhsa_dx10_clamp 1
		.amdhsa_ieee_mode 1
		.amdhsa_fp16_overflow 0
		.amdhsa_tg_split 0
		.amdhsa_exception_fp_ieee_invalid_op 0
		.amdhsa_exception_fp_denorm_src 0
		.amdhsa_exception_fp_ieee_div_zero 0
		.amdhsa_exception_fp_ieee_overflow 0
		.amdhsa_exception_fp_ieee_underflow 0
		.amdhsa_exception_fp_ieee_inexact 0
		.amdhsa_exception_int_div_zero 0
	.end_amdhsa_kernel
	.section	.text._ZN7rocprim17ROCPRIM_400000_NS6detail17trampoline_kernelINS0_14default_configENS1_27upper_bound_config_selectorIyiEEZNS1_14transform_implILb0ES3_S5_N6thrust23THRUST_200600_302600_NS6detail15normal_iteratorINS8_10device_ptrIyEEEENSA_INSB_IiEEEEZNS1_13binary_searchIS3_S5_SD_SD_SF_NS1_21upper_bound_search_opENS9_16wrapped_functionINS0_4lessIvEEbEEEE10hipError_tPvRmT1_T2_T3_mmT4_T5_P12ihipStream_tbEUlRKyE_EESM_SQ_SR_mSS_SV_bEUlT_E_NS1_11comp_targetILNS1_3genE10ELNS1_11target_archE1200ELNS1_3gpuE4ELNS1_3repE0EEENS1_30default_config_static_selectorELNS0_4arch9wavefront6targetE1EEEvSP_,"axG",@progbits,_ZN7rocprim17ROCPRIM_400000_NS6detail17trampoline_kernelINS0_14default_configENS1_27upper_bound_config_selectorIyiEEZNS1_14transform_implILb0ES3_S5_N6thrust23THRUST_200600_302600_NS6detail15normal_iteratorINS8_10device_ptrIyEEEENSA_INSB_IiEEEEZNS1_13binary_searchIS3_S5_SD_SD_SF_NS1_21upper_bound_search_opENS9_16wrapped_functionINS0_4lessIvEEbEEEE10hipError_tPvRmT1_T2_T3_mmT4_T5_P12ihipStream_tbEUlRKyE_EESM_SQ_SR_mSS_SV_bEUlT_E_NS1_11comp_targetILNS1_3genE10ELNS1_11target_archE1200ELNS1_3gpuE4ELNS1_3repE0EEENS1_30default_config_static_selectorELNS0_4arch9wavefront6targetE1EEEvSP_,comdat
.Lfunc_end354:
	.size	_ZN7rocprim17ROCPRIM_400000_NS6detail17trampoline_kernelINS0_14default_configENS1_27upper_bound_config_selectorIyiEEZNS1_14transform_implILb0ES3_S5_N6thrust23THRUST_200600_302600_NS6detail15normal_iteratorINS8_10device_ptrIyEEEENSA_INSB_IiEEEEZNS1_13binary_searchIS3_S5_SD_SD_SF_NS1_21upper_bound_search_opENS9_16wrapped_functionINS0_4lessIvEEbEEEE10hipError_tPvRmT1_T2_T3_mmT4_T5_P12ihipStream_tbEUlRKyE_EESM_SQ_SR_mSS_SV_bEUlT_E_NS1_11comp_targetILNS1_3genE10ELNS1_11target_archE1200ELNS1_3gpuE4ELNS1_3repE0EEENS1_30default_config_static_selectorELNS0_4arch9wavefront6targetE1EEEvSP_, .Lfunc_end354-_ZN7rocprim17ROCPRIM_400000_NS6detail17trampoline_kernelINS0_14default_configENS1_27upper_bound_config_selectorIyiEEZNS1_14transform_implILb0ES3_S5_N6thrust23THRUST_200600_302600_NS6detail15normal_iteratorINS8_10device_ptrIyEEEENSA_INSB_IiEEEEZNS1_13binary_searchIS3_S5_SD_SD_SF_NS1_21upper_bound_search_opENS9_16wrapped_functionINS0_4lessIvEEbEEEE10hipError_tPvRmT1_T2_T3_mmT4_T5_P12ihipStream_tbEUlRKyE_EESM_SQ_SR_mSS_SV_bEUlT_E_NS1_11comp_targetILNS1_3genE10ELNS1_11target_archE1200ELNS1_3gpuE4ELNS1_3repE0EEENS1_30default_config_static_selectorELNS0_4arch9wavefront6targetE1EEEvSP_
                                        ; -- End function
	.section	.AMDGPU.csdata,"",@progbits
; Kernel info:
; codeLenInByte = 0
; NumSgprs: 4
; NumVgprs: 0
; NumAgprs: 0
; TotalNumVgprs: 0
; ScratchSize: 0
; MemoryBound: 0
; FloatMode: 240
; IeeeMode: 1
; LDSByteSize: 0 bytes/workgroup (compile time only)
; SGPRBlocks: 0
; VGPRBlocks: 0
; NumSGPRsForWavesPerEU: 4
; NumVGPRsForWavesPerEU: 1
; AccumOffset: 4
; Occupancy: 8
; WaveLimiterHint : 0
; COMPUTE_PGM_RSRC2:SCRATCH_EN: 0
; COMPUTE_PGM_RSRC2:USER_SGPR: 6
; COMPUTE_PGM_RSRC2:TRAP_HANDLER: 0
; COMPUTE_PGM_RSRC2:TGID_X_EN: 1
; COMPUTE_PGM_RSRC2:TGID_Y_EN: 0
; COMPUTE_PGM_RSRC2:TGID_Z_EN: 0
; COMPUTE_PGM_RSRC2:TIDIG_COMP_CNT: 0
; COMPUTE_PGM_RSRC3_GFX90A:ACCUM_OFFSET: 0
; COMPUTE_PGM_RSRC3_GFX90A:TG_SPLIT: 0
	.section	.text._ZN7rocprim17ROCPRIM_400000_NS6detail17trampoline_kernelINS0_14default_configENS1_27upper_bound_config_selectorIyiEEZNS1_14transform_implILb0ES3_S5_N6thrust23THRUST_200600_302600_NS6detail15normal_iteratorINS8_10device_ptrIyEEEENSA_INSB_IiEEEEZNS1_13binary_searchIS3_S5_SD_SD_SF_NS1_21upper_bound_search_opENS9_16wrapped_functionINS0_4lessIvEEbEEEE10hipError_tPvRmT1_T2_T3_mmT4_T5_P12ihipStream_tbEUlRKyE_EESM_SQ_SR_mSS_SV_bEUlT_E_NS1_11comp_targetILNS1_3genE9ELNS1_11target_archE1100ELNS1_3gpuE3ELNS1_3repE0EEENS1_30default_config_static_selectorELNS0_4arch9wavefront6targetE1EEEvSP_,"axG",@progbits,_ZN7rocprim17ROCPRIM_400000_NS6detail17trampoline_kernelINS0_14default_configENS1_27upper_bound_config_selectorIyiEEZNS1_14transform_implILb0ES3_S5_N6thrust23THRUST_200600_302600_NS6detail15normal_iteratorINS8_10device_ptrIyEEEENSA_INSB_IiEEEEZNS1_13binary_searchIS3_S5_SD_SD_SF_NS1_21upper_bound_search_opENS9_16wrapped_functionINS0_4lessIvEEbEEEE10hipError_tPvRmT1_T2_T3_mmT4_T5_P12ihipStream_tbEUlRKyE_EESM_SQ_SR_mSS_SV_bEUlT_E_NS1_11comp_targetILNS1_3genE9ELNS1_11target_archE1100ELNS1_3gpuE3ELNS1_3repE0EEENS1_30default_config_static_selectorELNS0_4arch9wavefront6targetE1EEEvSP_,comdat
	.protected	_ZN7rocprim17ROCPRIM_400000_NS6detail17trampoline_kernelINS0_14default_configENS1_27upper_bound_config_selectorIyiEEZNS1_14transform_implILb0ES3_S5_N6thrust23THRUST_200600_302600_NS6detail15normal_iteratorINS8_10device_ptrIyEEEENSA_INSB_IiEEEEZNS1_13binary_searchIS3_S5_SD_SD_SF_NS1_21upper_bound_search_opENS9_16wrapped_functionINS0_4lessIvEEbEEEE10hipError_tPvRmT1_T2_T3_mmT4_T5_P12ihipStream_tbEUlRKyE_EESM_SQ_SR_mSS_SV_bEUlT_E_NS1_11comp_targetILNS1_3genE9ELNS1_11target_archE1100ELNS1_3gpuE3ELNS1_3repE0EEENS1_30default_config_static_selectorELNS0_4arch9wavefront6targetE1EEEvSP_ ; -- Begin function _ZN7rocprim17ROCPRIM_400000_NS6detail17trampoline_kernelINS0_14default_configENS1_27upper_bound_config_selectorIyiEEZNS1_14transform_implILb0ES3_S5_N6thrust23THRUST_200600_302600_NS6detail15normal_iteratorINS8_10device_ptrIyEEEENSA_INSB_IiEEEEZNS1_13binary_searchIS3_S5_SD_SD_SF_NS1_21upper_bound_search_opENS9_16wrapped_functionINS0_4lessIvEEbEEEE10hipError_tPvRmT1_T2_T3_mmT4_T5_P12ihipStream_tbEUlRKyE_EESM_SQ_SR_mSS_SV_bEUlT_E_NS1_11comp_targetILNS1_3genE9ELNS1_11target_archE1100ELNS1_3gpuE3ELNS1_3repE0EEENS1_30default_config_static_selectorELNS0_4arch9wavefront6targetE1EEEvSP_
	.globl	_ZN7rocprim17ROCPRIM_400000_NS6detail17trampoline_kernelINS0_14default_configENS1_27upper_bound_config_selectorIyiEEZNS1_14transform_implILb0ES3_S5_N6thrust23THRUST_200600_302600_NS6detail15normal_iteratorINS8_10device_ptrIyEEEENSA_INSB_IiEEEEZNS1_13binary_searchIS3_S5_SD_SD_SF_NS1_21upper_bound_search_opENS9_16wrapped_functionINS0_4lessIvEEbEEEE10hipError_tPvRmT1_T2_T3_mmT4_T5_P12ihipStream_tbEUlRKyE_EESM_SQ_SR_mSS_SV_bEUlT_E_NS1_11comp_targetILNS1_3genE9ELNS1_11target_archE1100ELNS1_3gpuE3ELNS1_3repE0EEENS1_30default_config_static_selectorELNS0_4arch9wavefront6targetE1EEEvSP_
	.p2align	8
	.type	_ZN7rocprim17ROCPRIM_400000_NS6detail17trampoline_kernelINS0_14default_configENS1_27upper_bound_config_selectorIyiEEZNS1_14transform_implILb0ES3_S5_N6thrust23THRUST_200600_302600_NS6detail15normal_iteratorINS8_10device_ptrIyEEEENSA_INSB_IiEEEEZNS1_13binary_searchIS3_S5_SD_SD_SF_NS1_21upper_bound_search_opENS9_16wrapped_functionINS0_4lessIvEEbEEEE10hipError_tPvRmT1_T2_T3_mmT4_T5_P12ihipStream_tbEUlRKyE_EESM_SQ_SR_mSS_SV_bEUlT_E_NS1_11comp_targetILNS1_3genE9ELNS1_11target_archE1100ELNS1_3gpuE3ELNS1_3repE0EEENS1_30default_config_static_selectorELNS0_4arch9wavefront6targetE1EEEvSP_,@function
_ZN7rocprim17ROCPRIM_400000_NS6detail17trampoline_kernelINS0_14default_configENS1_27upper_bound_config_selectorIyiEEZNS1_14transform_implILb0ES3_S5_N6thrust23THRUST_200600_302600_NS6detail15normal_iteratorINS8_10device_ptrIyEEEENSA_INSB_IiEEEEZNS1_13binary_searchIS3_S5_SD_SD_SF_NS1_21upper_bound_search_opENS9_16wrapped_functionINS0_4lessIvEEbEEEE10hipError_tPvRmT1_T2_T3_mmT4_T5_P12ihipStream_tbEUlRKyE_EESM_SQ_SR_mSS_SV_bEUlT_E_NS1_11comp_targetILNS1_3genE9ELNS1_11target_archE1100ELNS1_3gpuE3ELNS1_3repE0EEENS1_30default_config_static_selectorELNS0_4arch9wavefront6targetE1EEEvSP_: ; @_ZN7rocprim17ROCPRIM_400000_NS6detail17trampoline_kernelINS0_14default_configENS1_27upper_bound_config_selectorIyiEEZNS1_14transform_implILb0ES3_S5_N6thrust23THRUST_200600_302600_NS6detail15normal_iteratorINS8_10device_ptrIyEEEENSA_INSB_IiEEEEZNS1_13binary_searchIS3_S5_SD_SD_SF_NS1_21upper_bound_search_opENS9_16wrapped_functionINS0_4lessIvEEbEEEE10hipError_tPvRmT1_T2_T3_mmT4_T5_P12ihipStream_tbEUlRKyE_EESM_SQ_SR_mSS_SV_bEUlT_E_NS1_11comp_targetILNS1_3genE9ELNS1_11target_archE1100ELNS1_3gpuE3ELNS1_3repE0EEENS1_30default_config_static_selectorELNS0_4arch9wavefront6targetE1EEEvSP_
; %bb.0:
	.section	.rodata,"a",@progbits
	.p2align	6, 0x0
	.amdhsa_kernel _ZN7rocprim17ROCPRIM_400000_NS6detail17trampoline_kernelINS0_14default_configENS1_27upper_bound_config_selectorIyiEEZNS1_14transform_implILb0ES3_S5_N6thrust23THRUST_200600_302600_NS6detail15normal_iteratorINS8_10device_ptrIyEEEENSA_INSB_IiEEEEZNS1_13binary_searchIS3_S5_SD_SD_SF_NS1_21upper_bound_search_opENS9_16wrapped_functionINS0_4lessIvEEbEEEE10hipError_tPvRmT1_T2_T3_mmT4_T5_P12ihipStream_tbEUlRKyE_EESM_SQ_SR_mSS_SV_bEUlT_E_NS1_11comp_targetILNS1_3genE9ELNS1_11target_archE1100ELNS1_3gpuE3ELNS1_3repE0EEENS1_30default_config_static_selectorELNS0_4arch9wavefront6targetE1EEEvSP_
		.amdhsa_group_segment_fixed_size 0
		.amdhsa_private_segment_fixed_size 0
		.amdhsa_kernarg_size 56
		.amdhsa_user_sgpr_count 6
		.amdhsa_user_sgpr_private_segment_buffer 1
		.amdhsa_user_sgpr_dispatch_ptr 0
		.amdhsa_user_sgpr_queue_ptr 0
		.amdhsa_user_sgpr_kernarg_segment_ptr 1
		.amdhsa_user_sgpr_dispatch_id 0
		.amdhsa_user_sgpr_flat_scratch_init 0
		.amdhsa_user_sgpr_kernarg_preload_length 0
		.amdhsa_user_sgpr_kernarg_preload_offset 0
		.amdhsa_user_sgpr_private_segment_size 0
		.amdhsa_uses_dynamic_stack 0
		.amdhsa_system_sgpr_private_segment_wavefront_offset 0
		.amdhsa_system_sgpr_workgroup_id_x 1
		.amdhsa_system_sgpr_workgroup_id_y 0
		.amdhsa_system_sgpr_workgroup_id_z 0
		.amdhsa_system_sgpr_workgroup_info 0
		.amdhsa_system_vgpr_workitem_id 0
		.amdhsa_next_free_vgpr 1
		.amdhsa_next_free_sgpr 0
		.amdhsa_accum_offset 4
		.amdhsa_reserve_vcc 0
		.amdhsa_reserve_flat_scratch 0
		.amdhsa_float_round_mode_32 0
		.amdhsa_float_round_mode_16_64 0
		.amdhsa_float_denorm_mode_32 3
		.amdhsa_float_denorm_mode_16_64 3
		.amdhsa_dx10_clamp 1
		.amdhsa_ieee_mode 1
		.amdhsa_fp16_overflow 0
		.amdhsa_tg_split 0
		.amdhsa_exception_fp_ieee_invalid_op 0
		.amdhsa_exception_fp_denorm_src 0
		.amdhsa_exception_fp_ieee_div_zero 0
		.amdhsa_exception_fp_ieee_overflow 0
		.amdhsa_exception_fp_ieee_underflow 0
		.amdhsa_exception_fp_ieee_inexact 0
		.amdhsa_exception_int_div_zero 0
	.end_amdhsa_kernel
	.section	.text._ZN7rocprim17ROCPRIM_400000_NS6detail17trampoline_kernelINS0_14default_configENS1_27upper_bound_config_selectorIyiEEZNS1_14transform_implILb0ES3_S5_N6thrust23THRUST_200600_302600_NS6detail15normal_iteratorINS8_10device_ptrIyEEEENSA_INSB_IiEEEEZNS1_13binary_searchIS3_S5_SD_SD_SF_NS1_21upper_bound_search_opENS9_16wrapped_functionINS0_4lessIvEEbEEEE10hipError_tPvRmT1_T2_T3_mmT4_T5_P12ihipStream_tbEUlRKyE_EESM_SQ_SR_mSS_SV_bEUlT_E_NS1_11comp_targetILNS1_3genE9ELNS1_11target_archE1100ELNS1_3gpuE3ELNS1_3repE0EEENS1_30default_config_static_selectorELNS0_4arch9wavefront6targetE1EEEvSP_,"axG",@progbits,_ZN7rocprim17ROCPRIM_400000_NS6detail17trampoline_kernelINS0_14default_configENS1_27upper_bound_config_selectorIyiEEZNS1_14transform_implILb0ES3_S5_N6thrust23THRUST_200600_302600_NS6detail15normal_iteratorINS8_10device_ptrIyEEEENSA_INSB_IiEEEEZNS1_13binary_searchIS3_S5_SD_SD_SF_NS1_21upper_bound_search_opENS9_16wrapped_functionINS0_4lessIvEEbEEEE10hipError_tPvRmT1_T2_T3_mmT4_T5_P12ihipStream_tbEUlRKyE_EESM_SQ_SR_mSS_SV_bEUlT_E_NS1_11comp_targetILNS1_3genE9ELNS1_11target_archE1100ELNS1_3gpuE3ELNS1_3repE0EEENS1_30default_config_static_selectorELNS0_4arch9wavefront6targetE1EEEvSP_,comdat
.Lfunc_end355:
	.size	_ZN7rocprim17ROCPRIM_400000_NS6detail17trampoline_kernelINS0_14default_configENS1_27upper_bound_config_selectorIyiEEZNS1_14transform_implILb0ES3_S5_N6thrust23THRUST_200600_302600_NS6detail15normal_iteratorINS8_10device_ptrIyEEEENSA_INSB_IiEEEEZNS1_13binary_searchIS3_S5_SD_SD_SF_NS1_21upper_bound_search_opENS9_16wrapped_functionINS0_4lessIvEEbEEEE10hipError_tPvRmT1_T2_T3_mmT4_T5_P12ihipStream_tbEUlRKyE_EESM_SQ_SR_mSS_SV_bEUlT_E_NS1_11comp_targetILNS1_3genE9ELNS1_11target_archE1100ELNS1_3gpuE3ELNS1_3repE0EEENS1_30default_config_static_selectorELNS0_4arch9wavefront6targetE1EEEvSP_, .Lfunc_end355-_ZN7rocprim17ROCPRIM_400000_NS6detail17trampoline_kernelINS0_14default_configENS1_27upper_bound_config_selectorIyiEEZNS1_14transform_implILb0ES3_S5_N6thrust23THRUST_200600_302600_NS6detail15normal_iteratorINS8_10device_ptrIyEEEENSA_INSB_IiEEEEZNS1_13binary_searchIS3_S5_SD_SD_SF_NS1_21upper_bound_search_opENS9_16wrapped_functionINS0_4lessIvEEbEEEE10hipError_tPvRmT1_T2_T3_mmT4_T5_P12ihipStream_tbEUlRKyE_EESM_SQ_SR_mSS_SV_bEUlT_E_NS1_11comp_targetILNS1_3genE9ELNS1_11target_archE1100ELNS1_3gpuE3ELNS1_3repE0EEENS1_30default_config_static_selectorELNS0_4arch9wavefront6targetE1EEEvSP_
                                        ; -- End function
	.section	.AMDGPU.csdata,"",@progbits
; Kernel info:
; codeLenInByte = 0
; NumSgprs: 4
; NumVgprs: 0
; NumAgprs: 0
; TotalNumVgprs: 0
; ScratchSize: 0
; MemoryBound: 0
; FloatMode: 240
; IeeeMode: 1
; LDSByteSize: 0 bytes/workgroup (compile time only)
; SGPRBlocks: 0
; VGPRBlocks: 0
; NumSGPRsForWavesPerEU: 4
; NumVGPRsForWavesPerEU: 1
; AccumOffset: 4
; Occupancy: 8
; WaveLimiterHint : 0
; COMPUTE_PGM_RSRC2:SCRATCH_EN: 0
; COMPUTE_PGM_RSRC2:USER_SGPR: 6
; COMPUTE_PGM_RSRC2:TRAP_HANDLER: 0
; COMPUTE_PGM_RSRC2:TGID_X_EN: 1
; COMPUTE_PGM_RSRC2:TGID_Y_EN: 0
; COMPUTE_PGM_RSRC2:TGID_Z_EN: 0
; COMPUTE_PGM_RSRC2:TIDIG_COMP_CNT: 0
; COMPUTE_PGM_RSRC3_GFX90A:ACCUM_OFFSET: 0
; COMPUTE_PGM_RSRC3_GFX90A:TG_SPLIT: 0
	.section	.text._ZN7rocprim17ROCPRIM_400000_NS6detail17trampoline_kernelINS0_14default_configENS1_27upper_bound_config_selectorIyiEEZNS1_14transform_implILb0ES3_S5_N6thrust23THRUST_200600_302600_NS6detail15normal_iteratorINS8_10device_ptrIyEEEENSA_INSB_IiEEEEZNS1_13binary_searchIS3_S5_SD_SD_SF_NS1_21upper_bound_search_opENS9_16wrapped_functionINS0_4lessIvEEbEEEE10hipError_tPvRmT1_T2_T3_mmT4_T5_P12ihipStream_tbEUlRKyE_EESM_SQ_SR_mSS_SV_bEUlT_E_NS1_11comp_targetILNS1_3genE8ELNS1_11target_archE1030ELNS1_3gpuE2ELNS1_3repE0EEENS1_30default_config_static_selectorELNS0_4arch9wavefront6targetE1EEEvSP_,"axG",@progbits,_ZN7rocprim17ROCPRIM_400000_NS6detail17trampoline_kernelINS0_14default_configENS1_27upper_bound_config_selectorIyiEEZNS1_14transform_implILb0ES3_S5_N6thrust23THRUST_200600_302600_NS6detail15normal_iteratorINS8_10device_ptrIyEEEENSA_INSB_IiEEEEZNS1_13binary_searchIS3_S5_SD_SD_SF_NS1_21upper_bound_search_opENS9_16wrapped_functionINS0_4lessIvEEbEEEE10hipError_tPvRmT1_T2_T3_mmT4_T5_P12ihipStream_tbEUlRKyE_EESM_SQ_SR_mSS_SV_bEUlT_E_NS1_11comp_targetILNS1_3genE8ELNS1_11target_archE1030ELNS1_3gpuE2ELNS1_3repE0EEENS1_30default_config_static_selectorELNS0_4arch9wavefront6targetE1EEEvSP_,comdat
	.protected	_ZN7rocprim17ROCPRIM_400000_NS6detail17trampoline_kernelINS0_14default_configENS1_27upper_bound_config_selectorIyiEEZNS1_14transform_implILb0ES3_S5_N6thrust23THRUST_200600_302600_NS6detail15normal_iteratorINS8_10device_ptrIyEEEENSA_INSB_IiEEEEZNS1_13binary_searchIS3_S5_SD_SD_SF_NS1_21upper_bound_search_opENS9_16wrapped_functionINS0_4lessIvEEbEEEE10hipError_tPvRmT1_T2_T3_mmT4_T5_P12ihipStream_tbEUlRKyE_EESM_SQ_SR_mSS_SV_bEUlT_E_NS1_11comp_targetILNS1_3genE8ELNS1_11target_archE1030ELNS1_3gpuE2ELNS1_3repE0EEENS1_30default_config_static_selectorELNS0_4arch9wavefront6targetE1EEEvSP_ ; -- Begin function _ZN7rocprim17ROCPRIM_400000_NS6detail17trampoline_kernelINS0_14default_configENS1_27upper_bound_config_selectorIyiEEZNS1_14transform_implILb0ES3_S5_N6thrust23THRUST_200600_302600_NS6detail15normal_iteratorINS8_10device_ptrIyEEEENSA_INSB_IiEEEEZNS1_13binary_searchIS3_S5_SD_SD_SF_NS1_21upper_bound_search_opENS9_16wrapped_functionINS0_4lessIvEEbEEEE10hipError_tPvRmT1_T2_T3_mmT4_T5_P12ihipStream_tbEUlRKyE_EESM_SQ_SR_mSS_SV_bEUlT_E_NS1_11comp_targetILNS1_3genE8ELNS1_11target_archE1030ELNS1_3gpuE2ELNS1_3repE0EEENS1_30default_config_static_selectorELNS0_4arch9wavefront6targetE1EEEvSP_
	.globl	_ZN7rocprim17ROCPRIM_400000_NS6detail17trampoline_kernelINS0_14default_configENS1_27upper_bound_config_selectorIyiEEZNS1_14transform_implILb0ES3_S5_N6thrust23THRUST_200600_302600_NS6detail15normal_iteratorINS8_10device_ptrIyEEEENSA_INSB_IiEEEEZNS1_13binary_searchIS3_S5_SD_SD_SF_NS1_21upper_bound_search_opENS9_16wrapped_functionINS0_4lessIvEEbEEEE10hipError_tPvRmT1_T2_T3_mmT4_T5_P12ihipStream_tbEUlRKyE_EESM_SQ_SR_mSS_SV_bEUlT_E_NS1_11comp_targetILNS1_3genE8ELNS1_11target_archE1030ELNS1_3gpuE2ELNS1_3repE0EEENS1_30default_config_static_selectorELNS0_4arch9wavefront6targetE1EEEvSP_
	.p2align	8
	.type	_ZN7rocprim17ROCPRIM_400000_NS6detail17trampoline_kernelINS0_14default_configENS1_27upper_bound_config_selectorIyiEEZNS1_14transform_implILb0ES3_S5_N6thrust23THRUST_200600_302600_NS6detail15normal_iteratorINS8_10device_ptrIyEEEENSA_INSB_IiEEEEZNS1_13binary_searchIS3_S5_SD_SD_SF_NS1_21upper_bound_search_opENS9_16wrapped_functionINS0_4lessIvEEbEEEE10hipError_tPvRmT1_T2_T3_mmT4_T5_P12ihipStream_tbEUlRKyE_EESM_SQ_SR_mSS_SV_bEUlT_E_NS1_11comp_targetILNS1_3genE8ELNS1_11target_archE1030ELNS1_3gpuE2ELNS1_3repE0EEENS1_30default_config_static_selectorELNS0_4arch9wavefront6targetE1EEEvSP_,@function
_ZN7rocprim17ROCPRIM_400000_NS6detail17trampoline_kernelINS0_14default_configENS1_27upper_bound_config_selectorIyiEEZNS1_14transform_implILb0ES3_S5_N6thrust23THRUST_200600_302600_NS6detail15normal_iteratorINS8_10device_ptrIyEEEENSA_INSB_IiEEEEZNS1_13binary_searchIS3_S5_SD_SD_SF_NS1_21upper_bound_search_opENS9_16wrapped_functionINS0_4lessIvEEbEEEE10hipError_tPvRmT1_T2_T3_mmT4_T5_P12ihipStream_tbEUlRKyE_EESM_SQ_SR_mSS_SV_bEUlT_E_NS1_11comp_targetILNS1_3genE8ELNS1_11target_archE1030ELNS1_3gpuE2ELNS1_3repE0EEENS1_30default_config_static_selectorELNS0_4arch9wavefront6targetE1EEEvSP_: ; @_ZN7rocprim17ROCPRIM_400000_NS6detail17trampoline_kernelINS0_14default_configENS1_27upper_bound_config_selectorIyiEEZNS1_14transform_implILb0ES3_S5_N6thrust23THRUST_200600_302600_NS6detail15normal_iteratorINS8_10device_ptrIyEEEENSA_INSB_IiEEEEZNS1_13binary_searchIS3_S5_SD_SD_SF_NS1_21upper_bound_search_opENS9_16wrapped_functionINS0_4lessIvEEbEEEE10hipError_tPvRmT1_T2_T3_mmT4_T5_P12ihipStream_tbEUlRKyE_EESM_SQ_SR_mSS_SV_bEUlT_E_NS1_11comp_targetILNS1_3genE8ELNS1_11target_archE1030ELNS1_3gpuE2ELNS1_3repE0EEENS1_30default_config_static_selectorELNS0_4arch9wavefront6targetE1EEEvSP_
; %bb.0:
	.section	.rodata,"a",@progbits
	.p2align	6, 0x0
	.amdhsa_kernel _ZN7rocprim17ROCPRIM_400000_NS6detail17trampoline_kernelINS0_14default_configENS1_27upper_bound_config_selectorIyiEEZNS1_14transform_implILb0ES3_S5_N6thrust23THRUST_200600_302600_NS6detail15normal_iteratorINS8_10device_ptrIyEEEENSA_INSB_IiEEEEZNS1_13binary_searchIS3_S5_SD_SD_SF_NS1_21upper_bound_search_opENS9_16wrapped_functionINS0_4lessIvEEbEEEE10hipError_tPvRmT1_T2_T3_mmT4_T5_P12ihipStream_tbEUlRKyE_EESM_SQ_SR_mSS_SV_bEUlT_E_NS1_11comp_targetILNS1_3genE8ELNS1_11target_archE1030ELNS1_3gpuE2ELNS1_3repE0EEENS1_30default_config_static_selectorELNS0_4arch9wavefront6targetE1EEEvSP_
		.amdhsa_group_segment_fixed_size 0
		.amdhsa_private_segment_fixed_size 0
		.amdhsa_kernarg_size 56
		.amdhsa_user_sgpr_count 6
		.amdhsa_user_sgpr_private_segment_buffer 1
		.amdhsa_user_sgpr_dispatch_ptr 0
		.amdhsa_user_sgpr_queue_ptr 0
		.amdhsa_user_sgpr_kernarg_segment_ptr 1
		.amdhsa_user_sgpr_dispatch_id 0
		.amdhsa_user_sgpr_flat_scratch_init 0
		.amdhsa_user_sgpr_kernarg_preload_length 0
		.amdhsa_user_sgpr_kernarg_preload_offset 0
		.amdhsa_user_sgpr_private_segment_size 0
		.amdhsa_uses_dynamic_stack 0
		.amdhsa_system_sgpr_private_segment_wavefront_offset 0
		.amdhsa_system_sgpr_workgroup_id_x 1
		.amdhsa_system_sgpr_workgroup_id_y 0
		.amdhsa_system_sgpr_workgroup_id_z 0
		.amdhsa_system_sgpr_workgroup_info 0
		.amdhsa_system_vgpr_workitem_id 0
		.amdhsa_next_free_vgpr 1
		.amdhsa_next_free_sgpr 0
		.amdhsa_accum_offset 4
		.amdhsa_reserve_vcc 0
		.amdhsa_reserve_flat_scratch 0
		.amdhsa_float_round_mode_32 0
		.amdhsa_float_round_mode_16_64 0
		.amdhsa_float_denorm_mode_32 3
		.amdhsa_float_denorm_mode_16_64 3
		.amdhsa_dx10_clamp 1
		.amdhsa_ieee_mode 1
		.amdhsa_fp16_overflow 0
		.amdhsa_tg_split 0
		.amdhsa_exception_fp_ieee_invalid_op 0
		.amdhsa_exception_fp_denorm_src 0
		.amdhsa_exception_fp_ieee_div_zero 0
		.amdhsa_exception_fp_ieee_overflow 0
		.amdhsa_exception_fp_ieee_underflow 0
		.amdhsa_exception_fp_ieee_inexact 0
		.amdhsa_exception_int_div_zero 0
	.end_amdhsa_kernel
	.section	.text._ZN7rocprim17ROCPRIM_400000_NS6detail17trampoline_kernelINS0_14default_configENS1_27upper_bound_config_selectorIyiEEZNS1_14transform_implILb0ES3_S5_N6thrust23THRUST_200600_302600_NS6detail15normal_iteratorINS8_10device_ptrIyEEEENSA_INSB_IiEEEEZNS1_13binary_searchIS3_S5_SD_SD_SF_NS1_21upper_bound_search_opENS9_16wrapped_functionINS0_4lessIvEEbEEEE10hipError_tPvRmT1_T2_T3_mmT4_T5_P12ihipStream_tbEUlRKyE_EESM_SQ_SR_mSS_SV_bEUlT_E_NS1_11comp_targetILNS1_3genE8ELNS1_11target_archE1030ELNS1_3gpuE2ELNS1_3repE0EEENS1_30default_config_static_selectorELNS0_4arch9wavefront6targetE1EEEvSP_,"axG",@progbits,_ZN7rocprim17ROCPRIM_400000_NS6detail17trampoline_kernelINS0_14default_configENS1_27upper_bound_config_selectorIyiEEZNS1_14transform_implILb0ES3_S5_N6thrust23THRUST_200600_302600_NS6detail15normal_iteratorINS8_10device_ptrIyEEEENSA_INSB_IiEEEEZNS1_13binary_searchIS3_S5_SD_SD_SF_NS1_21upper_bound_search_opENS9_16wrapped_functionINS0_4lessIvEEbEEEE10hipError_tPvRmT1_T2_T3_mmT4_T5_P12ihipStream_tbEUlRKyE_EESM_SQ_SR_mSS_SV_bEUlT_E_NS1_11comp_targetILNS1_3genE8ELNS1_11target_archE1030ELNS1_3gpuE2ELNS1_3repE0EEENS1_30default_config_static_selectorELNS0_4arch9wavefront6targetE1EEEvSP_,comdat
.Lfunc_end356:
	.size	_ZN7rocprim17ROCPRIM_400000_NS6detail17trampoline_kernelINS0_14default_configENS1_27upper_bound_config_selectorIyiEEZNS1_14transform_implILb0ES3_S5_N6thrust23THRUST_200600_302600_NS6detail15normal_iteratorINS8_10device_ptrIyEEEENSA_INSB_IiEEEEZNS1_13binary_searchIS3_S5_SD_SD_SF_NS1_21upper_bound_search_opENS9_16wrapped_functionINS0_4lessIvEEbEEEE10hipError_tPvRmT1_T2_T3_mmT4_T5_P12ihipStream_tbEUlRKyE_EESM_SQ_SR_mSS_SV_bEUlT_E_NS1_11comp_targetILNS1_3genE8ELNS1_11target_archE1030ELNS1_3gpuE2ELNS1_3repE0EEENS1_30default_config_static_selectorELNS0_4arch9wavefront6targetE1EEEvSP_, .Lfunc_end356-_ZN7rocprim17ROCPRIM_400000_NS6detail17trampoline_kernelINS0_14default_configENS1_27upper_bound_config_selectorIyiEEZNS1_14transform_implILb0ES3_S5_N6thrust23THRUST_200600_302600_NS6detail15normal_iteratorINS8_10device_ptrIyEEEENSA_INSB_IiEEEEZNS1_13binary_searchIS3_S5_SD_SD_SF_NS1_21upper_bound_search_opENS9_16wrapped_functionINS0_4lessIvEEbEEEE10hipError_tPvRmT1_T2_T3_mmT4_T5_P12ihipStream_tbEUlRKyE_EESM_SQ_SR_mSS_SV_bEUlT_E_NS1_11comp_targetILNS1_3genE8ELNS1_11target_archE1030ELNS1_3gpuE2ELNS1_3repE0EEENS1_30default_config_static_selectorELNS0_4arch9wavefront6targetE1EEEvSP_
                                        ; -- End function
	.section	.AMDGPU.csdata,"",@progbits
; Kernel info:
; codeLenInByte = 0
; NumSgprs: 4
; NumVgprs: 0
; NumAgprs: 0
; TotalNumVgprs: 0
; ScratchSize: 0
; MemoryBound: 0
; FloatMode: 240
; IeeeMode: 1
; LDSByteSize: 0 bytes/workgroup (compile time only)
; SGPRBlocks: 0
; VGPRBlocks: 0
; NumSGPRsForWavesPerEU: 4
; NumVGPRsForWavesPerEU: 1
; AccumOffset: 4
; Occupancy: 8
; WaveLimiterHint : 0
; COMPUTE_PGM_RSRC2:SCRATCH_EN: 0
; COMPUTE_PGM_RSRC2:USER_SGPR: 6
; COMPUTE_PGM_RSRC2:TRAP_HANDLER: 0
; COMPUTE_PGM_RSRC2:TGID_X_EN: 1
; COMPUTE_PGM_RSRC2:TGID_Y_EN: 0
; COMPUTE_PGM_RSRC2:TGID_Z_EN: 0
; COMPUTE_PGM_RSRC2:TIDIG_COMP_CNT: 0
; COMPUTE_PGM_RSRC3_GFX90A:ACCUM_OFFSET: 0
; COMPUTE_PGM_RSRC3_GFX90A:TG_SPLIT: 0
	.section	.text._ZN7rocprim17ROCPRIM_400000_NS6detail17trampoline_kernelINS0_14default_configENS1_27upper_bound_config_selectorIjiEEZNS1_14transform_implILb0ES3_S5_N6thrust23THRUST_200600_302600_NS6detail15normal_iteratorINS8_10device_ptrIjEEEENSA_INSB_IiEEEEZNS1_13binary_searchIS3_S5_SD_SD_SF_NS1_21upper_bound_search_opENS9_16wrapped_functionINS0_4lessIvEEbEEEE10hipError_tPvRmT1_T2_T3_mmT4_T5_P12ihipStream_tbEUlRKjE_EESM_SQ_SR_mSS_SV_bEUlT_E_NS1_11comp_targetILNS1_3genE0ELNS1_11target_archE4294967295ELNS1_3gpuE0ELNS1_3repE0EEENS1_30default_config_static_selectorELNS0_4arch9wavefront6targetE1EEEvSP_,"axG",@progbits,_ZN7rocprim17ROCPRIM_400000_NS6detail17trampoline_kernelINS0_14default_configENS1_27upper_bound_config_selectorIjiEEZNS1_14transform_implILb0ES3_S5_N6thrust23THRUST_200600_302600_NS6detail15normal_iteratorINS8_10device_ptrIjEEEENSA_INSB_IiEEEEZNS1_13binary_searchIS3_S5_SD_SD_SF_NS1_21upper_bound_search_opENS9_16wrapped_functionINS0_4lessIvEEbEEEE10hipError_tPvRmT1_T2_T3_mmT4_T5_P12ihipStream_tbEUlRKjE_EESM_SQ_SR_mSS_SV_bEUlT_E_NS1_11comp_targetILNS1_3genE0ELNS1_11target_archE4294967295ELNS1_3gpuE0ELNS1_3repE0EEENS1_30default_config_static_selectorELNS0_4arch9wavefront6targetE1EEEvSP_,comdat
	.protected	_ZN7rocprim17ROCPRIM_400000_NS6detail17trampoline_kernelINS0_14default_configENS1_27upper_bound_config_selectorIjiEEZNS1_14transform_implILb0ES3_S5_N6thrust23THRUST_200600_302600_NS6detail15normal_iteratorINS8_10device_ptrIjEEEENSA_INSB_IiEEEEZNS1_13binary_searchIS3_S5_SD_SD_SF_NS1_21upper_bound_search_opENS9_16wrapped_functionINS0_4lessIvEEbEEEE10hipError_tPvRmT1_T2_T3_mmT4_T5_P12ihipStream_tbEUlRKjE_EESM_SQ_SR_mSS_SV_bEUlT_E_NS1_11comp_targetILNS1_3genE0ELNS1_11target_archE4294967295ELNS1_3gpuE0ELNS1_3repE0EEENS1_30default_config_static_selectorELNS0_4arch9wavefront6targetE1EEEvSP_ ; -- Begin function _ZN7rocprim17ROCPRIM_400000_NS6detail17trampoline_kernelINS0_14default_configENS1_27upper_bound_config_selectorIjiEEZNS1_14transform_implILb0ES3_S5_N6thrust23THRUST_200600_302600_NS6detail15normal_iteratorINS8_10device_ptrIjEEEENSA_INSB_IiEEEEZNS1_13binary_searchIS3_S5_SD_SD_SF_NS1_21upper_bound_search_opENS9_16wrapped_functionINS0_4lessIvEEbEEEE10hipError_tPvRmT1_T2_T3_mmT4_T5_P12ihipStream_tbEUlRKjE_EESM_SQ_SR_mSS_SV_bEUlT_E_NS1_11comp_targetILNS1_3genE0ELNS1_11target_archE4294967295ELNS1_3gpuE0ELNS1_3repE0EEENS1_30default_config_static_selectorELNS0_4arch9wavefront6targetE1EEEvSP_
	.globl	_ZN7rocprim17ROCPRIM_400000_NS6detail17trampoline_kernelINS0_14default_configENS1_27upper_bound_config_selectorIjiEEZNS1_14transform_implILb0ES3_S5_N6thrust23THRUST_200600_302600_NS6detail15normal_iteratorINS8_10device_ptrIjEEEENSA_INSB_IiEEEEZNS1_13binary_searchIS3_S5_SD_SD_SF_NS1_21upper_bound_search_opENS9_16wrapped_functionINS0_4lessIvEEbEEEE10hipError_tPvRmT1_T2_T3_mmT4_T5_P12ihipStream_tbEUlRKjE_EESM_SQ_SR_mSS_SV_bEUlT_E_NS1_11comp_targetILNS1_3genE0ELNS1_11target_archE4294967295ELNS1_3gpuE0ELNS1_3repE0EEENS1_30default_config_static_selectorELNS0_4arch9wavefront6targetE1EEEvSP_
	.p2align	8
	.type	_ZN7rocprim17ROCPRIM_400000_NS6detail17trampoline_kernelINS0_14default_configENS1_27upper_bound_config_selectorIjiEEZNS1_14transform_implILb0ES3_S5_N6thrust23THRUST_200600_302600_NS6detail15normal_iteratorINS8_10device_ptrIjEEEENSA_INSB_IiEEEEZNS1_13binary_searchIS3_S5_SD_SD_SF_NS1_21upper_bound_search_opENS9_16wrapped_functionINS0_4lessIvEEbEEEE10hipError_tPvRmT1_T2_T3_mmT4_T5_P12ihipStream_tbEUlRKjE_EESM_SQ_SR_mSS_SV_bEUlT_E_NS1_11comp_targetILNS1_3genE0ELNS1_11target_archE4294967295ELNS1_3gpuE0ELNS1_3repE0EEENS1_30default_config_static_selectorELNS0_4arch9wavefront6targetE1EEEvSP_,@function
_ZN7rocprim17ROCPRIM_400000_NS6detail17trampoline_kernelINS0_14default_configENS1_27upper_bound_config_selectorIjiEEZNS1_14transform_implILb0ES3_S5_N6thrust23THRUST_200600_302600_NS6detail15normal_iteratorINS8_10device_ptrIjEEEENSA_INSB_IiEEEEZNS1_13binary_searchIS3_S5_SD_SD_SF_NS1_21upper_bound_search_opENS9_16wrapped_functionINS0_4lessIvEEbEEEE10hipError_tPvRmT1_T2_T3_mmT4_T5_P12ihipStream_tbEUlRKjE_EESM_SQ_SR_mSS_SV_bEUlT_E_NS1_11comp_targetILNS1_3genE0ELNS1_11target_archE4294967295ELNS1_3gpuE0ELNS1_3repE0EEENS1_30default_config_static_selectorELNS0_4arch9wavefront6targetE1EEEvSP_: ; @_ZN7rocprim17ROCPRIM_400000_NS6detail17trampoline_kernelINS0_14default_configENS1_27upper_bound_config_selectorIjiEEZNS1_14transform_implILb0ES3_S5_N6thrust23THRUST_200600_302600_NS6detail15normal_iteratorINS8_10device_ptrIjEEEENSA_INSB_IiEEEEZNS1_13binary_searchIS3_S5_SD_SD_SF_NS1_21upper_bound_search_opENS9_16wrapped_functionINS0_4lessIvEEbEEEE10hipError_tPvRmT1_T2_T3_mmT4_T5_P12ihipStream_tbEUlRKjE_EESM_SQ_SR_mSS_SV_bEUlT_E_NS1_11comp_targetILNS1_3genE0ELNS1_11target_archE4294967295ELNS1_3gpuE0ELNS1_3repE0EEENS1_30default_config_static_selectorELNS0_4arch9wavefront6targetE1EEEvSP_
; %bb.0:
	.section	.rodata,"a",@progbits
	.p2align	6, 0x0
	.amdhsa_kernel _ZN7rocprim17ROCPRIM_400000_NS6detail17trampoline_kernelINS0_14default_configENS1_27upper_bound_config_selectorIjiEEZNS1_14transform_implILb0ES3_S5_N6thrust23THRUST_200600_302600_NS6detail15normal_iteratorINS8_10device_ptrIjEEEENSA_INSB_IiEEEEZNS1_13binary_searchIS3_S5_SD_SD_SF_NS1_21upper_bound_search_opENS9_16wrapped_functionINS0_4lessIvEEbEEEE10hipError_tPvRmT1_T2_T3_mmT4_T5_P12ihipStream_tbEUlRKjE_EESM_SQ_SR_mSS_SV_bEUlT_E_NS1_11comp_targetILNS1_3genE0ELNS1_11target_archE4294967295ELNS1_3gpuE0ELNS1_3repE0EEENS1_30default_config_static_selectorELNS0_4arch9wavefront6targetE1EEEvSP_
		.amdhsa_group_segment_fixed_size 0
		.amdhsa_private_segment_fixed_size 0
		.amdhsa_kernarg_size 56
		.amdhsa_user_sgpr_count 6
		.amdhsa_user_sgpr_private_segment_buffer 1
		.amdhsa_user_sgpr_dispatch_ptr 0
		.amdhsa_user_sgpr_queue_ptr 0
		.amdhsa_user_sgpr_kernarg_segment_ptr 1
		.amdhsa_user_sgpr_dispatch_id 0
		.amdhsa_user_sgpr_flat_scratch_init 0
		.amdhsa_user_sgpr_kernarg_preload_length 0
		.amdhsa_user_sgpr_kernarg_preload_offset 0
		.amdhsa_user_sgpr_private_segment_size 0
		.amdhsa_uses_dynamic_stack 0
		.amdhsa_system_sgpr_private_segment_wavefront_offset 0
		.amdhsa_system_sgpr_workgroup_id_x 1
		.amdhsa_system_sgpr_workgroup_id_y 0
		.amdhsa_system_sgpr_workgroup_id_z 0
		.amdhsa_system_sgpr_workgroup_info 0
		.amdhsa_system_vgpr_workitem_id 0
		.amdhsa_next_free_vgpr 1
		.amdhsa_next_free_sgpr 0
		.amdhsa_accum_offset 4
		.amdhsa_reserve_vcc 0
		.amdhsa_reserve_flat_scratch 0
		.amdhsa_float_round_mode_32 0
		.amdhsa_float_round_mode_16_64 0
		.amdhsa_float_denorm_mode_32 3
		.amdhsa_float_denorm_mode_16_64 3
		.amdhsa_dx10_clamp 1
		.amdhsa_ieee_mode 1
		.amdhsa_fp16_overflow 0
		.amdhsa_tg_split 0
		.amdhsa_exception_fp_ieee_invalid_op 0
		.amdhsa_exception_fp_denorm_src 0
		.amdhsa_exception_fp_ieee_div_zero 0
		.amdhsa_exception_fp_ieee_overflow 0
		.amdhsa_exception_fp_ieee_underflow 0
		.amdhsa_exception_fp_ieee_inexact 0
		.amdhsa_exception_int_div_zero 0
	.end_amdhsa_kernel
	.section	.text._ZN7rocprim17ROCPRIM_400000_NS6detail17trampoline_kernelINS0_14default_configENS1_27upper_bound_config_selectorIjiEEZNS1_14transform_implILb0ES3_S5_N6thrust23THRUST_200600_302600_NS6detail15normal_iteratorINS8_10device_ptrIjEEEENSA_INSB_IiEEEEZNS1_13binary_searchIS3_S5_SD_SD_SF_NS1_21upper_bound_search_opENS9_16wrapped_functionINS0_4lessIvEEbEEEE10hipError_tPvRmT1_T2_T3_mmT4_T5_P12ihipStream_tbEUlRKjE_EESM_SQ_SR_mSS_SV_bEUlT_E_NS1_11comp_targetILNS1_3genE0ELNS1_11target_archE4294967295ELNS1_3gpuE0ELNS1_3repE0EEENS1_30default_config_static_selectorELNS0_4arch9wavefront6targetE1EEEvSP_,"axG",@progbits,_ZN7rocprim17ROCPRIM_400000_NS6detail17trampoline_kernelINS0_14default_configENS1_27upper_bound_config_selectorIjiEEZNS1_14transform_implILb0ES3_S5_N6thrust23THRUST_200600_302600_NS6detail15normal_iteratorINS8_10device_ptrIjEEEENSA_INSB_IiEEEEZNS1_13binary_searchIS3_S5_SD_SD_SF_NS1_21upper_bound_search_opENS9_16wrapped_functionINS0_4lessIvEEbEEEE10hipError_tPvRmT1_T2_T3_mmT4_T5_P12ihipStream_tbEUlRKjE_EESM_SQ_SR_mSS_SV_bEUlT_E_NS1_11comp_targetILNS1_3genE0ELNS1_11target_archE4294967295ELNS1_3gpuE0ELNS1_3repE0EEENS1_30default_config_static_selectorELNS0_4arch9wavefront6targetE1EEEvSP_,comdat
.Lfunc_end357:
	.size	_ZN7rocprim17ROCPRIM_400000_NS6detail17trampoline_kernelINS0_14default_configENS1_27upper_bound_config_selectorIjiEEZNS1_14transform_implILb0ES3_S5_N6thrust23THRUST_200600_302600_NS6detail15normal_iteratorINS8_10device_ptrIjEEEENSA_INSB_IiEEEEZNS1_13binary_searchIS3_S5_SD_SD_SF_NS1_21upper_bound_search_opENS9_16wrapped_functionINS0_4lessIvEEbEEEE10hipError_tPvRmT1_T2_T3_mmT4_T5_P12ihipStream_tbEUlRKjE_EESM_SQ_SR_mSS_SV_bEUlT_E_NS1_11comp_targetILNS1_3genE0ELNS1_11target_archE4294967295ELNS1_3gpuE0ELNS1_3repE0EEENS1_30default_config_static_selectorELNS0_4arch9wavefront6targetE1EEEvSP_, .Lfunc_end357-_ZN7rocprim17ROCPRIM_400000_NS6detail17trampoline_kernelINS0_14default_configENS1_27upper_bound_config_selectorIjiEEZNS1_14transform_implILb0ES3_S5_N6thrust23THRUST_200600_302600_NS6detail15normal_iteratorINS8_10device_ptrIjEEEENSA_INSB_IiEEEEZNS1_13binary_searchIS3_S5_SD_SD_SF_NS1_21upper_bound_search_opENS9_16wrapped_functionINS0_4lessIvEEbEEEE10hipError_tPvRmT1_T2_T3_mmT4_T5_P12ihipStream_tbEUlRKjE_EESM_SQ_SR_mSS_SV_bEUlT_E_NS1_11comp_targetILNS1_3genE0ELNS1_11target_archE4294967295ELNS1_3gpuE0ELNS1_3repE0EEENS1_30default_config_static_selectorELNS0_4arch9wavefront6targetE1EEEvSP_
                                        ; -- End function
	.section	.AMDGPU.csdata,"",@progbits
; Kernel info:
; codeLenInByte = 0
; NumSgprs: 4
; NumVgprs: 0
; NumAgprs: 0
; TotalNumVgprs: 0
; ScratchSize: 0
; MemoryBound: 0
; FloatMode: 240
; IeeeMode: 1
; LDSByteSize: 0 bytes/workgroup (compile time only)
; SGPRBlocks: 0
; VGPRBlocks: 0
; NumSGPRsForWavesPerEU: 4
; NumVGPRsForWavesPerEU: 1
; AccumOffset: 4
; Occupancy: 8
; WaveLimiterHint : 0
; COMPUTE_PGM_RSRC2:SCRATCH_EN: 0
; COMPUTE_PGM_RSRC2:USER_SGPR: 6
; COMPUTE_PGM_RSRC2:TRAP_HANDLER: 0
; COMPUTE_PGM_RSRC2:TGID_X_EN: 1
; COMPUTE_PGM_RSRC2:TGID_Y_EN: 0
; COMPUTE_PGM_RSRC2:TGID_Z_EN: 0
; COMPUTE_PGM_RSRC2:TIDIG_COMP_CNT: 0
; COMPUTE_PGM_RSRC3_GFX90A:ACCUM_OFFSET: 0
; COMPUTE_PGM_RSRC3_GFX90A:TG_SPLIT: 0
	.section	.text._ZN7rocprim17ROCPRIM_400000_NS6detail17trampoline_kernelINS0_14default_configENS1_27upper_bound_config_selectorIjiEEZNS1_14transform_implILb0ES3_S5_N6thrust23THRUST_200600_302600_NS6detail15normal_iteratorINS8_10device_ptrIjEEEENSA_INSB_IiEEEEZNS1_13binary_searchIS3_S5_SD_SD_SF_NS1_21upper_bound_search_opENS9_16wrapped_functionINS0_4lessIvEEbEEEE10hipError_tPvRmT1_T2_T3_mmT4_T5_P12ihipStream_tbEUlRKjE_EESM_SQ_SR_mSS_SV_bEUlT_E_NS1_11comp_targetILNS1_3genE5ELNS1_11target_archE942ELNS1_3gpuE9ELNS1_3repE0EEENS1_30default_config_static_selectorELNS0_4arch9wavefront6targetE1EEEvSP_,"axG",@progbits,_ZN7rocprim17ROCPRIM_400000_NS6detail17trampoline_kernelINS0_14default_configENS1_27upper_bound_config_selectorIjiEEZNS1_14transform_implILb0ES3_S5_N6thrust23THRUST_200600_302600_NS6detail15normal_iteratorINS8_10device_ptrIjEEEENSA_INSB_IiEEEEZNS1_13binary_searchIS3_S5_SD_SD_SF_NS1_21upper_bound_search_opENS9_16wrapped_functionINS0_4lessIvEEbEEEE10hipError_tPvRmT1_T2_T3_mmT4_T5_P12ihipStream_tbEUlRKjE_EESM_SQ_SR_mSS_SV_bEUlT_E_NS1_11comp_targetILNS1_3genE5ELNS1_11target_archE942ELNS1_3gpuE9ELNS1_3repE0EEENS1_30default_config_static_selectorELNS0_4arch9wavefront6targetE1EEEvSP_,comdat
	.protected	_ZN7rocprim17ROCPRIM_400000_NS6detail17trampoline_kernelINS0_14default_configENS1_27upper_bound_config_selectorIjiEEZNS1_14transform_implILb0ES3_S5_N6thrust23THRUST_200600_302600_NS6detail15normal_iteratorINS8_10device_ptrIjEEEENSA_INSB_IiEEEEZNS1_13binary_searchIS3_S5_SD_SD_SF_NS1_21upper_bound_search_opENS9_16wrapped_functionINS0_4lessIvEEbEEEE10hipError_tPvRmT1_T2_T3_mmT4_T5_P12ihipStream_tbEUlRKjE_EESM_SQ_SR_mSS_SV_bEUlT_E_NS1_11comp_targetILNS1_3genE5ELNS1_11target_archE942ELNS1_3gpuE9ELNS1_3repE0EEENS1_30default_config_static_selectorELNS0_4arch9wavefront6targetE1EEEvSP_ ; -- Begin function _ZN7rocprim17ROCPRIM_400000_NS6detail17trampoline_kernelINS0_14default_configENS1_27upper_bound_config_selectorIjiEEZNS1_14transform_implILb0ES3_S5_N6thrust23THRUST_200600_302600_NS6detail15normal_iteratorINS8_10device_ptrIjEEEENSA_INSB_IiEEEEZNS1_13binary_searchIS3_S5_SD_SD_SF_NS1_21upper_bound_search_opENS9_16wrapped_functionINS0_4lessIvEEbEEEE10hipError_tPvRmT1_T2_T3_mmT4_T5_P12ihipStream_tbEUlRKjE_EESM_SQ_SR_mSS_SV_bEUlT_E_NS1_11comp_targetILNS1_3genE5ELNS1_11target_archE942ELNS1_3gpuE9ELNS1_3repE0EEENS1_30default_config_static_selectorELNS0_4arch9wavefront6targetE1EEEvSP_
	.globl	_ZN7rocprim17ROCPRIM_400000_NS6detail17trampoline_kernelINS0_14default_configENS1_27upper_bound_config_selectorIjiEEZNS1_14transform_implILb0ES3_S5_N6thrust23THRUST_200600_302600_NS6detail15normal_iteratorINS8_10device_ptrIjEEEENSA_INSB_IiEEEEZNS1_13binary_searchIS3_S5_SD_SD_SF_NS1_21upper_bound_search_opENS9_16wrapped_functionINS0_4lessIvEEbEEEE10hipError_tPvRmT1_T2_T3_mmT4_T5_P12ihipStream_tbEUlRKjE_EESM_SQ_SR_mSS_SV_bEUlT_E_NS1_11comp_targetILNS1_3genE5ELNS1_11target_archE942ELNS1_3gpuE9ELNS1_3repE0EEENS1_30default_config_static_selectorELNS0_4arch9wavefront6targetE1EEEvSP_
	.p2align	8
	.type	_ZN7rocprim17ROCPRIM_400000_NS6detail17trampoline_kernelINS0_14default_configENS1_27upper_bound_config_selectorIjiEEZNS1_14transform_implILb0ES3_S5_N6thrust23THRUST_200600_302600_NS6detail15normal_iteratorINS8_10device_ptrIjEEEENSA_INSB_IiEEEEZNS1_13binary_searchIS3_S5_SD_SD_SF_NS1_21upper_bound_search_opENS9_16wrapped_functionINS0_4lessIvEEbEEEE10hipError_tPvRmT1_T2_T3_mmT4_T5_P12ihipStream_tbEUlRKjE_EESM_SQ_SR_mSS_SV_bEUlT_E_NS1_11comp_targetILNS1_3genE5ELNS1_11target_archE942ELNS1_3gpuE9ELNS1_3repE0EEENS1_30default_config_static_selectorELNS0_4arch9wavefront6targetE1EEEvSP_,@function
_ZN7rocprim17ROCPRIM_400000_NS6detail17trampoline_kernelINS0_14default_configENS1_27upper_bound_config_selectorIjiEEZNS1_14transform_implILb0ES3_S5_N6thrust23THRUST_200600_302600_NS6detail15normal_iteratorINS8_10device_ptrIjEEEENSA_INSB_IiEEEEZNS1_13binary_searchIS3_S5_SD_SD_SF_NS1_21upper_bound_search_opENS9_16wrapped_functionINS0_4lessIvEEbEEEE10hipError_tPvRmT1_T2_T3_mmT4_T5_P12ihipStream_tbEUlRKjE_EESM_SQ_SR_mSS_SV_bEUlT_E_NS1_11comp_targetILNS1_3genE5ELNS1_11target_archE942ELNS1_3gpuE9ELNS1_3repE0EEENS1_30default_config_static_selectorELNS0_4arch9wavefront6targetE1EEEvSP_: ; @_ZN7rocprim17ROCPRIM_400000_NS6detail17trampoline_kernelINS0_14default_configENS1_27upper_bound_config_selectorIjiEEZNS1_14transform_implILb0ES3_S5_N6thrust23THRUST_200600_302600_NS6detail15normal_iteratorINS8_10device_ptrIjEEEENSA_INSB_IiEEEEZNS1_13binary_searchIS3_S5_SD_SD_SF_NS1_21upper_bound_search_opENS9_16wrapped_functionINS0_4lessIvEEbEEEE10hipError_tPvRmT1_T2_T3_mmT4_T5_P12ihipStream_tbEUlRKjE_EESM_SQ_SR_mSS_SV_bEUlT_E_NS1_11comp_targetILNS1_3genE5ELNS1_11target_archE942ELNS1_3gpuE9ELNS1_3repE0EEENS1_30default_config_static_selectorELNS0_4arch9wavefront6targetE1EEEvSP_
; %bb.0:
	.section	.rodata,"a",@progbits
	.p2align	6, 0x0
	.amdhsa_kernel _ZN7rocprim17ROCPRIM_400000_NS6detail17trampoline_kernelINS0_14default_configENS1_27upper_bound_config_selectorIjiEEZNS1_14transform_implILb0ES3_S5_N6thrust23THRUST_200600_302600_NS6detail15normal_iteratorINS8_10device_ptrIjEEEENSA_INSB_IiEEEEZNS1_13binary_searchIS3_S5_SD_SD_SF_NS1_21upper_bound_search_opENS9_16wrapped_functionINS0_4lessIvEEbEEEE10hipError_tPvRmT1_T2_T3_mmT4_T5_P12ihipStream_tbEUlRKjE_EESM_SQ_SR_mSS_SV_bEUlT_E_NS1_11comp_targetILNS1_3genE5ELNS1_11target_archE942ELNS1_3gpuE9ELNS1_3repE0EEENS1_30default_config_static_selectorELNS0_4arch9wavefront6targetE1EEEvSP_
		.amdhsa_group_segment_fixed_size 0
		.amdhsa_private_segment_fixed_size 0
		.amdhsa_kernarg_size 56
		.amdhsa_user_sgpr_count 6
		.amdhsa_user_sgpr_private_segment_buffer 1
		.amdhsa_user_sgpr_dispatch_ptr 0
		.amdhsa_user_sgpr_queue_ptr 0
		.amdhsa_user_sgpr_kernarg_segment_ptr 1
		.amdhsa_user_sgpr_dispatch_id 0
		.amdhsa_user_sgpr_flat_scratch_init 0
		.amdhsa_user_sgpr_kernarg_preload_length 0
		.amdhsa_user_sgpr_kernarg_preload_offset 0
		.amdhsa_user_sgpr_private_segment_size 0
		.amdhsa_uses_dynamic_stack 0
		.amdhsa_system_sgpr_private_segment_wavefront_offset 0
		.amdhsa_system_sgpr_workgroup_id_x 1
		.amdhsa_system_sgpr_workgroup_id_y 0
		.amdhsa_system_sgpr_workgroup_id_z 0
		.amdhsa_system_sgpr_workgroup_info 0
		.amdhsa_system_vgpr_workitem_id 0
		.amdhsa_next_free_vgpr 1
		.amdhsa_next_free_sgpr 0
		.amdhsa_accum_offset 4
		.amdhsa_reserve_vcc 0
		.amdhsa_reserve_flat_scratch 0
		.amdhsa_float_round_mode_32 0
		.amdhsa_float_round_mode_16_64 0
		.amdhsa_float_denorm_mode_32 3
		.amdhsa_float_denorm_mode_16_64 3
		.amdhsa_dx10_clamp 1
		.amdhsa_ieee_mode 1
		.amdhsa_fp16_overflow 0
		.amdhsa_tg_split 0
		.amdhsa_exception_fp_ieee_invalid_op 0
		.amdhsa_exception_fp_denorm_src 0
		.amdhsa_exception_fp_ieee_div_zero 0
		.amdhsa_exception_fp_ieee_overflow 0
		.amdhsa_exception_fp_ieee_underflow 0
		.amdhsa_exception_fp_ieee_inexact 0
		.amdhsa_exception_int_div_zero 0
	.end_amdhsa_kernel
	.section	.text._ZN7rocprim17ROCPRIM_400000_NS6detail17trampoline_kernelINS0_14default_configENS1_27upper_bound_config_selectorIjiEEZNS1_14transform_implILb0ES3_S5_N6thrust23THRUST_200600_302600_NS6detail15normal_iteratorINS8_10device_ptrIjEEEENSA_INSB_IiEEEEZNS1_13binary_searchIS3_S5_SD_SD_SF_NS1_21upper_bound_search_opENS9_16wrapped_functionINS0_4lessIvEEbEEEE10hipError_tPvRmT1_T2_T3_mmT4_T5_P12ihipStream_tbEUlRKjE_EESM_SQ_SR_mSS_SV_bEUlT_E_NS1_11comp_targetILNS1_3genE5ELNS1_11target_archE942ELNS1_3gpuE9ELNS1_3repE0EEENS1_30default_config_static_selectorELNS0_4arch9wavefront6targetE1EEEvSP_,"axG",@progbits,_ZN7rocprim17ROCPRIM_400000_NS6detail17trampoline_kernelINS0_14default_configENS1_27upper_bound_config_selectorIjiEEZNS1_14transform_implILb0ES3_S5_N6thrust23THRUST_200600_302600_NS6detail15normal_iteratorINS8_10device_ptrIjEEEENSA_INSB_IiEEEEZNS1_13binary_searchIS3_S5_SD_SD_SF_NS1_21upper_bound_search_opENS9_16wrapped_functionINS0_4lessIvEEbEEEE10hipError_tPvRmT1_T2_T3_mmT4_T5_P12ihipStream_tbEUlRKjE_EESM_SQ_SR_mSS_SV_bEUlT_E_NS1_11comp_targetILNS1_3genE5ELNS1_11target_archE942ELNS1_3gpuE9ELNS1_3repE0EEENS1_30default_config_static_selectorELNS0_4arch9wavefront6targetE1EEEvSP_,comdat
.Lfunc_end358:
	.size	_ZN7rocprim17ROCPRIM_400000_NS6detail17trampoline_kernelINS0_14default_configENS1_27upper_bound_config_selectorIjiEEZNS1_14transform_implILb0ES3_S5_N6thrust23THRUST_200600_302600_NS6detail15normal_iteratorINS8_10device_ptrIjEEEENSA_INSB_IiEEEEZNS1_13binary_searchIS3_S5_SD_SD_SF_NS1_21upper_bound_search_opENS9_16wrapped_functionINS0_4lessIvEEbEEEE10hipError_tPvRmT1_T2_T3_mmT4_T5_P12ihipStream_tbEUlRKjE_EESM_SQ_SR_mSS_SV_bEUlT_E_NS1_11comp_targetILNS1_3genE5ELNS1_11target_archE942ELNS1_3gpuE9ELNS1_3repE0EEENS1_30default_config_static_selectorELNS0_4arch9wavefront6targetE1EEEvSP_, .Lfunc_end358-_ZN7rocprim17ROCPRIM_400000_NS6detail17trampoline_kernelINS0_14default_configENS1_27upper_bound_config_selectorIjiEEZNS1_14transform_implILb0ES3_S5_N6thrust23THRUST_200600_302600_NS6detail15normal_iteratorINS8_10device_ptrIjEEEENSA_INSB_IiEEEEZNS1_13binary_searchIS3_S5_SD_SD_SF_NS1_21upper_bound_search_opENS9_16wrapped_functionINS0_4lessIvEEbEEEE10hipError_tPvRmT1_T2_T3_mmT4_T5_P12ihipStream_tbEUlRKjE_EESM_SQ_SR_mSS_SV_bEUlT_E_NS1_11comp_targetILNS1_3genE5ELNS1_11target_archE942ELNS1_3gpuE9ELNS1_3repE0EEENS1_30default_config_static_selectorELNS0_4arch9wavefront6targetE1EEEvSP_
                                        ; -- End function
	.section	.AMDGPU.csdata,"",@progbits
; Kernel info:
; codeLenInByte = 0
; NumSgprs: 4
; NumVgprs: 0
; NumAgprs: 0
; TotalNumVgprs: 0
; ScratchSize: 0
; MemoryBound: 0
; FloatMode: 240
; IeeeMode: 1
; LDSByteSize: 0 bytes/workgroup (compile time only)
; SGPRBlocks: 0
; VGPRBlocks: 0
; NumSGPRsForWavesPerEU: 4
; NumVGPRsForWavesPerEU: 1
; AccumOffset: 4
; Occupancy: 8
; WaveLimiterHint : 0
; COMPUTE_PGM_RSRC2:SCRATCH_EN: 0
; COMPUTE_PGM_RSRC2:USER_SGPR: 6
; COMPUTE_PGM_RSRC2:TRAP_HANDLER: 0
; COMPUTE_PGM_RSRC2:TGID_X_EN: 1
; COMPUTE_PGM_RSRC2:TGID_Y_EN: 0
; COMPUTE_PGM_RSRC2:TGID_Z_EN: 0
; COMPUTE_PGM_RSRC2:TIDIG_COMP_CNT: 0
; COMPUTE_PGM_RSRC3_GFX90A:ACCUM_OFFSET: 0
; COMPUTE_PGM_RSRC3_GFX90A:TG_SPLIT: 0
	.section	.text._ZN7rocprim17ROCPRIM_400000_NS6detail17trampoline_kernelINS0_14default_configENS1_27upper_bound_config_selectorIjiEEZNS1_14transform_implILb0ES3_S5_N6thrust23THRUST_200600_302600_NS6detail15normal_iteratorINS8_10device_ptrIjEEEENSA_INSB_IiEEEEZNS1_13binary_searchIS3_S5_SD_SD_SF_NS1_21upper_bound_search_opENS9_16wrapped_functionINS0_4lessIvEEbEEEE10hipError_tPvRmT1_T2_T3_mmT4_T5_P12ihipStream_tbEUlRKjE_EESM_SQ_SR_mSS_SV_bEUlT_E_NS1_11comp_targetILNS1_3genE4ELNS1_11target_archE910ELNS1_3gpuE8ELNS1_3repE0EEENS1_30default_config_static_selectorELNS0_4arch9wavefront6targetE1EEEvSP_,"axG",@progbits,_ZN7rocprim17ROCPRIM_400000_NS6detail17trampoline_kernelINS0_14default_configENS1_27upper_bound_config_selectorIjiEEZNS1_14transform_implILb0ES3_S5_N6thrust23THRUST_200600_302600_NS6detail15normal_iteratorINS8_10device_ptrIjEEEENSA_INSB_IiEEEEZNS1_13binary_searchIS3_S5_SD_SD_SF_NS1_21upper_bound_search_opENS9_16wrapped_functionINS0_4lessIvEEbEEEE10hipError_tPvRmT1_T2_T3_mmT4_T5_P12ihipStream_tbEUlRKjE_EESM_SQ_SR_mSS_SV_bEUlT_E_NS1_11comp_targetILNS1_3genE4ELNS1_11target_archE910ELNS1_3gpuE8ELNS1_3repE0EEENS1_30default_config_static_selectorELNS0_4arch9wavefront6targetE1EEEvSP_,comdat
	.protected	_ZN7rocprim17ROCPRIM_400000_NS6detail17trampoline_kernelINS0_14default_configENS1_27upper_bound_config_selectorIjiEEZNS1_14transform_implILb0ES3_S5_N6thrust23THRUST_200600_302600_NS6detail15normal_iteratorINS8_10device_ptrIjEEEENSA_INSB_IiEEEEZNS1_13binary_searchIS3_S5_SD_SD_SF_NS1_21upper_bound_search_opENS9_16wrapped_functionINS0_4lessIvEEbEEEE10hipError_tPvRmT1_T2_T3_mmT4_T5_P12ihipStream_tbEUlRKjE_EESM_SQ_SR_mSS_SV_bEUlT_E_NS1_11comp_targetILNS1_3genE4ELNS1_11target_archE910ELNS1_3gpuE8ELNS1_3repE0EEENS1_30default_config_static_selectorELNS0_4arch9wavefront6targetE1EEEvSP_ ; -- Begin function _ZN7rocprim17ROCPRIM_400000_NS6detail17trampoline_kernelINS0_14default_configENS1_27upper_bound_config_selectorIjiEEZNS1_14transform_implILb0ES3_S5_N6thrust23THRUST_200600_302600_NS6detail15normal_iteratorINS8_10device_ptrIjEEEENSA_INSB_IiEEEEZNS1_13binary_searchIS3_S5_SD_SD_SF_NS1_21upper_bound_search_opENS9_16wrapped_functionINS0_4lessIvEEbEEEE10hipError_tPvRmT1_T2_T3_mmT4_T5_P12ihipStream_tbEUlRKjE_EESM_SQ_SR_mSS_SV_bEUlT_E_NS1_11comp_targetILNS1_3genE4ELNS1_11target_archE910ELNS1_3gpuE8ELNS1_3repE0EEENS1_30default_config_static_selectorELNS0_4arch9wavefront6targetE1EEEvSP_
	.globl	_ZN7rocprim17ROCPRIM_400000_NS6detail17trampoline_kernelINS0_14default_configENS1_27upper_bound_config_selectorIjiEEZNS1_14transform_implILb0ES3_S5_N6thrust23THRUST_200600_302600_NS6detail15normal_iteratorINS8_10device_ptrIjEEEENSA_INSB_IiEEEEZNS1_13binary_searchIS3_S5_SD_SD_SF_NS1_21upper_bound_search_opENS9_16wrapped_functionINS0_4lessIvEEbEEEE10hipError_tPvRmT1_T2_T3_mmT4_T5_P12ihipStream_tbEUlRKjE_EESM_SQ_SR_mSS_SV_bEUlT_E_NS1_11comp_targetILNS1_3genE4ELNS1_11target_archE910ELNS1_3gpuE8ELNS1_3repE0EEENS1_30default_config_static_selectorELNS0_4arch9wavefront6targetE1EEEvSP_
	.p2align	8
	.type	_ZN7rocprim17ROCPRIM_400000_NS6detail17trampoline_kernelINS0_14default_configENS1_27upper_bound_config_selectorIjiEEZNS1_14transform_implILb0ES3_S5_N6thrust23THRUST_200600_302600_NS6detail15normal_iteratorINS8_10device_ptrIjEEEENSA_INSB_IiEEEEZNS1_13binary_searchIS3_S5_SD_SD_SF_NS1_21upper_bound_search_opENS9_16wrapped_functionINS0_4lessIvEEbEEEE10hipError_tPvRmT1_T2_T3_mmT4_T5_P12ihipStream_tbEUlRKjE_EESM_SQ_SR_mSS_SV_bEUlT_E_NS1_11comp_targetILNS1_3genE4ELNS1_11target_archE910ELNS1_3gpuE8ELNS1_3repE0EEENS1_30default_config_static_selectorELNS0_4arch9wavefront6targetE1EEEvSP_,@function
_ZN7rocprim17ROCPRIM_400000_NS6detail17trampoline_kernelINS0_14default_configENS1_27upper_bound_config_selectorIjiEEZNS1_14transform_implILb0ES3_S5_N6thrust23THRUST_200600_302600_NS6detail15normal_iteratorINS8_10device_ptrIjEEEENSA_INSB_IiEEEEZNS1_13binary_searchIS3_S5_SD_SD_SF_NS1_21upper_bound_search_opENS9_16wrapped_functionINS0_4lessIvEEbEEEE10hipError_tPvRmT1_T2_T3_mmT4_T5_P12ihipStream_tbEUlRKjE_EESM_SQ_SR_mSS_SV_bEUlT_E_NS1_11comp_targetILNS1_3genE4ELNS1_11target_archE910ELNS1_3gpuE8ELNS1_3repE0EEENS1_30default_config_static_selectorELNS0_4arch9wavefront6targetE1EEEvSP_: ; @_ZN7rocprim17ROCPRIM_400000_NS6detail17trampoline_kernelINS0_14default_configENS1_27upper_bound_config_selectorIjiEEZNS1_14transform_implILb0ES3_S5_N6thrust23THRUST_200600_302600_NS6detail15normal_iteratorINS8_10device_ptrIjEEEENSA_INSB_IiEEEEZNS1_13binary_searchIS3_S5_SD_SD_SF_NS1_21upper_bound_search_opENS9_16wrapped_functionINS0_4lessIvEEbEEEE10hipError_tPvRmT1_T2_T3_mmT4_T5_P12ihipStream_tbEUlRKjE_EESM_SQ_SR_mSS_SV_bEUlT_E_NS1_11comp_targetILNS1_3genE4ELNS1_11target_archE910ELNS1_3gpuE8ELNS1_3repE0EEENS1_30default_config_static_selectorELNS0_4arch9wavefront6targetE1EEEvSP_
; %bb.0:
	s_load_dwordx4 s[12:15], s[4:5], 0x0
	s_load_dwordx4 s[0:3], s[4:5], 0x18
	s_load_dwordx2 s[10:11], s[4:5], 0x28
	s_load_dword s16, s[4:5], 0x38
	s_waitcnt lgkmcnt(0)
	s_lshl_b64 s[8:9], s[14:15], 2
	s_add_u32 s7, s12, s8
	s_addc_u32 s14, s13, s9
	s_add_u32 s12, s0, s8
	s_addc_u32 s13, s1, s9
	s_lshl_b32 s8, s6, 8
	s_add_i32 s16, s16, -1
	s_mov_b32 s9, 0
	s_cmp_lg_u32 s6, s16
	s_mov_b64 s[0:1], -1
	s_cbranch_scc0 .LBB359_6
; %bb.1:
	v_mov_b32_e32 v2, 0
	s_cmp_eq_u64 s[10:11], 0
	s_mov_b64 s[0:1], 0
	s_cbranch_scc1 .LBB359_5
; %bb.2:
	s_lshl_b64 s[16:17], s[8:9], 2
	s_add_u32 s6, s7, s16
	s_addc_u32 s15, s14, s17
	v_lshlrev_b32_e32 v1, 2, v0
	v_mov_b32_e32 v3, s15
	v_add_co_u32_e32 v2, vcc, s6, v1
	v_addc_co_u32_e32 v3, vcc, 0, v3, vcc
	flat_load_dword v1, v[2:3]
	v_pk_mov_b32 v[2:3], 0, 0
	v_pk_mov_b32 v[4:5], s[10:11], s[10:11] op_sel:[0,1]
	v_mov_b32_e32 v6, s3
.LBB359_3:                              ; =>This Inner Loop Header: Depth=1
	v_sub_co_u32_e32 v8, vcc, v4, v2
	v_subb_co_u32_e32 v9, vcc, v5, v3, vcc
	v_lshrrev_b64 v[10:11], 1, v[8:9]
	v_add_co_u32_e32 v7, vcc, v10, v2
	v_lshrrev_b64 v[8:9], 6, v[8:9]
	v_addc_co_u32_e32 v10, vcc, v11, v3, vcc
	v_add_co_u32_e32 v8, vcc, v7, v8
	v_addc_co_u32_e32 v9, vcc, v10, v9, vcc
	v_lshlrev_b64 v[10:11], 2, v[8:9]
	v_add_co_u32_e32 v10, vcc, s2, v10
	v_addc_co_u32_e32 v11, vcc, v6, v11, vcc
	global_load_dword v7, v[10:11], off
	v_add_co_u32_e32 v10, vcc, 1, v8
	v_addc_co_u32_e32 v11, vcc, 0, v9, vcc
	s_waitcnt vmcnt(0) lgkmcnt(0)
	v_cmp_gt_u32_e32 vcc, v7, v1
	v_cndmask_b32_e32 v5, v5, v9, vcc
	v_cndmask_b32_e32 v4, v4, v8, vcc
	;; [unrolled: 1-line block ×4, first 2 shown]
	v_cmp_ge_u64_e32 vcc, v[2:3], v[4:5]
	s_or_b64 s[0:1], vcc, s[0:1]
	s_andn2_b64 exec, exec, s[0:1]
	s_cbranch_execnz .LBB359_3
; %bb.4:
	s_or_b64 exec, exec, s[0:1]
.LBB359_5:
	s_lshl_b64 s[0:1], s[8:9], 2
	s_add_u32 s0, s12, s0
	s_addc_u32 s1, s13, s1
	v_lshlrev_b32_e32 v1, 2, v0
	v_mov_b32_e32 v3, s1
	v_add_co_u32_e32 v4, vcc, s0, v1
	v_addc_co_u32_e32 v5, vcc, 0, v3, vcc
	s_mov_b64 s[0:1], 0
	flat_store_dword v[4:5], v2
.LBB359_6:
	s_and_b64 vcc, exec, s[0:1]
	s_cbranch_vccz .LBB359_11
; %bb.7:
	s_load_dword s0, s[4:5], 0x10
                                        ; implicit-def: $vgpr1
	s_waitcnt lgkmcnt(0)
	s_sub_i32 s0, s0, s8
	v_cmp_gt_u32_e32 vcc, s0, v0
	s_and_saveexec_b64 s[4:5], vcc
	s_cbranch_execnz .LBB359_12
; %bb.8:
	s_or_b64 exec, exec, s[4:5]
                                        ; implicit-def: $vgpr2
	s_and_saveexec_b64 s[4:5], vcc
	s_cbranch_execnz .LBB359_13
.LBB359_9:
	s_or_b64 exec, exec, s[4:5]
	s_and_saveexec_b64 s[0:1], vcc
	s_cbranch_execz .LBB359_11
.LBB359_10:
	s_lshl_b64 s[0:1], s[8:9], 2
	s_add_u32 s0, s12, s0
	s_addc_u32 s1, s13, s1
	v_lshlrev_b32_e32 v0, 2, v0
	s_waitcnt vmcnt(0) lgkmcnt(0)
	v_mov_b32_e32 v1, s1
	v_add_co_u32_e32 v0, vcc, s0, v0
	v_addc_co_u32_e32 v1, vcc, 0, v1, vcc
	flat_store_dword v[0:1], v2
.LBB359_11:
	s_endpgm
.LBB359_12:
	s_lshl_b64 s[0:1], s[8:9], 2
	s_add_u32 s0, s7, s0
	s_addc_u32 s1, s14, s1
	v_lshlrev_b32_e32 v1, 2, v0
	v_mov_b32_e32 v3, s1
	v_add_co_u32_e64 v2, s[0:1], s0, v1
	v_addc_co_u32_e64 v3, s[0:1], 0, v3, s[0:1]
	flat_load_dword v1, v[2:3]
	s_or_b64 exec, exec, s[4:5]
                                        ; implicit-def: $vgpr2
	s_and_saveexec_b64 s[4:5], vcc
	s_cbranch_execz .LBB359_9
.LBB359_13:
	s_cmp_eq_u64 s[10:11], 0
	s_mov_b64 s[6:7], 0
	s_cbranch_scc1 .LBB359_17
; %bb.14:
	v_pk_mov_b32 v[2:3], 0, 0
	v_pk_mov_b32 v[4:5], s[10:11], s[10:11] op_sel:[0,1]
	v_mov_b32_e32 v6, s3
.LBB359_15:                             ; =>This Inner Loop Header: Depth=1
	v_sub_co_u32_e64 v8, s[0:1], v4, v2
	v_subb_co_u32_e64 v9, s[0:1], v5, v3, s[0:1]
	v_lshrrev_b64 v[10:11], 1, v[8:9]
	v_add_co_u32_e64 v7, s[0:1], v10, v2
	v_lshrrev_b64 v[8:9], 6, v[8:9]
	v_addc_co_u32_e64 v10, s[0:1], v11, v3, s[0:1]
	v_add_co_u32_e64 v8, s[0:1], v7, v8
	v_addc_co_u32_e64 v9, s[0:1], v10, v9, s[0:1]
	v_lshlrev_b64 v[10:11], 2, v[8:9]
	v_add_co_u32_e64 v10, s[0:1], s2, v10
	v_addc_co_u32_e64 v11, s[0:1], v6, v11, s[0:1]
	global_load_dword v7, v[10:11], off
	v_add_co_u32_e64 v10, s[0:1], 1, v8
	v_addc_co_u32_e64 v11, s[0:1], 0, v9, s[0:1]
	s_waitcnt vmcnt(0) lgkmcnt(0)
	v_cmp_gt_u32_e64 s[0:1], v7, v1
	v_cndmask_b32_e64 v5, v5, v9, s[0:1]
	v_cndmask_b32_e64 v4, v4, v8, s[0:1]
	;; [unrolled: 1-line block ×4, first 2 shown]
	v_cmp_ge_u64_e64 s[0:1], v[2:3], v[4:5]
	s_or_b64 s[6:7], s[0:1], s[6:7]
	s_andn2_b64 exec, exec, s[6:7]
	s_cbranch_execnz .LBB359_15
; %bb.16:
	s_or_b64 exec, exec, s[6:7]
	s_or_b64 exec, exec, s[4:5]
	s_and_saveexec_b64 s[0:1], vcc
	s_cbranch_execnz .LBB359_10
	s_branch .LBB359_11
.LBB359_17:
	v_mov_b32_e32 v2, 0
	s_or_b64 exec, exec, s[4:5]
	s_and_saveexec_b64 s[0:1], vcc
	s_cbranch_execnz .LBB359_10
	s_branch .LBB359_11
	.section	.rodata,"a",@progbits
	.p2align	6, 0x0
	.amdhsa_kernel _ZN7rocprim17ROCPRIM_400000_NS6detail17trampoline_kernelINS0_14default_configENS1_27upper_bound_config_selectorIjiEEZNS1_14transform_implILb0ES3_S5_N6thrust23THRUST_200600_302600_NS6detail15normal_iteratorINS8_10device_ptrIjEEEENSA_INSB_IiEEEEZNS1_13binary_searchIS3_S5_SD_SD_SF_NS1_21upper_bound_search_opENS9_16wrapped_functionINS0_4lessIvEEbEEEE10hipError_tPvRmT1_T2_T3_mmT4_T5_P12ihipStream_tbEUlRKjE_EESM_SQ_SR_mSS_SV_bEUlT_E_NS1_11comp_targetILNS1_3genE4ELNS1_11target_archE910ELNS1_3gpuE8ELNS1_3repE0EEENS1_30default_config_static_selectorELNS0_4arch9wavefront6targetE1EEEvSP_
		.amdhsa_group_segment_fixed_size 0
		.amdhsa_private_segment_fixed_size 0
		.amdhsa_kernarg_size 312
		.amdhsa_user_sgpr_count 6
		.amdhsa_user_sgpr_private_segment_buffer 1
		.amdhsa_user_sgpr_dispatch_ptr 0
		.amdhsa_user_sgpr_queue_ptr 0
		.amdhsa_user_sgpr_kernarg_segment_ptr 1
		.amdhsa_user_sgpr_dispatch_id 0
		.amdhsa_user_sgpr_flat_scratch_init 0
		.amdhsa_user_sgpr_kernarg_preload_length 0
		.amdhsa_user_sgpr_kernarg_preload_offset 0
		.amdhsa_user_sgpr_private_segment_size 0
		.amdhsa_uses_dynamic_stack 0
		.amdhsa_system_sgpr_private_segment_wavefront_offset 0
		.amdhsa_system_sgpr_workgroup_id_x 1
		.amdhsa_system_sgpr_workgroup_id_y 0
		.amdhsa_system_sgpr_workgroup_id_z 0
		.amdhsa_system_sgpr_workgroup_info 0
		.amdhsa_system_vgpr_workitem_id 0
		.amdhsa_next_free_vgpr 12
		.amdhsa_next_free_sgpr 18
		.amdhsa_accum_offset 12
		.amdhsa_reserve_vcc 1
		.amdhsa_reserve_flat_scratch 0
		.amdhsa_float_round_mode_32 0
		.amdhsa_float_round_mode_16_64 0
		.amdhsa_float_denorm_mode_32 3
		.amdhsa_float_denorm_mode_16_64 3
		.amdhsa_dx10_clamp 1
		.amdhsa_ieee_mode 1
		.amdhsa_fp16_overflow 0
		.amdhsa_tg_split 0
		.amdhsa_exception_fp_ieee_invalid_op 0
		.amdhsa_exception_fp_denorm_src 0
		.amdhsa_exception_fp_ieee_div_zero 0
		.amdhsa_exception_fp_ieee_overflow 0
		.amdhsa_exception_fp_ieee_underflow 0
		.amdhsa_exception_fp_ieee_inexact 0
		.amdhsa_exception_int_div_zero 0
	.end_amdhsa_kernel
	.section	.text._ZN7rocprim17ROCPRIM_400000_NS6detail17trampoline_kernelINS0_14default_configENS1_27upper_bound_config_selectorIjiEEZNS1_14transform_implILb0ES3_S5_N6thrust23THRUST_200600_302600_NS6detail15normal_iteratorINS8_10device_ptrIjEEEENSA_INSB_IiEEEEZNS1_13binary_searchIS3_S5_SD_SD_SF_NS1_21upper_bound_search_opENS9_16wrapped_functionINS0_4lessIvEEbEEEE10hipError_tPvRmT1_T2_T3_mmT4_T5_P12ihipStream_tbEUlRKjE_EESM_SQ_SR_mSS_SV_bEUlT_E_NS1_11comp_targetILNS1_3genE4ELNS1_11target_archE910ELNS1_3gpuE8ELNS1_3repE0EEENS1_30default_config_static_selectorELNS0_4arch9wavefront6targetE1EEEvSP_,"axG",@progbits,_ZN7rocprim17ROCPRIM_400000_NS6detail17trampoline_kernelINS0_14default_configENS1_27upper_bound_config_selectorIjiEEZNS1_14transform_implILb0ES3_S5_N6thrust23THRUST_200600_302600_NS6detail15normal_iteratorINS8_10device_ptrIjEEEENSA_INSB_IiEEEEZNS1_13binary_searchIS3_S5_SD_SD_SF_NS1_21upper_bound_search_opENS9_16wrapped_functionINS0_4lessIvEEbEEEE10hipError_tPvRmT1_T2_T3_mmT4_T5_P12ihipStream_tbEUlRKjE_EESM_SQ_SR_mSS_SV_bEUlT_E_NS1_11comp_targetILNS1_3genE4ELNS1_11target_archE910ELNS1_3gpuE8ELNS1_3repE0EEENS1_30default_config_static_selectorELNS0_4arch9wavefront6targetE1EEEvSP_,comdat
.Lfunc_end359:
	.size	_ZN7rocprim17ROCPRIM_400000_NS6detail17trampoline_kernelINS0_14default_configENS1_27upper_bound_config_selectorIjiEEZNS1_14transform_implILb0ES3_S5_N6thrust23THRUST_200600_302600_NS6detail15normal_iteratorINS8_10device_ptrIjEEEENSA_INSB_IiEEEEZNS1_13binary_searchIS3_S5_SD_SD_SF_NS1_21upper_bound_search_opENS9_16wrapped_functionINS0_4lessIvEEbEEEE10hipError_tPvRmT1_T2_T3_mmT4_T5_P12ihipStream_tbEUlRKjE_EESM_SQ_SR_mSS_SV_bEUlT_E_NS1_11comp_targetILNS1_3genE4ELNS1_11target_archE910ELNS1_3gpuE8ELNS1_3repE0EEENS1_30default_config_static_selectorELNS0_4arch9wavefront6targetE1EEEvSP_, .Lfunc_end359-_ZN7rocprim17ROCPRIM_400000_NS6detail17trampoline_kernelINS0_14default_configENS1_27upper_bound_config_selectorIjiEEZNS1_14transform_implILb0ES3_S5_N6thrust23THRUST_200600_302600_NS6detail15normal_iteratorINS8_10device_ptrIjEEEENSA_INSB_IiEEEEZNS1_13binary_searchIS3_S5_SD_SD_SF_NS1_21upper_bound_search_opENS9_16wrapped_functionINS0_4lessIvEEbEEEE10hipError_tPvRmT1_T2_T3_mmT4_T5_P12ihipStream_tbEUlRKjE_EESM_SQ_SR_mSS_SV_bEUlT_E_NS1_11comp_targetILNS1_3genE4ELNS1_11target_archE910ELNS1_3gpuE8ELNS1_3repE0EEENS1_30default_config_static_selectorELNS0_4arch9wavefront6targetE1EEEvSP_
                                        ; -- End function
	.section	.AMDGPU.csdata,"",@progbits
; Kernel info:
; codeLenInByte = 716
; NumSgprs: 22
; NumVgprs: 12
; NumAgprs: 0
; TotalNumVgprs: 12
; ScratchSize: 0
; MemoryBound: 0
; FloatMode: 240
; IeeeMode: 1
; LDSByteSize: 0 bytes/workgroup (compile time only)
; SGPRBlocks: 2
; VGPRBlocks: 1
; NumSGPRsForWavesPerEU: 22
; NumVGPRsForWavesPerEU: 12
; AccumOffset: 12
; Occupancy: 8
; WaveLimiterHint : 0
; COMPUTE_PGM_RSRC2:SCRATCH_EN: 0
; COMPUTE_PGM_RSRC2:USER_SGPR: 6
; COMPUTE_PGM_RSRC2:TRAP_HANDLER: 0
; COMPUTE_PGM_RSRC2:TGID_X_EN: 1
; COMPUTE_PGM_RSRC2:TGID_Y_EN: 0
; COMPUTE_PGM_RSRC2:TGID_Z_EN: 0
; COMPUTE_PGM_RSRC2:TIDIG_COMP_CNT: 0
; COMPUTE_PGM_RSRC3_GFX90A:ACCUM_OFFSET: 2
; COMPUTE_PGM_RSRC3_GFX90A:TG_SPLIT: 0
	.section	.text._ZN7rocprim17ROCPRIM_400000_NS6detail17trampoline_kernelINS0_14default_configENS1_27upper_bound_config_selectorIjiEEZNS1_14transform_implILb0ES3_S5_N6thrust23THRUST_200600_302600_NS6detail15normal_iteratorINS8_10device_ptrIjEEEENSA_INSB_IiEEEEZNS1_13binary_searchIS3_S5_SD_SD_SF_NS1_21upper_bound_search_opENS9_16wrapped_functionINS0_4lessIvEEbEEEE10hipError_tPvRmT1_T2_T3_mmT4_T5_P12ihipStream_tbEUlRKjE_EESM_SQ_SR_mSS_SV_bEUlT_E_NS1_11comp_targetILNS1_3genE3ELNS1_11target_archE908ELNS1_3gpuE7ELNS1_3repE0EEENS1_30default_config_static_selectorELNS0_4arch9wavefront6targetE1EEEvSP_,"axG",@progbits,_ZN7rocprim17ROCPRIM_400000_NS6detail17trampoline_kernelINS0_14default_configENS1_27upper_bound_config_selectorIjiEEZNS1_14transform_implILb0ES3_S5_N6thrust23THRUST_200600_302600_NS6detail15normal_iteratorINS8_10device_ptrIjEEEENSA_INSB_IiEEEEZNS1_13binary_searchIS3_S5_SD_SD_SF_NS1_21upper_bound_search_opENS9_16wrapped_functionINS0_4lessIvEEbEEEE10hipError_tPvRmT1_T2_T3_mmT4_T5_P12ihipStream_tbEUlRKjE_EESM_SQ_SR_mSS_SV_bEUlT_E_NS1_11comp_targetILNS1_3genE3ELNS1_11target_archE908ELNS1_3gpuE7ELNS1_3repE0EEENS1_30default_config_static_selectorELNS0_4arch9wavefront6targetE1EEEvSP_,comdat
	.protected	_ZN7rocprim17ROCPRIM_400000_NS6detail17trampoline_kernelINS0_14default_configENS1_27upper_bound_config_selectorIjiEEZNS1_14transform_implILb0ES3_S5_N6thrust23THRUST_200600_302600_NS6detail15normal_iteratorINS8_10device_ptrIjEEEENSA_INSB_IiEEEEZNS1_13binary_searchIS3_S5_SD_SD_SF_NS1_21upper_bound_search_opENS9_16wrapped_functionINS0_4lessIvEEbEEEE10hipError_tPvRmT1_T2_T3_mmT4_T5_P12ihipStream_tbEUlRKjE_EESM_SQ_SR_mSS_SV_bEUlT_E_NS1_11comp_targetILNS1_3genE3ELNS1_11target_archE908ELNS1_3gpuE7ELNS1_3repE0EEENS1_30default_config_static_selectorELNS0_4arch9wavefront6targetE1EEEvSP_ ; -- Begin function _ZN7rocprim17ROCPRIM_400000_NS6detail17trampoline_kernelINS0_14default_configENS1_27upper_bound_config_selectorIjiEEZNS1_14transform_implILb0ES3_S5_N6thrust23THRUST_200600_302600_NS6detail15normal_iteratorINS8_10device_ptrIjEEEENSA_INSB_IiEEEEZNS1_13binary_searchIS3_S5_SD_SD_SF_NS1_21upper_bound_search_opENS9_16wrapped_functionINS0_4lessIvEEbEEEE10hipError_tPvRmT1_T2_T3_mmT4_T5_P12ihipStream_tbEUlRKjE_EESM_SQ_SR_mSS_SV_bEUlT_E_NS1_11comp_targetILNS1_3genE3ELNS1_11target_archE908ELNS1_3gpuE7ELNS1_3repE0EEENS1_30default_config_static_selectorELNS0_4arch9wavefront6targetE1EEEvSP_
	.globl	_ZN7rocprim17ROCPRIM_400000_NS6detail17trampoline_kernelINS0_14default_configENS1_27upper_bound_config_selectorIjiEEZNS1_14transform_implILb0ES3_S5_N6thrust23THRUST_200600_302600_NS6detail15normal_iteratorINS8_10device_ptrIjEEEENSA_INSB_IiEEEEZNS1_13binary_searchIS3_S5_SD_SD_SF_NS1_21upper_bound_search_opENS9_16wrapped_functionINS0_4lessIvEEbEEEE10hipError_tPvRmT1_T2_T3_mmT4_T5_P12ihipStream_tbEUlRKjE_EESM_SQ_SR_mSS_SV_bEUlT_E_NS1_11comp_targetILNS1_3genE3ELNS1_11target_archE908ELNS1_3gpuE7ELNS1_3repE0EEENS1_30default_config_static_selectorELNS0_4arch9wavefront6targetE1EEEvSP_
	.p2align	8
	.type	_ZN7rocprim17ROCPRIM_400000_NS6detail17trampoline_kernelINS0_14default_configENS1_27upper_bound_config_selectorIjiEEZNS1_14transform_implILb0ES3_S5_N6thrust23THRUST_200600_302600_NS6detail15normal_iteratorINS8_10device_ptrIjEEEENSA_INSB_IiEEEEZNS1_13binary_searchIS3_S5_SD_SD_SF_NS1_21upper_bound_search_opENS9_16wrapped_functionINS0_4lessIvEEbEEEE10hipError_tPvRmT1_T2_T3_mmT4_T5_P12ihipStream_tbEUlRKjE_EESM_SQ_SR_mSS_SV_bEUlT_E_NS1_11comp_targetILNS1_3genE3ELNS1_11target_archE908ELNS1_3gpuE7ELNS1_3repE0EEENS1_30default_config_static_selectorELNS0_4arch9wavefront6targetE1EEEvSP_,@function
_ZN7rocprim17ROCPRIM_400000_NS6detail17trampoline_kernelINS0_14default_configENS1_27upper_bound_config_selectorIjiEEZNS1_14transform_implILb0ES3_S5_N6thrust23THRUST_200600_302600_NS6detail15normal_iteratorINS8_10device_ptrIjEEEENSA_INSB_IiEEEEZNS1_13binary_searchIS3_S5_SD_SD_SF_NS1_21upper_bound_search_opENS9_16wrapped_functionINS0_4lessIvEEbEEEE10hipError_tPvRmT1_T2_T3_mmT4_T5_P12ihipStream_tbEUlRKjE_EESM_SQ_SR_mSS_SV_bEUlT_E_NS1_11comp_targetILNS1_3genE3ELNS1_11target_archE908ELNS1_3gpuE7ELNS1_3repE0EEENS1_30default_config_static_selectorELNS0_4arch9wavefront6targetE1EEEvSP_: ; @_ZN7rocprim17ROCPRIM_400000_NS6detail17trampoline_kernelINS0_14default_configENS1_27upper_bound_config_selectorIjiEEZNS1_14transform_implILb0ES3_S5_N6thrust23THRUST_200600_302600_NS6detail15normal_iteratorINS8_10device_ptrIjEEEENSA_INSB_IiEEEEZNS1_13binary_searchIS3_S5_SD_SD_SF_NS1_21upper_bound_search_opENS9_16wrapped_functionINS0_4lessIvEEbEEEE10hipError_tPvRmT1_T2_T3_mmT4_T5_P12ihipStream_tbEUlRKjE_EESM_SQ_SR_mSS_SV_bEUlT_E_NS1_11comp_targetILNS1_3genE3ELNS1_11target_archE908ELNS1_3gpuE7ELNS1_3repE0EEENS1_30default_config_static_selectorELNS0_4arch9wavefront6targetE1EEEvSP_
; %bb.0:
	.section	.rodata,"a",@progbits
	.p2align	6, 0x0
	.amdhsa_kernel _ZN7rocprim17ROCPRIM_400000_NS6detail17trampoline_kernelINS0_14default_configENS1_27upper_bound_config_selectorIjiEEZNS1_14transform_implILb0ES3_S5_N6thrust23THRUST_200600_302600_NS6detail15normal_iteratorINS8_10device_ptrIjEEEENSA_INSB_IiEEEEZNS1_13binary_searchIS3_S5_SD_SD_SF_NS1_21upper_bound_search_opENS9_16wrapped_functionINS0_4lessIvEEbEEEE10hipError_tPvRmT1_T2_T3_mmT4_T5_P12ihipStream_tbEUlRKjE_EESM_SQ_SR_mSS_SV_bEUlT_E_NS1_11comp_targetILNS1_3genE3ELNS1_11target_archE908ELNS1_3gpuE7ELNS1_3repE0EEENS1_30default_config_static_selectorELNS0_4arch9wavefront6targetE1EEEvSP_
		.amdhsa_group_segment_fixed_size 0
		.amdhsa_private_segment_fixed_size 0
		.amdhsa_kernarg_size 56
		.amdhsa_user_sgpr_count 6
		.amdhsa_user_sgpr_private_segment_buffer 1
		.amdhsa_user_sgpr_dispatch_ptr 0
		.amdhsa_user_sgpr_queue_ptr 0
		.amdhsa_user_sgpr_kernarg_segment_ptr 1
		.amdhsa_user_sgpr_dispatch_id 0
		.amdhsa_user_sgpr_flat_scratch_init 0
		.amdhsa_user_sgpr_kernarg_preload_length 0
		.amdhsa_user_sgpr_kernarg_preload_offset 0
		.amdhsa_user_sgpr_private_segment_size 0
		.amdhsa_uses_dynamic_stack 0
		.amdhsa_system_sgpr_private_segment_wavefront_offset 0
		.amdhsa_system_sgpr_workgroup_id_x 1
		.amdhsa_system_sgpr_workgroup_id_y 0
		.amdhsa_system_sgpr_workgroup_id_z 0
		.amdhsa_system_sgpr_workgroup_info 0
		.amdhsa_system_vgpr_workitem_id 0
		.amdhsa_next_free_vgpr 1
		.amdhsa_next_free_sgpr 0
		.amdhsa_accum_offset 4
		.amdhsa_reserve_vcc 0
		.amdhsa_reserve_flat_scratch 0
		.amdhsa_float_round_mode_32 0
		.amdhsa_float_round_mode_16_64 0
		.amdhsa_float_denorm_mode_32 3
		.amdhsa_float_denorm_mode_16_64 3
		.amdhsa_dx10_clamp 1
		.amdhsa_ieee_mode 1
		.amdhsa_fp16_overflow 0
		.amdhsa_tg_split 0
		.amdhsa_exception_fp_ieee_invalid_op 0
		.amdhsa_exception_fp_denorm_src 0
		.amdhsa_exception_fp_ieee_div_zero 0
		.amdhsa_exception_fp_ieee_overflow 0
		.amdhsa_exception_fp_ieee_underflow 0
		.amdhsa_exception_fp_ieee_inexact 0
		.amdhsa_exception_int_div_zero 0
	.end_amdhsa_kernel
	.section	.text._ZN7rocprim17ROCPRIM_400000_NS6detail17trampoline_kernelINS0_14default_configENS1_27upper_bound_config_selectorIjiEEZNS1_14transform_implILb0ES3_S5_N6thrust23THRUST_200600_302600_NS6detail15normal_iteratorINS8_10device_ptrIjEEEENSA_INSB_IiEEEEZNS1_13binary_searchIS3_S5_SD_SD_SF_NS1_21upper_bound_search_opENS9_16wrapped_functionINS0_4lessIvEEbEEEE10hipError_tPvRmT1_T2_T3_mmT4_T5_P12ihipStream_tbEUlRKjE_EESM_SQ_SR_mSS_SV_bEUlT_E_NS1_11comp_targetILNS1_3genE3ELNS1_11target_archE908ELNS1_3gpuE7ELNS1_3repE0EEENS1_30default_config_static_selectorELNS0_4arch9wavefront6targetE1EEEvSP_,"axG",@progbits,_ZN7rocprim17ROCPRIM_400000_NS6detail17trampoline_kernelINS0_14default_configENS1_27upper_bound_config_selectorIjiEEZNS1_14transform_implILb0ES3_S5_N6thrust23THRUST_200600_302600_NS6detail15normal_iteratorINS8_10device_ptrIjEEEENSA_INSB_IiEEEEZNS1_13binary_searchIS3_S5_SD_SD_SF_NS1_21upper_bound_search_opENS9_16wrapped_functionINS0_4lessIvEEbEEEE10hipError_tPvRmT1_T2_T3_mmT4_T5_P12ihipStream_tbEUlRKjE_EESM_SQ_SR_mSS_SV_bEUlT_E_NS1_11comp_targetILNS1_3genE3ELNS1_11target_archE908ELNS1_3gpuE7ELNS1_3repE0EEENS1_30default_config_static_selectorELNS0_4arch9wavefront6targetE1EEEvSP_,comdat
.Lfunc_end360:
	.size	_ZN7rocprim17ROCPRIM_400000_NS6detail17trampoline_kernelINS0_14default_configENS1_27upper_bound_config_selectorIjiEEZNS1_14transform_implILb0ES3_S5_N6thrust23THRUST_200600_302600_NS6detail15normal_iteratorINS8_10device_ptrIjEEEENSA_INSB_IiEEEEZNS1_13binary_searchIS3_S5_SD_SD_SF_NS1_21upper_bound_search_opENS9_16wrapped_functionINS0_4lessIvEEbEEEE10hipError_tPvRmT1_T2_T3_mmT4_T5_P12ihipStream_tbEUlRKjE_EESM_SQ_SR_mSS_SV_bEUlT_E_NS1_11comp_targetILNS1_3genE3ELNS1_11target_archE908ELNS1_3gpuE7ELNS1_3repE0EEENS1_30default_config_static_selectorELNS0_4arch9wavefront6targetE1EEEvSP_, .Lfunc_end360-_ZN7rocprim17ROCPRIM_400000_NS6detail17trampoline_kernelINS0_14default_configENS1_27upper_bound_config_selectorIjiEEZNS1_14transform_implILb0ES3_S5_N6thrust23THRUST_200600_302600_NS6detail15normal_iteratorINS8_10device_ptrIjEEEENSA_INSB_IiEEEEZNS1_13binary_searchIS3_S5_SD_SD_SF_NS1_21upper_bound_search_opENS9_16wrapped_functionINS0_4lessIvEEbEEEE10hipError_tPvRmT1_T2_T3_mmT4_T5_P12ihipStream_tbEUlRKjE_EESM_SQ_SR_mSS_SV_bEUlT_E_NS1_11comp_targetILNS1_3genE3ELNS1_11target_archE908ELNS1_3gpuE7ELNS1_3repE0EEENS1_30default_config_static_selectorELNS0_4arch9wavefront6targetE1EEEvSP_
                                        ; -- End function
	.section	.AMDGPU.csdata,"",@progbits
; Kernel info:
; codeLenInByte = 0
; NumSgprs: 4
; NumVgprs: 0
; NumAgprs: 0
; TotalNumVgprs: 0
; ScratchSize: 0
; MemoryBound: 0
; FloatMode: 240
; IeeeMode: 1
; LDSByteSize: 0 bytes/workgroup (compile time only)
; SGPRBlocks: 0
; VGPRBlocks: 0
; NumSGPRsForWavesPerEU: 4
; NumVGPRsForWavesPerEU: 1
; AccumOffset: 4
; Occupancy: 8
; WaveLimiterHint : 0
; COMPUTE_PGM_RSRC2:SCRATCH_EN: 0
; COMPUTE_PGM_RSRC2:USER_SGPR: 6
; COMPUTE_PGM_RSRC2:TRAP_HANDLER: 0
; COMPUTE_PGM_RSRC2:TGID_X_EN: 1
; COMPUTE_PGM_RSRC2:TGID_Y_EN: 0
; COMPUTE_PGM_RSRC2:TGID_Z_EN: 0
; COMPUTE_PGM_RSRC2:TIDIG_COMP_CNT: 0
; COMPUTE_PGM_RSRC3_GFX90A:ACCUM_OFFSET: 0
; COMPUTE_PGM_RSRC3_GFX90A:TG_SPLIT: 0
	.section	.text._ZN7rocprim17ROCPRIM_400000_NS6detail17trampoline_kernelINS0_14default_configENS1_27upper_bound_config_selectorIjiEEZNS1_14transform_implILb0ES3_S5_N6thrust23THRUST_200600_302600_NS6detail15normal_iteratorINS8_10device_ptrIjEEEENSA_INSB_IiEEEEZNS1_13binary_searchIS3_S5_SD_SD_SF_NS1_21upper_bound_search_opENS9_16wrapped_functionINS0_4lessIvEEbEEEE10hipError_tPvRmT1_T2_T3_mmT4_T5_P12ihipStream_tbEUlRKjE_EESM_SQ_SR_mSS_SV_bEUlT_E_NS1_11comp_targetILNS1_3genE2ELNS1_11target_archE906ELNS1_3gpuE6ELNS1_3repE0EEENS1_30default_config_static_selectorELNS0_4arch9wavefront6targetE1EEEvSP_,"axG",@progbits,_ZN7rocprim17ROCPRIM_400000_NS6detail17trampoline_kernelINS0_14default_configENS1_27upper_bound_config_selectorIjiEEZNS1_14transform_implILb0ES3_S5_N6thrust23THRUST_200600_302600_NS6detail15normal_iteratorINS8_10device_ptrIjEEEENSA_INSB_IiEEEEZNS1_13binary_searchIS3_S5_SD_SD_SF_NS1_21upper_bound_search_opENS9_16wrapped_functionINS0_4lessIvEEbEEEE10hipError_tPvRmT1_T2_T3_mmT4_T5_P12ihipStream_tbEUlRKjE_EESM_SQ_SR_mSS_SV_bEUlT_E_NS1_11comp_targetILNS1_3genE2ELNS1_11target_archE906ELNS1_3gpuE6ELNS1_3repE0EEENS1_30default_config_static_selectorELNS0_4arch9wavefront6targetE1EEEvSP_,comdat
	.protected	_ZN7rocprim17ROCPRIM_400000_NS6detail17trampoline_kernelINS0_14default_configENS1_27upper_bound_config_selectorIjiEEZNS1_14transform_implILb0ES3_S5_N6thrust23THRUST_200600_302600_NS6detail15normal_iteratorINS8_10device_ptrIjEEEENSA_INSB_IiEEEEZNS1_13binary_searchIS3_S5_SD_SD_SF_NS1_21upper_bound_search_opENS9_16wrapped_functionINS0_4lessIvEEbEEEE10hipError_tPvRmT1_T2_T3_mmT4_T5_P12ihipStream_tbEUlRKjE_EESM_SQ_SR_mSS_SV_bEUlT_E_NS1_11comp_targetILNS1_3genE2ELNS1_11target_archE906ELNS1_3gpuE6ELNS1_3repE0EEENS1_30default_config_static_selectorELNS0_4arch9wavefront6targetE1EEEvSP_ ; -- Begin function _ZN7rocprim17ROCPRIM_400000_NS6detail17trampoline_kernelINS0_14default_configENS1_27upper_bound_config_selectorIjiEEZNS1_14transform_implILb0ES3_S5_N6thrust23THRUST_200600_302600_NS6detail15normal_iteratorINS8_10device_ptrIjEEEENSA_INSB_IiEEEEZNS1_13binary_searchIS3_S5_SD_SD_SF_NS1_21upper_bound_search_opENS9_16wrapped_functionINS0_4lessIvEEbEEEE10hipError_tPvRmT1_T2_T3_mmT4_T5_P12ihipStream_tbEUlRKjE_EESM_SQ_SR_mSS_SV_bEUlT_E_NS1_11comp_targetILNS1_3genE2ELNS1_11target_archE906ELNS1_3gpuE6ELNS1_3repE0EEENS1_30default_config_static_selectorELNS0_4arch9wavefront6targetE1EEEvSP_
	.globl	_ZN7rocprim17ROCPRIM_400000_NS6detail17trampoline_kernelINS0_14default_configENS1_27upper_bound_config_selectorIjiEEZNS1_14transform_implILb0ES3_S5_N6thrust23THRUST_200600_302600_NS6detail15normal_iteratorINS8_10device_ptrIjEEEENSA_INSB_IiEEEEZNS1_13binary_searchIS3_S5_SD_SD_SF_NS1_21upper_bound_search_opENS9_16wrapped_functionINS0_4lessIvEEbEEEE10hipError_tPvRmT1_T2_T3_mmT4_T5_P12ihipStream_tbEUlRKjE_EESM_SQ_SR_mSS_SV_bEUlT_E_NS1_11comp_targetILNS1_3genE2ELNS1_11target_archE906ELNS1_3gpuE6ELNS1_3repE0EEENS1_30default_config_static_selectorELNS0_4arch9wavefront6targetE1EEEvSP_
	.p2align	8
	.type	_ZN7rocprim17ROCPRIM_400000_NS6detail17trampoline_kernelINS0_14default_configENS1_27upper_bound_config_selectorIjiEEZNS1_14transform_implILb0ES3_S5_N6thrust23THRUST_200600_302600_NS6detail15normal_iteratorINS8_10device_ptrIjEEEENSA_INSB_IiEEEEZNS1_13binary_searchIS3_S5_SD_SD_SF_NS1_21upper_bound_search_opENS9_16wrapped_functionINS0_4lessIvEEbEEEE10hipError_tPvRmT1_T2_T3_mmT4_T5_P12ihipStream_tbEUlRKjE_EESM_SQ_SR_mSS_SV_bEUlT_E_NS1_11comp_targetILNS1_3genE2ELNS1_11target_archE906ELNS1_3gpuE6ELNS1_3repE0EEENS1_30default_config_static_selectorELNS0_4arch9wavefront6targetE1EEEvSP_,@function
_ZN7rocprim17ROCPRIM_400000_NS6detail17trampoline_kernelINS0_14default_configENS1_27upper_bound_config_selectorIjiEEZNS1_14transform_implILb0ES3_S5_N6thrust23THRUST_200600_302600_NS6detail15normal_iteratorINS8_10device_ptrIjEEEENSA_INSB_IiEEEEZNS1_13binary_searchIS3_S5_SD_SD_SF_NS1_21upper_bound_search_opENS9_16wrapped_functionINS0_4lessIvEEbEEEE10hipError_tPvRmT1_T2_T3_mmT4_T5_P12ihipStream_tbEUlRKjE_EESM_SQ_SR_mSS_SV_bEUlT_E_NS1_11comp_targetILNS1_3genE2ELNS1_11target_archE906ELNS1_3gpuE6ELNS1_3repE0EEENS1_30default_config_static_selectorELNS0_4arch9wavefront6targetE1EEEvSP_: ; @_ZN7rocprim17ROCPRIM_400000_NS6detail17trampoline_kernelINS0_14default_configENS1_27upper_bound_config_selectorIjiEEZNS1_14transform_implILb0ES3_S5_N6thrust23THRUST_200600_302600_NS6detail15normal_iteratorINS8_10device_ptrIjEEEENSA_INSB_IiEEEEZNS1_13binary_searchIS3_S5_SD_SD_SF_NS1_21upper_bound_search_opENS9_16wrapped_functionINS0_4lessIvEEbEEEE10hipError_tPvRmT1_T2_T3_mmT4_T5_P12ihipStream_tbEUlRKjE_EESM_SQ_SR_mSS_SV_bEUlT_E_NS1_11comp_targetILNS1_3genE2ELNS1_11target_archE906ELNS1_3gpuE6ELNS1_3repE0EEENS1_30default_config_static_selectorELNS0_4arch9wavefront6targetE1EEEvSP_
; %bb.0:
	.section	.rodata,"a",@progbits
	.p2align	6, 0x0
	.amdhsa_kernel _ZN7rocprim17ROCPRIM_400000_NS6detail17trampoline_kernelINS0_14default_configENS1_27upper_bound_config_selectorIjiEEZNS1_14transform_implILb0ES3_S5_N6thrust23THRUST_200600_302600_NS6detail15normal_iteratorINS8_10device_ptrIjEEEENSA_INSB_IiEEEEZNS1_13binary_searchIS3_S5_SD_SD_SF_NS1_21upper_bound_search_opENS9_16wrapped_functionINS0_4lessIvEEbEEEE10hipError_tPvRmT1_T2_T3_mmT4_T5_P12ihipStream_tbEUlRKjE_EESM_SQ_SR_mSS_SV_bEUlT_E_NS1_11comp_targetILNS1_3genE2ELNS1_11target_archE906ELNS1_3gpuE6ELNS1_3repE0EEENS1_30default_config_static_selectorELNS0_4arch9wavefront6targetE1EEEvSP_
		.amdhsa_group_segment_fixed_size 0
		.amdhsa_private_segment_fixed_size 0
		.amdhsa_kernarg_size 56
		.amdhsa_user_sgpr_count 6
		.amdhsa_user_sgpr_private_segment_buffer 1
		.amdhsa_user_sgpr_dispatch_ptr 0
		.amdhsa_user_sgpr_queue_ptr 0
		.amdhsa_user_sgpr_kernarg_segment_ptr 1
		.amdhsa_user_sgpr_dispatch_id 0
		.amdhsa_user_sgpr_flat_scratch_init 0
		.amdhsa_user_sgpr_kernarg_preload_length 0
		.amdhsa_user_sgpr_kernarg_preload_offset 0
		.amdhsa_user_sgpr_private_segment_size 0
		.amdhsa_uses_dynamic_stack 0
		.amdhsa_system_sgpr_private_segment_wavefront_offset 0
		.amdhsa_system_sgpr_workgroup_id_x 1
		.amdhsa_system_sgpr_workgroup_id_y 0
		.amdhsa_system_sgpr_workgroup_id_z 0
		.amdhsa_system_sgpr_workgroup_info 0
		.amdhsa_system_vgpr_workitem_id 0
		.amdhsa_next_free_vgpr 1
		.amdhsa_next_free_sgpr 0
		.amdhsa_accum_offset 4
		.amdhsa_reserve_vcc 0
		.amdhsa_reserve_flat_scratch 0
		.amdhsa_float_round_mode_32 0
		.amdhsa_float_round_mode_16_64 0
		.amdhsa_float_denorm_mode_32 3
		.amdhsa_float_denorm_mode_16_64 3
		.amdhsa_dx10_clamp 1
		.amdhsa_ieee_mode 1
		.amdhsa_fp16_overflow 0
		.amdhsa_tg_split 0
		.amdhsa_exception_fp_ieee_invalid_op 0
		.amdhsa_exception_fp_denorm_src 0
		.amdhsa_exception_fp_ieee_div_zero 0
		.amdhsa_exception_fp_ieee_overflow 0
		.amdhsa_exception_fp_ieee_underflow 0
		.amdhsa_exception_fp_ieee_inexact 0
		.amdhsa_exception_int_div_zero 0
	.end_amdhsa_kernel
	.section	.text._ZN7rocprim17ROCPRIM_400000_NS6detail17trampoline_kernelINS0_14default_configENS1_27upper_bound_config_selectorIjiEEZNS1_14transform_implILb0ES3_S5_N6thrust23THRUST_200600_302600_NS6detail15normal_iteratorINS8_10device_ptrIjEEEENSA_INSB_IiEEEEZNS1_13binary_searchIS3_S5_SD_SD_SF_NS1_21upper_bound_search_opENS9_16wrapped_functionINS0_4lessIvEEbEEEE10hipError_tPvRmT1_T2_T3_mmT4_T5_P12ihipStream_tbEUlRKjE_EESM_SQ_SR_mSS_SV_bEUlT_E_NS1_11comp_targetILNS1_3genE2ELNS1_11target_archE906ELNS1_3gpuE6ELNS1_3repE0EEENS1_30default_config_static_selectorELNS0_4arch9wavefront6targetE1EEEvSP_,"axG",@progbits,_ZN7rocprim17ROCPRIM_400000_NS6detail17trampoline_kernelINS0_14default_configENS1_27upper_bound_config_selectorIjiEEZNS1_14transform_implILb0ES3_S5_N6thrust23THRUST_200600_302600_NS6detail15normal_iteratorINS8_10device_ptrIjEEEENSA_INSB_IiEEEEZNS1_13binary_searchIS3_S5_SD_SD_SF_NS1_21upper_bound_search_opENS9_16wrapped_functionINS0_4lessIvEEbEEEE10hipError_tPvRmT1_T2_T3_mmT4_T5_P12ihipStream_tbEUlRKjE_EESM_SQ_SR_mSS_SV_bEUlT_E_NS1_11comp_targetILNS1_3genE2ELNS1_11target_archE906ELNS1_3gpuE6ELNS1_3repE0EEENS1_30default_config_static_selectorELNS0_4arch9wavefront6targetE1EEEvSP_,comdat
.Lfunc_end361:
	.size	_ZN7rocprim17ROCPRIM_400000_NS6detail17trampoline_kernelINS0_14default_configENS1_27upper_bound_config_selectorIjiEEZNS1_14transform_implILb0ES3_S5_N6thrust23THRUST_200600_302600_NS6detail15normal_iteratorINS8_10device_ptrIjEEEENSA_INSB_IiEEEEZNS1_13binary_searchIS3_S5_SD_SD_SF_NS1_21upper_bound_search_opENS9_16wrapped_functionINS0_4lessIvEEbEEEE10hipError_tPvRmT1_T2_T3_mmT4_T5_P12ihipStream_tbEUlRKjE_EESM_SQ_SR_mSS_SV_bEUlT_E_NS1_11comp_targetILNS1_3genE2ELNS1_11target_archE906ELNS1_3gpuE6ELNS1_3repE0EEENS1_30default_config_static_selectorELNS0_4arch9wavefront6targetE1EEEvSP_, .Lfunc_end361-_ZN7rocprim17ROCPRIM_400000_NS6detail17trampoline_kernelINS0_14default_configENS1_27upper_bound_config_selectorIjiEEZNS1_14transform_implILb0ES3_S5_N6thrust23THRUST_200600_302600_NS6detail15normal_iteratorINS8_10device_ptrIjEEEENSA_INSB_IiEEEEZNS1_13binary_searchIS3_S5_SD_SD_SF_NS1_21upper_bound_search_opENS9_16wrapped_functionINS0_4lessIvEEbEEEE10hipError_tPvRmT1_T2_T3_mmT4_T5_P12ihipStream_tbEUlRKjE_EESM_SQ_SR_mSS_SV_bEUlT_E_NS1_11comp_targetILNS1_3genE2ELNS1_11target_archE906ELNS1_3gpuE6ELNS1_3repE0EEENS1_30default_config_static_selectorELNS0_4arch9wavefront6targetE1EEEvSP_
                                        ; -- End function
	.section	.AMDGPU.csdata,"",@progbits
; Kernel info:
; codeLenInByte = 0
; NumSgprs: 4
; NumVgprs: 0
; NumAgprs: 0
; TotalNumVgprs: 0
; ScratchSize: 0
; MemoryBound: 0
; FloatMode: 240
; IeeeMode: 1
; LDSByteSize: 0 bytes/workgroup (compile time only)
; SGPRBlocks: 0
; VGPRBlocks: 0
; NumSGPRsForWavesPerEU: 4
; NumVGPRsForWavesPerEU: 1
; AccumOffset: 4
; Occupancy: 8
; WaveLimiterHint : 0
; COMPUTE_PGM_RSRC2:SCRATCH_EN: 0
; COMPUTE_PGM_RSRC2:USER_SGPR: 6
; COMPUTE_PGM_RSRC2:TRAP_HANDLER: 0
; COMPUTE_PGM_RSRC2:TGID_X_EN: 1
; COMPUTE_PGM_RSRC2:TGID_Y_EN: 0
; COMPUTE_PGM_RSRC2:TGID_Z_EN: 0
; COMPUTE_PGM_RSRC2:TIDIG_COMP_CNT: 0
; COMPUTE_PGM_RSRC3_GFX90A:ACCUM_OFFSET: 0
; COMPUTE_PGM_RSRC3_GFX90A:TG_SPLIT: 0
	.section	.text._ZN7rocprim17ROCPRIM_400000_NS6detail17trampoline_kernelINS0_14default_configENS1_27upper_bound_config_selectorIjiEEZNS1_14transform_implILb0ES3_S5_N6thrust23THRUST_200600_302600_NS6detail15normal_iteratorINS8_10device_ptrIjEEEENSA_INSB_IiEEEEZNS1_13binary_searchIS3_S5_SD_SD_SF_NS1_21upper_bound_search_opENS9_16wrapped_functionINS0_4lessIvEEbEEEE10hipError_tPvRmT1_T2_T3_mmT4_T5_P12ihipStream_tbEUlRKjE_EESM_SQ_SR_mSS_SV_bEUlT_E_NS1_11comp_targetILNS1_3genE10ELNS1_11target_archE1201ELNS1_3gpuE5ELNS1_3repE0EEENS1_30default_config_static_selectorELNS0_4arch9wavefront6targetE1EEEvSP_,"axG",@progbits,_ZN7rocprim17ROCPRIM_400000_NS6detail17trampoline_kernelINS0_14default_configENS1_27upper_bound_config_selectorIjiEEZNS1_14transform_implILb0ES3_S5_N6thrust23THRUST_200600_302600_NS6detail15normal_iteratorINS8_10device_ptrIjEEEENSA_INSB_IiEEEEZNS1_13binary_searchIS3_S5_SD_SD_SF_NS1_21upper_bound_search_opENS9_16wrapped_functionINS0_4lessIvEEbEEEE10hipError_tPvRmT1_T2_T3_mmT4_T5_P12ihipStream_tbEUlRKjE_EESM_SQ_SR_mSS_SV_bEUlT_E_NS1_11comp_targetILNS1_3genE10ELNS1_11target_archE1201ELNS1_3gpuE5ELNS1_3repE0EEENS1_30default_config_static_selectorELNS0_4arch9wavefront6targetE1EEEvSP_,comdat
	.protected	_ZN7rocprim17ROCPRIM_400000_NS6detail17trampoline_kernelINS0_14default_configENS1_27upper_bound_config_selectorIjiEEZNS1_14transform_implILb0ES3_S5_N6thrust23THRUST_200600_302600_NS6detail15normal_iteratorINS8_10device_ptrIjEEEENSA_INSB_IiEEEEZNS1_13binary_searchIS3_S5_SD_SD_SF_NS1_21upper_bound_search_opENS9_16wrapped_functionINS0_4lessIvEEbEEEE10hipError_tPvRmT1_T2_T3_mmT4_T5_P12ihipStream_tbEUlRKjE_EESM_SQ_SR_mSS_SV_bEUlT_E_NS1_11comp_targetILNS1_3genE10ELNS1_11target_archE1201ELNS1_3gpuE5ELNS1_3repE0EEENS1_30default_config_static_selectorELNS0_4arch9wavefront6targetE1EEEvSP_ ; -- Begin function _ZN7rocprim17ROCPRIM_400000_NS6detail17trampoline_kernelINS0_14default_configENS1_27upper_bound_config_selectorIjiEEZNS1_14transform_implILb0ES3_S5_N6thrust23THRUST_200600_302600_NS6detail15normal_iteratorINS8_10device_ptrIjEEEENSA_INSB_IiEEEEZNS1_13binary_searchIS3_S5_SD_SD_SF_NS1_21upper_bound_search_opENS9_16wrapped_functionINS0_4lessIvEEbEEEE10hipError_tPvRmT1_T2_T3_mmT4_T5_P12ihipStream_tbEUlRKjE_EESM_SQ_SR_mSS_SV_bEUlT_E_NS1_11comp_targetILNS1_3genE10ELNS1_11target_archE1201ELNS1_3gpuE5ELNS1_3repE0EEENS1_30default_config_static_selectorELNS0_4arch9wavefront6targetE1EEEvSP_
	.globl	_ZN7rocprim17ROCPRIM_400000_NS6detail17trampoline_kernelINS0_14default_configENS1_27upper_bound_config_selectorIjiEEZNS1_14transform_implILb0ES3_S5_N6thrust23THRUST_200600_302600_NS6detail15normal_iteratorINS8_10device_ptrIjEEEENSA_INSB_IiEEEEZNS1_13binary_searchIS3_S5_SD_SD_SF_NS1_21upper_bound_search_opENS9_16wrapped_functionINS0_4lessIvEEbEEEE10hipError_tPvRmT1_T2_T3_mmT4_T5_P12ihipStream_tbEUlRKjE_EESM_SQ_SR_mSS_SV_bEUlT_E_NS1_11comp_targetILNS1_3genE10ELNS1_11target_archE1201ELNS1_3gpuE5ELNS1_3repE0EEENS1_30default_config_static_selectorELNS0_4arch9wavefront6targetE1EEEvSP_
	.p2align	8
	.type	_ZN7rocprim17ROCPRIM_400000_NS6detail17trampoline_kernelINS0_14default_configENS1_27upper_bound_config_selectorIjiEEZNS1_14transform_implILb0ES3_S5_N6thrust23THRUST_200600_302600_NS6detail15normal_iteratorINS8_10device_ptrIjEEEENSA_INSB_IiEEEEZNS1_13binary_searchIS3_S5_SD_SD_SF_NS1_21upper_bound_search_opENS9_16wrapped_functionINS0_4lessIvEEbEEEE10hipError_tPvRmT1_T2_T3_mmT4_T5_P12ihipStream_tbEUlRKjE_EESM_SQ_SR_mSS_SV_bEUlT_E_NS1_11comp_targetILNS1_3genE10ELNS1_11target_archE1201ELNS1_3gpuE5ELNS1_3repE0EEENS1_30default_config_static_selectorELNS0_4arch9wavefront6targetE1EEEvSP_,@function
_ZN7rocprim17ROCPRIM_400000_NS6detail17trampoline_kernelINS0_14default_configENS1_27upper_bound_config_selectorIjiEEZNS1_14transform_implILb0ES3_S5_N6thrust23THRUST_200600_302600_NS6detail15normal_iteratorINS8_10device_ptrIjEEEENSA_INSB_IiEEEEZNS1_13binary_searchIS3_S5_SD_SD_SF_NS1_21upper_bound_search_opENS9_16wrapped_functionINS0_4lessIvEEbEEEE10hipError_tPvRmT1_T2_T3_mmT4_T5_P12ihipStream_tbEUlRKjE_EESM_SQ_SR_mSS_SV_bEUlT_E_NS1_11comp_targetILNS1_3genE10ELNS1_11target_archE1201ELNS1_3gpuE5ELNS1_3repE0EEENS1_30default_config_static_selectorELNS0_4arch9wavefront6targetE1EEEvSP_: ; @_ZN7rocprim17ROCPRIM_400000_NS6detail17trampoline_kernelINS0_14default_configENS1_27upper_bound_config_selectorIjiEEZNS1_14transform_implILb0ES3_S5_N6thrust23THRUST_200600_302600_NS6detail15normal_iteratorINS8_10device_ptrIjEEEENSA_INSB_IiEEEEZNS1_13binary_searchIS3_S5_SD_SD_SF_NS1_21upper_bound_search_opENS9_16wrapped_functionINS0_4lessIvEEbEEEE10hipError_tPvRmT1_T2_T3_mmT4_T5_P12ihipStream_tbEUlRKjE_EESM_SQ_SR_mSS_SV_bEUlT_E_NS1_11comp_targetILNS1_3genE10ELNS1_11target_archE1201ELNS1_3gpuE5ELNS1_3repE0EEENS1_30default_config_static_selectorELNS0_4arch9wavefront6targetE1EEEvSP_
; %bb.0:
	.section	.rodata,"a",@progbits
	.p2align	6, 0x0
	.amdhsa_kernel _ZN7rocprim17ROCPRIM_400000_NS6detail17trampoline_kernelINS0_14default_configENS1_27upper_bound_config_selectorIjiEEZNS1_14transform_implILb0ES3_S5_N6thrust23THRUST_200600_302600_NS6detail15normal_iteratorINS8_10device_ptrIjEEEENSA_INSB_IiEEEEZNS1_13binary_searchIS3_S5_SD_SD_SF_NS1_21upper_bound_search_opENS9_16wrapped_functionINS0_4lessIvEEbEEEE10hipError_tPvRmT1_T2_T3_mmT4_T5_P12ihipStream_tbEUlRKjE_EESM_SQ_SR_mSS_SV_bEUlT_E_NS1_11comp_targetILNS1_3genE10ELNS1_11target_archE1201ELNS1_3gpuE5ELNS1_3repE0EEENS1_30default_config_static_selectorELNS0_4arch9wavefront6targetE1EEEvSP_
		.amdhsa_group_segment_fixed_size 0
		.amdhsa_private_segment_fixed_size 0
		.amdhsa_kernarg_size 56
		.amdhsa_user_sgpr_count 6
		.amdhsa_user_sgpr_private_segment_buffer 1
		.amdhsa_user_sgpr_dispatch_ptr 0
		.amdhsa_user_sgpr_queue_ptr 0
		.amdhsa_user_sgpr_kernarg_segment_ptr 1
		.amdhsa_user_sgpr_dispatch_id 0
		.amdhsa_user_sgpr_flat_scratch_init 0
		.amdhsa_user_sgpr_kernarg_preload_length 0
		.amdhsa_user_sgpr_kernarg_preload_offset 0
		.amdhsa_user_sgpr_private_segment_size 0
		.amdhsa_uses_dynamic_stack 0
		.amdhsa_system_sgpr_private_segment_wavefront_offset 0
		.amdhsa_system_sgpr_workgroup_id_x 1
		.amdhsa_system_sgpr_workgroup_id_y 0
		.amdhsa_system_sgpr_workgroup_id_z 0
		.amdhsa_system_sgpr_workgroup_info 0
		.amdhsa_system_vgpr_workitem_id 0
		.amdhsa_next_free_vgpr 1
		.amdhsa_next_free_sgpr 0
		.amdhsa_accum_offset 4
		.amdhsa_reserve_vcc 0
		.amdhsa_reserve_flat_scratch 0
		.amdhsa_float_round_mode_32 0
		.amdhsa_float_round_mode_16_64 0
		.amdhsa_float_denorm_mode_32 3
		.amdhsa_float_denorm_mode_16_64 3
		.amdhsa_dx10_clamp 1
		.amdhsa_ieee_mode 1
		.amdhsa_fp16_overflow 0
		.amdhsa_tg_split 0
		.amdhsa_exception_fp_ieee_invalid_op 0
		.amdhsa_exception_fp_denorm_src 0
		.amdhsa_exception_fp_ieee_div_zero 0
		.amdhsa_exception_fp_ieee_overflow 0
		.amdhsa_exception_fp_ieee_underflow 0
		.amdhsa_exception_fp_ieee_inexact 0
		.amdhsa_exception_int_div_zero 0
	.end_amdhsa_kernel
	.section	.text._ZN7rocprim17ROCPRIM_400000_NS6detail17trampoline_kernelINS0_14default_configENS1_27upper_bound_config_selectorIjiEEZNS1_14transform_implILb0ES3_S5_N6thrust23THRUST_200600_302600_NS6detail15normal_iteratorINS8_10device_ptrIjEEEENSA_INSB_IiEEEEZNS1_13binary_searchIS3_S5_SD_SD_SF_NS1_21upper_bound_search_opENS9_16wrapped_functionINS0_4lessIvEEbEEEE10hipError_tPvRmT1_T2_T3_mmT4_T5_P12ihipStream_tbEUlRKjE_EESM_SQ_SR_mSS_SV_bEUlT_E_NS1_11comp_targetILNS1_3genE10ELNS1_11target_archE1201ELNS1_3gpuE5ELNS1_3repE0EEENS1_30default_config_static_selectorELNS0_4arch9wavefront6targetE1EEEvSP_,"axG",@progbits,_ZN7rocprim17ROCPRIM_400000_NS6detail17trampoline_kernelINS0_14default_configENS1_27upper_bound_config_selectorIjiEEZNS1_14transform_implILb0ES3_S5_N6thrust23THRUST_200600_302600_NS6detail15normal_iteratorINS8_10device_ptrIjEEEENSA_INSB_IiEEEEZNS1_13binary_searchIS3_S5_SD_SD_SF_NS1_21upper_bound_search_opENS9_16wrapped_functionINS0_4lessIvEEbEEEE10hipError_tPvRmT1_T2_T3_mmT4_T5_P12ihipStream_tbEUlRKjE_EESM_SQ_SR_mSS_SV_bEUlT_E_NS1_11comp_targetILNS1_3genE10ELNS1_11target_archE1201ELNS1_3gpuE5ELNS1_3repE0EEENS1_30default_config_static_selectorELNS0_4arch9wavefront6targetE1EEEvSP_,comdat
.Lfunc_end362:
	.size	_ZN7rocprim17ROCPRIM_400000_NS6detail17trampoline_kernelINS0_14default_configENS1_27upper_bound_config_selectorIjiEEZNS1_14transform_implILb0ES3_S5_N6thrust23THRUST_200600_302600_NS6detail15normal_iteratorINS8_10device_ptrIjEEEENSA_INSB_IiEEEEZNS1_13binary_searchIS3_S5_SD_SD_SF_NS1_21upper_bound_search_opENS9_16wrapped_functionINS0_4lessIvEEbEEEE10hipError_tPvRmT1_T2_T3_mmT4_T5_P12ihipStream_tbEUlRKjE_EESM_SQ_SR_mSS_SV_bEUlT_E_NS1_11comp_targetILNS1_3genE10ELNS1_11target_archE1201ELNS1_3gpuE5ELNS1_3repE0EEENS1_30default_config_static_selectorELNS0_4arch9wavefront6targetE1EEEvSP_, .Lfunc_end362-_ZN7rocprim17ROCPRIM_400000_NS6detail17trampoline_kernelINS0_14default_configENS1_27upper_bound_config_selectorIjiEEZNS1_14transform_implILb0ES3_S5_N6thrust23THRUST_200600_302600_NS6detail15normal_iteratorINS8_10device_ptrIjEEEENSA_INSB_IiEEEEZNS1_13binary_searchIS3_S5_SD_SD_SF_NS1_21upper_bound_search_opENS9_16wrapped_functionINS0_4lessIvEEbEEEE10hipError_tPvRmT1_T2_T3_mmT4_T5_P12ihipStream_tbEUlRKjE_EESM_SQ_SR_mSS_SV_bEUlT_E_NS1_11comp_targetILNS1_3genE10ELNS1_11target_archE1201ELNS1_3gpuE5ELNS1_3repE0EEENS1_30default_config_static_selectorELNS0_4arch9wavefront6targetE1EEEvSP_
                                        ; -- End function
	.section	.AMDGPU.csdata,"",@progbits
; Kernel info:
; codeLenInByte = 0
; NumSgprs: 4
; NumVgprs: 0
; NumAgprs: 0
; TotalNumVgprs: 0
; ScratchSize: 0
; MemoryBound: 0
; FloatMode: 240
; IeeeMode: 1
; LDSByteSize: 0 bytes/workgroup (compile time only)
; SGPRBlocks: 0
; VGPRBlocks: 0
; NumSGPRsForWavesPerEU: 4
; NumVGPRsForWavesPerEU: 1
; AccumOffset: 4
; Occupancy: 8
; WaveLimiterHint : 0
; COMPUTE_PGM_RSRC2:SCRATCH_EN: 0
; COMPUTE_PGM_RSRC2:USER_SGPR: 6
; COMPUTE_PGM_RSRC2:TRAP_HANDLER: 0
; COMPUTE_PGM_RSRC2:TGID_X_EN: 1
; COMPUTE_PGM_RSRC2:TGID_Y_EN: 0
; COMPUTE_PGM_RSRC2:TGID_Z_EN: 0
; COMPUTE_PGM_RSRC2:TIDIG_COMP_CNT: 0
; COMPUTE_PGM_RSRC3_GFX90A:ACCUM_OFFSET: 0
; COMPUTE_PGM_RSRC3_GFX90A:TG_SPLIT: 0
	.section	.text._ZN7rocprim17ROCPRIM_400000_NS6detail17trampoline_kernelINS0_14default_configENS1_27upper_bound_config_selectorIjiEEZNS1_14transform_implILb0ES3_S5_N6thrust23THRUST_200600_302600_NS6detail15normal_iteratorINS8_10device_ptrIjEEEENSA_INSB_IiEEEEZNS1_13binary_searchIS3_S5_SD_SD_SF_NS1_21upper_bound_search_opENS9_16wrapped_functionINS0_4lessIvEEbEEEE10hipError_tPvRmT1_T2_T3_mmT4_T5_P12ihipStream_tbEUlRKjE_EESM_SQ_SR_mSS_SV_bEUlT_E_NS1_11comp_targetILNS1_3genE10ELNS1_11target_archE1200ELNS1_3gpuE4ELNS1_3repE0EEENS1_30default_config_static_selectorELNS0_4arch9wavefront6targetE1EEEvSP_,"axG",@progbits,_ZN7rocprim17ROCPRIM_400000_NS6detail17trampoline_kernelINS0_14default_configENS1_27upper_bound_config_selectorIjiEEZNS1_14transform_implILb0ES3_S5_N6thrust23THRUST_200600_302600_NS6detail15normal_iteratorINS8_10device_ptrIjEEEENSA_INSB_IiEEEEZNS1_13binary_searchIS3_S5_SD_SD_SF_NS1_21upper_bound_search_opENS9_16wrapped_functionINS0_4lessIvEEbEEEE10hipError_tPvRmT1_T2_T3_mmT4_T5_P12ihipStream_tbEUlRKjE_EESM_SQ_SR_mSS_SV_bEUlT_E_NS1_11comp_targetILNS1_3genE10ELNS1_11target_archE1200ELNS1_3gpuE4ELNS1_3repE0EEENS1_30default_config_static_selectorELNS0_4arch9wavefront6targetE1EEEvSP_,comdat
	.protected	_ZN7rocprim17ROCPRIM_400000_NS6detail17trampoline_kernelINS0_14default_configENS1_27upper_bound_config_selectorIjiEEZNS1_14transform_implILb0ES3_S5_N6thrust23THRUST_200600_302600_NS6detail15normal_iteratorINS8_10device_ptrIjEEEENSA_INSB_IiEEEEZNS1_13binary_searchIS3_S5_SD_SD_SF_NS1_21upper_bound_search_opENS9_16wrapped_functionINS0_4lessIvEEbEEEE10hipError_tPvRmT1_T2_T3_mmT4_T5_P12ihipStream_tbEUlRKjE_EESM_SQ_SR_mSS_SV_bEUlT_E_NS1_11comp_targetILNS1_3genE10ELNS1_11target_archE1200ELNS1_3gpuE4ELNS1_3repE0EEENS1_30default_config_static_selectorELNS0_4arch9wavefront6targetE1EEEvSP_ ; -- Begin function _ZN7rocprim17ROCPRIM_400000_NS6detail17trampoline_kernelINS0_14default_configENS1_27upper_bound_config_selectorIjiEEZNS1_14transform_implILb0ES3_S5_N6thrust23THRUST_200600_302600_NS6detail15normal_iteratorINS8_10device_ptrIjEEEENSA_INSB_IiEEEEZNS1_13binary_searchIS3_S5_SD_SD_SF_NS1_21upper_bound_search_opENS9_16wrapped_functionINS0_4lessIvEEbEEEE10hipError_tPvRmT1_T2_T3_mmT4_T5_P12ihipStream_tbEUlRKjE_EESM_SQ_SR_mSS_SV_bEUlT_E_NS1_11comp_targetILNS1_3genE10ELNS1_11target_archE1200ELNS1_3gpuE4ELNS1_3repE0EEENS1_30default_config_static_selectorELNS0_4arch9wavefront6targetE1EEEvSP_
	.globl	_ZN7rocprim17ROCPRIM_400000_NS6detail17trampoline_kernelINS0_14default_configENS1_27upper_bound_config_selectorIjiEEZNS1_14transform_implILb0ES3_S5_N6thrust23THRUST_200600_302600_NS6detail15normal_iteratorINS8_10device_ptrIjEEEENSA_INSB_IiEEEEZNS1_13binary_searchIS3_S5_SD_SD_SF_NS1_21upper_bound_search_opENS9_16wrapped_functionINS0_4lessIvEEbEEEE10hipError_tPvRmT1_T2_T3_mmT4_T5_P12ihipStream_tbEUlRKjE_EESM_SQ_SR_mSS_SV_bEUlT_E_NS1_11comp_targetILNS1_3genE10ELNS1_11target_archE1200ELNS1_3gpuE4ELNS1_3repE0EEENS1_30default_config_static_selectorELNS0_4arch9wavefront6targetE1EEEvSP_
	.p2align	8
	.type	_ZN7rocprim17ROCPRIM_400000_NS6detail17trampoline_kernelINS0_14default_configENS1_27upper_bound_config_selectorIjiEEZNS1_14transform_implILb0ES3_S5_N6thrust23THRUST_200600_302600_NS6detail15normal_iteratorINS8_10device_ptrIjEEEENSA_INSB_IiEEEEZNS1_13binary_searchIS3_S5_SD_SD_SF_NS1_21upper_bound_search_opENS9_16wrapped_functionINS0_4lessIvEEbEEEE10hipError_tPvRmT1_T2_T3_mmT4_T5_P12ihipStream_tbEUlRKjE_EESM_SQ_SR_mSS_SV_bEUlT_E_NS1_11comp_targetILNS1_3genE10ELNS1_11target_archE1200ELNS1_3gpuE4ELNS1_3repE0EEENS1_30default_config_static_selectorELNS0_4arch9wavefront6targetE1EEEvSP_,@function
_ZN7rocprim17ROCPRIM_400000_NS6detail17trampoline_kernelINS0_14default_configENS1_27upper_bound_config_selectorIjiEEZNS1_14transform_implILb0ES3_S5_N6thrust23THRUST_200600_302600_NS6detail15normal_iteratorINS8_10device_ptrIjEEEENSA_INSB_IiEEEEZNS1_13binary_searchIS3_S5_SD_SD_SF_NS1_21upper_bound_search_opENS9_16wrapped_functionINS0_4lessIvEEbEEEE10hipError_tPvRmT1_T2_T3_mmT4_T5_P12ihipStream_tbEUlRKjE_EESM_SQ_SR_mSS_SV_bEUlT_E_NS1_11comp_targetILNS1_3genE10ELNS1_11target_archE1200ELNS1_3gpuE4ELNS1_3repE0EEENS1_30default_config_static_selectorELNS0_4arch9wavefront6targetE1EEEvSP_: ; @_ZN7rocprim17ROCPRIM_400000_NS6detail17trampoline_kernelINS0_14default_configENS1_27upper_bound_config_selectorIjiEEZNS1_14transform_implILb0ES3_S5_N6thrust23THRUST_200600_302600_NS6detail15normal_iteratorINS8_10device_ptrIjEEEENSA_INSB_IiEEEEZNS1_13binary_searchIS3_S5_SD_SD_SF_NS1_21upper_bound_search_opENS9_16wrapped_functionINS0_4lessIvEEbEEEE10hipError_tPvRmT1_T2_T3_mmT4_T5_P12ihipStream_tbEUlRKjE_EESM_SQ_SR_mSS_SV_bEUlT_E_NS1_11comp_targetILNS1_3genE10ELNS1_11target_archE1200ELNS1_3gpuE4ELNS1_3repE0EEENS1_30default_config_static_selectorELNS0_4arch9wavefront6targetE1EEEvSP_
; %bb.0:
	.section	.rodata,"a",@progbits
	.p2align	6, 0x0
	.amdhsa_kernel _ZN7rocprim17ROCPRIM_400000_NS6detail17trampoline_kernelINS0_14default_configENS1_27upper_bound_config_selectorIjiEEZNS1_14transform_implILb0ES3_S5_N6thrust23THRUST_200600_302600_NS6detail15normal_iteratorINS8_10device_ptrIjEEEENSA_INSB_IiEEEEZNS1_13binary_searchIS3_S5_SD_SD_SF_NS1_21upper_bound_search_opENS9_16wrapped_functionINS0_4lessIvEEbEEEE10hipError_tPvRmT1_T2_T3_mmT4_T5_P12ihipStream_tbEUlRKjE_EESM_SQ_SR_mSS_SV_bEUlT_E_NS1_11comp_targetILNS1_3genE10ELNS1_11target_archE1200ELNS1_3gpuE4ELNS1_3repE0EEENS1_30default_config_static_selectorELNS0_4arch9wavefront6targetE1EEEvSP_
		.amdhsa_group_segment_fixed_size 0
		.amdhsa_private_segment_fixed_size 0
		.amdhsa_kernarg_size 56
		.amdhsa_user_sgpr_count 6
		.amdhsa_user_sgpr_private_segment_buffer 1
		.amdhsa_user_sgpr_dispatch_ptr 0
		.amdhsa_user_sgpr_queue_ptr 0
		.amdhsa_user_sgpr_kernarg_segment_ptr 1
		.amdhsa_user_sgpr_dispatch_id 0
		.amdhsa_user_sgpr_flat_scratch_init 0
		.amdhsa_user_sgpr_kernarg_preload_length 0
		.amdhsa_user_sgpr_kernarg_preload_offset 0
		.amdhsa_user_sgpr_private_segment_size 0
		.amdhsa_uses_dynamic_stack 0
		.amdhsa_system_sgpr_private_segment_wavefront_offset 0
		.amdhsa_system_sgpr_workgroup_id_x 1
		.amdhsa_system_sgpr_workgroup_id_y 0
		.amdhsa_system_sgpr_workgroup_id_z 0
		.amdhsa_system_sgpr_workgroup_info 0
		.amdhsa_system_vgpr_workitem_id 0
		.amdhsa_next_free_vgpr 1
		.amdhsa_next_free_sgpr 0
		.amdhsa_accum_offset 4
		.amdhsa_reserve_vcc 0
		.amdhsa_reserve_flat_scratch 0
		.amdhsa_float_round_mode_32 0
		.amdhsa_float_round_mode_16_64 0
		.amdhsa_float_denorm_mode_32 3
		.amdhsa_float_denorm_mode_16_64 3
		.amdhsa_dx10_clamp 1
		.amdhsa_ieee_mode 1
		.amdhsa_fp16_overflow 0
		.amdhsa_tg_split 0
		.amdhsa_exception_fp_ieee_invalid_op 0
		.amdhsa_exception_fp_denorm_src 0
		.amdhsa_exception_fp_ieee_div_zero 0
		.amdhsa_exception_fp_ieee_overflow 0
		.amdhsa_exception_fp_ieee_underflow 0
		.amdhsa_exception_fp_ieee_inexact 0
		.amdhsa_exception_int_div_zero 0
	.end_amdhsa_kernel
	.section	.text._ZN7rocprim17ROCPRIM_400000_NS6detail17trampoline_kernelINS0_14default_configENS1_27upper_bound_config_selectorIjiEEZNS1_14transform_implILb0ES3_S5_N6thrust23THRUST_200600_302600_NS6detail15normal_iteratorINS8_10device_ptrIjEEEENSA_INSB_IiEEEEZNS1_13binary_searchIS3_S5_SD_SD_SF_NS1_21upper_bound_search_opENS9_16wrapped_functionINS0_4lessIvEEbEEEE10hipError_tPvRmT1_T2_T3_mmT4_T5_P12ihipStream_tbEUlRKjE_EESM_SQ_SR_mSS_SV_bEUlT_E_NS1_11comp_targetILNS1_3genE10ELNS1_11target_archE1200ELNS1_3gpuE4ELNS1_3repE0EEENS1_30default_config_static_selectorELNS0_4arch9wavefront6targetE1EEEvSP_,"axG",@progbits,_ZN7rocprim17ROCPRIM_400000_NS6detail17trampoline_kernelINS0_14default_configENS1_27upper_bound_config_selectorIjiEEZNS1_14transform_implILb0ES3_S5_N6thrust23THRUST_200600_302600_NS6detail15normal_iteratorINS8_10device_ptrIjEEEENSA_INSB_IiEEEEZNS1_13binary_searchIS3_S5_SD_SD_SF_NS1_21upper_bound_search_opENS9_16wrapped_functionINS0_4lessIvEEbEEEE10hipError_tPvRmT1_T2_T3_mmT4_T5_P12ihipStream_tbEUlRKjE_EESM_SQ_SR_mSS_SV_bEUlT_E_NS1_11comp_targetILNS1_3genE10ELNS1_11target_archE1200ELNS1_3gpuE4ELNS1_3repE0EEENS1_30default_config_static_selectorELNS0_4arch9wavefront6targetE1EEEvSP_,comdat
.Lfunc_end363:
	.size	_ZN7rocprim17ROCPRIM_400000_NS6detail17trampoline_kernelINS0_14default_configENS1_27upper_bound_config_selectorIjiEEZNS1_14transform_implILb0ES3_S5_N6thrust23THRUST_200600_302600_NS6detail15normal_iteratorINS8_10device_ptrIjEEEENSA_INSB_IiEEEEZNS1_13binary_searchIS3_S5_SD_SD_SF_NS1_21upper_bound_search_opENS9_16wrapped_functionINS0_4lessIvEEbEEEE10hipError_tPvRmT1_T2_T3_mmT4_T5_P12ihipStream_tbEUlRKjE_EESM_SQ_SR_mSS_SV_bEUlT_E_NS1_11comp_targetILNS1_3genE10ELNS1_11target_archE1200ELNS1_3gpuE4ELNS1_3repE0EEENS1_30default_config_static_selectorELNS0_4arch9wavefront6targetE1EEEvSP_, .Lfunc_end363-_ZN7rocprim17ROCPRIM_400000_NS6detail17trampoline_kernelINS0_14default_configENS1_27upper_bound_config_selectorIjiEEZNS1_14transform_implILb0ES3_S5_N6thrust23THRUST_200600_302600_NS6detail15normal_iteratorINS8_10device_ptrIjEEEENSA_INSB_IiEEEEZNS1_13binary_searchIS3_S5_SD_SD_SF_NS1_21upper_bound_search_opENS9_16wrapped_functionINS0_4lessIvEEbEEEE10hipError_tPvRmT1_T2_T3_mmT4_T5_P12ihipStream_tbEUlRKjE_EESM_SQ_SR_mSS_SV_bEUlT_E_NS1_11comp_targetILNS1_3genE10ELNS1_11target_archE1200ELNS1_3gpuE4ELNS1_3repE0EEENS1_30default_config_static_selectorELNS0_4arch9wavefront6targetE1EEEvSP_
                                        ; -- End function
	.section	.AMDGPU.csdata,"",@progbits
; Kernel info:
; codeLenInByte = 0
; NumSgprs: 4
; NumVgprs: 0
; NumAgprs: 0
; TotalNumVgprs: 0
; ScratchSize: 0
; MemoryBound: 0
; FloatMode: 240
; IeeeMode: 1
; LDSByteSize: 0 bytes/workgroup (compile time only)
; SGPRBlocks: 0
; VGPRBlocks: 0
; NumSGPRsForWavesPerEU: 4
; NumVGPRsForWavesPerEU: 1
; AccumOffset: 4
; Occupancy: 8
; WaveLimiterHint : 0
; COMPUTE_PGM_RSRC2:SCRATCH_EN: 0
; COMPUTE_PGM_RSRC2:USER_SGPR: 6
; COMPUTE_PGM_RSRC2:TRAP_HANDLER: 0
; COMPUTE_PGM_RSRC2:TGID_X_EN: 1
; COMPUTE_PGM_RSRC2:TGID_Y_EN: 0
; COMPUTE_PGM_RSRC2:TGID_Z_EN: 0
; COMPUTE_PGM_RSRC2:TIDIG_COMP_CNT: 0
; COMPUTE_PGM_RSRC3_GFX90A:ACCUM_OFFSET: 0
; COMPUTE_PGM_RSRC3_GFX90A:TG_SPLIT: 0
	.section	.text._ZN7rocprim17ROCPRIM_400000_NS6detail17trampoline_kernelINS0_14default_configENS1_27upper_bound_config_selectorIjiEEZNS1_14transform_implILb0ES3_S5_N6thrust23THRUST_200600_302600_NS6detail15normal_iteratorINS8_10device_ptrIjEEEENSA_INSB_IiEEEEZNS1_13binary_searchIS3_S5_SD_SD_SF_NS1_21upper_bound_search_opENS9_16wrapped_functionINS0_4lessIvEEbEEEE10hipError_tPvRmT1_T2_T3_mmT4_T5_P12ihipStream_tbEUlRKjE_EESM_SQ_SR_mSS_SV_bEUlT_E_NS1_11comp_targetILNS1_3genE9ELNS1_11target_archE1100ELNS1_3gpuE3ELNS1_3repE0EEENS1_30default_config_static_selectorELNS0_4arch9wavefront6targetE1EEEvSP_,"axG",@progbits,_ZN7rocprim17ROCPRIM_400000_NS6detail17trampoline_kernelINS0_14default_configENS1_27upper_bound_config_selectorIjiEEZNS1_14transform_implILb0ES3_S5_N6thrust23THRUST_200600_302600_NS6detail15normal_iteratorINS8_10device_ptrIjEEEENSA_INSB_IiEEEEZNS1_13binary_searchIS3_S5_SD_SD_SF_NS1_21upper_bound_search_opENS9_16wrapped_functionINS0_4lessIvEEbEEEE10hipError_tPvRmT1_T2_T3_mmT4_T5_P12ihipStream_tbEUlRKjE_EESM_SQ_SR_mSS_SV_bEUlT_E_NS1_11comp_targetILNS1_3genE9ELNS1_11target_archE1100ELNS1_3gpuE3ELNS1_3repE0EEENS1_30default_config_static_selectorELNS0_4arch9wavefront6targetE1EEEvSP_,comdat
	.protected	_ZN7rocprim17ROCPRIM_400000_NS6detail17trampoline_kernelINS0_14default_configENS1_27upper_bound_config_selectorIjiEEZNS1_14transform_implILb0ES3_S5_N6thrust23THRUST_200600_302600_NS6detail15normal_iteratorINS8_10device_ptrIjEEEENSA_INSB_IiEEEEZNS1_13binary_searchIS3_S5_SD_SD_SF_NS1_21upper_bound_search_opENS9_16wrapped_functionINS0_4lessIvEEbEEEE10hipError_tPvRmT1_T2_T3_mmT4_T5_P12ihipStream_tbEUlRKjE_EESM_SQ_SR_mSS_SV_bEUlT_E_NS1_11comp_targetILNS1_3genE9ELNS1_11target_archE1100ELNS1_3gpuE3ELNS1_3repE0EEENS1_30default_config_static_selectorELNS0_4arch9wavefront6targetE1EEEvSP_ ; -- Begin function _ZN7rocprim17ROCPRIM_400000_NS6detail17trampoline_kernelINS0_14default_configENS1_27upper_bound_config_selectorIjiEEZNS1_14transform_implILb0ES3_S5_N6thrust23THRUST_200600_302600_NS6detail15normal_iteratorINS8_10device_ptrIjEEEENSA_INSB_IiEEEEZNS1_13binary_searchIS3_S5_SD_SD_SF_NS1_21upper_bound_search_opENS9_16wrapped_functionINS0_4lessIvEEbEEEE10hipError_tPvRmT1_T2_T3_mmT4_T5_P12ihipStream_tbEUlRKjE_EESM_SQ_SR_mSS_SV_bEUlT_E_NS1_11comp_targetILNS1_3genE9ELNS1_11target_archE1100ELNS1_3gpuE3ELNS1_3repE0EEENS1_30default_config_static_selectorELNS0_4arch9wavefront6targetE1EEEvSP_
	.globl	_ZN7rocprim17ROCPRIM_400000_NS6detail17trampoline_kernelINS0_14default_configENS1_27upper_bound_config_selectorIjiEEZNS1_14transform_implILb0ES3_S5_N6thrust23THRUST_200600_302600_NS6detail15normal_iteratorINS8_10device_ptrIjEEEENSA_INSB_IiEEEEZNS1_13binary_searchIS3_S5_SD_SD_SF_NS1_21upper_bound_search_opENS9_16wrapped_functionINS0_4lessIvEEbEEEE10hipError_tPvRmT1_T2_T3_mmT4_T5_P12ihipStream_tbEUlRKjE_EESM_SQ_SR_mSS_SV_bEUlT_E_NS1_11comp_targetILNS1_3genE9ELNS1_11target_archE1100ELNS1_3gpuE3ELNS1_3repE0EEENS1_30default_config_static_selectorELNS0_4arch9wavefront6targetE1EEEvSP_
	.p2align	8
	.type	_ZN7rocprim17ROCPRIM_400000_NS6detail17trampoline_kernelINS0_14default_configENS1_27upper_bound_config_selectorIjiEEZNS1_14transform_implILb0ES3_S5_N6thrust23THRUST_200600_302600_NS6detail15normal_iteratorINS8_10device_ptrIjEEEENSA_INSB_IiEEEEZNS1_13binary_searchIS3_S5_SD_SD_SF_NS1_21upper_bound_search_opENS9_16wrapped_functionINS0_4lessIvEEbEEEE10hipError_tPvRmT1_T2_T3_mmT4_T5_P12ihipStream_tbEUlRKjE_EESM_SQ_SR_mSS_SV_bEUlT_E_NS1_11comp_targetILNS1_3genE9ELNS1_11target_archE1100ELNS1_3gpuE3ELNS1_3repE0EEENS1_30default_config_static_selectorELNS0_4arch9wavefront6targetE1EEEvSP_,@function
_ZN7rocprim17ROCPRIM_400000_NS6detail17trampoline_kernelINS0_14default_configENS1_27upper_bound_config_selectorIjiEEZNS1_14transform_implILb0ES3_S5_N6thrust23THRUST_200600_302600_NS6detail15normal_iteratorINS8_10device_ptrIjEEEENSA_INSB_IiEEEEZNS1_13binary_searchIS3_S5_SD_SD_SF_NS1_21upper_bound_search_opENS9_16wrapped_functionINS0_4lessIvEEbEEEE10hipError_tPvRmT1_T2_T3_mmT4_T5_P12ihipStream_tbEUlRKjE_EESM_SQ_SR_mSS_SV_bEUlT_E_NS1_11comp_targetILNS1_3genE9ELNS1_11target_archE1100ELNS1_3gpuE3ELNS1_3repE0EEENS1_30default_config_static_selectorELNS0_4arch9wavefront6targetE1EEEvSP_: ; @_ZN7rocprim17ROCPRIM_400000_NS6detail17trampoline_kernelINS0_14default_configENS1_27upper_bound_config_selectorIjiEEZNS1_14transform_implILb0ES3_S5_N6thrust23THRUST_200600_302600_NS6detail15normal_iteratorINS8_10device_ptrIjEEEENSA_INSB_IiEEEEZNS1_13binary_searchIS3_S5_SD_SD_SF_NS1_21upper_bound_search_opENS9_16wrapped_functionINS0_4lessIvEEbEEEE10hipError_tPvRmT1_T2_T3_mmT4_T5_P12ihipStream_tbEUlRKjE_EESM_SQ_SR_mSS_SV_bEUlT_E_NS1_11comp_targetILNS1_3genE9ELNS1_11target_archE1100ELNS1_3gpuE3ELNS1_3repE0EEENS1_30default_config_static_selectorELNS0_4arch9wavefront6targetE1EEEvSP_
; %bb.0:
	.section	.rodata,"a",@progbits
	.p2align	6, 0x0
	.amdhsa_kernel _ZN7rocprim17ROCPRIM_400000_NS6detail17trampoline_kernelINS0_14default_configENS1_27upper_bound_config_selectorIjiEEZNS1_14transform_implILb0ES3_S5_N6thrust23THRUST_200600_302600_NS6detail15normal_iteratorINS8_10device_ptrIjEEEENSA_INSB_IiEEEEZNS1_13binary_searchIS3_S5_SD_SD_SF_NS1_21upper_bound_search_opENS9_16wrapped_functionINS0_4lessIvEEbEEEE10hipError_tPvRmT1_T2_T3_mmT4_T5_P12ihipStream_tbEUlRKjE_EESM_SQ_SR_mSS_SV_bEUlT_E_NS1_11comp_targetILNS1_3genE9ELNS1_11target_archE1100ELNS1_3gpuE3ELNS1_3repE0EEENS1_30default_config_static_selectorELNS0_4arch9wavefront6targetE1EEEvSP_
		.amdhsa_group_segment_fixed_size 0
		.amdhsa_private_segment_fixed_size 0
		.amdhsa_kernarg_size 56
		.amdhsa_user_sgpr_count 6
		.amdhsa_user_sgpr_private_segment_buffer 1
		.amdhsa_user_sgpr_dispatch_ptr 0
		.amdhsa_user_sgpr_queue_ptr 0
		.amdhsa_user_sgpr_kernarg_segment_ptr 1
		.amdhsa_user_sgpr_dispatch_id 0
		.amdhsa_user_sgpr_flat_scratch_init 0
		.amdhsa_user_sgpr_kernarg_preload_length 0
		.amdhsa_user_sgpr_kernarg_preload_offset 0
		.amdhsa_user_sgpr_private_segment_size 0
		.amdhsa_uses_dynamic_stack 0
		.amdhsa_system_sgpr_private_segment_wavefront_offset 0
		.amdhsa_system_sgpr_workgroup_id_x 1
		.amdhsa_system_sgpr_workgroup_id_y 0
		.amdhsa_system_sgpr_workgroup_id_z 0
		.amdhsa_system_sgpr_workgroup_info 0
		.amdhsa_system_vgpr_workitem_id 0
		.amdhsa_next_free_vgpr 1
		.amdhsa_next_free_sgpr 0
		.amdhsa_accum_offset 4
		.amdhsa_reserve_vcc 0
		.amdhsa_reserve_flat_scratch 0
		.amdhsa_float_round_mode_32 0
		.amdhsa_float_round_mode_16_64 0
		.amdhsa_float_denorm_mode_32 3
		.amdhsa_float_denorm_mode_16_64 3
		.amdhsa_dx10_clamp 1
		.amdhsa_ieee_mode 1
		.amdhsa_fp16_overflow 0
		.amdhsa_tg_split 0
		.amdhsa_exception_fp_ieee_invalid_op 0
		.amdhsa_exception_fp_denorm_src 0
		.amdhsa_exception_fp_ieee_div_zero 0
		.amdhsa_exception_fp_ieee_overflow 0
		.amdhsa_exception_fp_ieee_underflow 0
		.amdhsa_exception_fp_ieee_inexact 0
		.amdhsa_exception_int_div_zero 0
	.end_amdhsa_kernel
	.section	.text._ZN7rocprim17ROCPRIM_400000_NS6detail17trampoline_kernelINS0_14default_configENS1_27upper_bound_config_selectorIjiEEZNS1_14transform_implILb0ES3_S5_N6thrust23THRUST_200600_302600_NS6detail15normal_iteratorINS8_10device_ptrIjEEEENSA_INSB_IiEEEEZNS1_13binary_searchIS3_S5_SD_SD_SF_NS1_21upper_bound_search_opENS9_16wrapped_functionINS0_4lessIvEEbEEEE10hipError_tPvRmT1_T2_T3_mmT4_T5_P12ihipStream_tbEUlRKjE_EESM_SQ_SR_mSS_SV_bEUlT_E_NS1_11comp_targetILNS1_3genE9ELNS1_11target_archE1100ELNS1_3gpuE3ELNS1_3repE0EEENS1_30default_config_static_selectorELNS0_4arch9wavefront6targetE1EEEvSP_,"axG",@progbits,_ZN7rocprim17ROCPRIM_400000_NS6detail17trampoline_kernelINS0_14default_configENS1_27upper_bound_config_selectorIjiEEZNS1_14transform_implILb0ES3_S5_N6thrust23THRUST_200600_302600_NS6detail15normal_iteratorINS8_10device_ptrIjEEEENSA_INSB_IiEEEEZNS1_13binary_searchIS3_S5_SD_SD_SF_NS1_21upper_bound_search_opENS9_16wrapped_functionINS0_4lessIvEEbEEEE10hipError_tPvRmT1_T2_T3_mmT4_T5_P12ihipStream_tbEUlRKjE_EESM_SQ_SR_mSS_SV_bEUlT_E_NS1_11comp_targetILNS1_3genE9ELNS1_11target_archE1100ELNS1_3gpuE3ELNS1_3repE0EEENS1_30default_config_static_selectorELNS0_4arch9wavefront6targetE1EEEvSP_,comdat
.Lfunc_end364:
	.size	_ZN7rocprim17ROCPRIM_400000_NS6detail17trampoline_kernelINS0_14default_configENS1_27upper_bound_config_selectorIjiEEZNS1_14transform_implILb0ES3_S5_N6thrust23THRUST_200600_302600_NS6detail15normal_iteratorINS8_10device_ptrIjEEEENSA_INSB_IiEEEEZNS1_13binary_searchIS3_S5_SD_SD_SF_NS1_21upper_bound_search_opENS9_16wrapped_functionINS0_4lessIvEEbEEEE10hipError_tPvRmT1_T2_T3_mmT4_T5_P12ihipStream_tbEUlRKjE_EESM_SQ_SR_mSS_SV_bEUlT_E_NS1_11comp_targetILNS1_3genE9ELNS1_11target_archE1100ELNS1_3gpuE3ELNS1_3repE0EEENS1_30default_config_static_selectorELNS0_4arch9wavefront6targetE1EEEvSP_, .Lfunc_end364-_ZN7rocprim17ROCPRIM_400000_NS6detail17trampoline_kernelINS0_14default_configENS1_27upper_bound_config_selectorIjiEEZNS1_14transform_implILb0ES3_S5_N6thrust23THRUST_200600_302600_NS6detail15normal_iteratorINS8_10device_ptrIjEEEENSA_INSB_IiEEEEZNS1_13binary_searchIS3_S5_SD_SD_SF_NS1_21upper_bound_search_opENS9_16wrapped_functionINS0_4lessIvEEbEEEE10hipError_tPvRmT1_T2_T3_mmT4_T5_P12ihipStream_tbEUlRKjE_EESM_SQ_SR_mSS_SV_bEUlT_E_NS1_11comp_targetILNS1_3genE9ELNS1_11target_archE1100ELNS1_3gpuE3ELNS1_3repE0EEENS1_30default_config_static_selectorELNS0_4arch9wavefront6targetE1EEEvSP_
                                        ; -- End function
	.section	.AMDGPU.csdata,"",@progbits
; Kernel info:
; codeLenInByte = 0
; NumSgprs: 4
; NumVgprs: 0
; NumAgprs: 0
; TotalNumVgprs: 0
; ScratchSize: 0
; MemoryBound: 0
; FloatMode: 240
; IeeeMode: 1
; LDSByteSize: 0 bytes/workgroup (compile time only)
; SGPRBlocks: 0
; VGPRBlocks: 0
; NumSGPRsForWavesPerEU: 4
; NumVGPRsForWavesPerEU: 1
; AccumOffset: 4
; Occupancy: 8
; WaveLimiterHint : 0
; COMPUTE_PGM_RSRC2:SCRATCH_EN: 0
; COMPUTE_PGM_RSRC2:USER_SGPR: 6
; COMPUTE_PGM_RSRC2:TRAP_HANDLER: 0
; COMPUTE_PGM_RSRC2:TGID_X_EN: 1
; COMPUTE_PGM_RSRC2:TGID_Y_EN: 0
; COMPUTE_PGM_RSRC2:TGID_Z_EN: 0
; COMPUTE_PGM_RSRC2:TIDIG_COMP_CNT: 0
; COMPUTE_PGM_RSRC3_GFX90A:ACCUM_OFFSET: 0
; COMPUTE_PGM_RSRC3_GFX90A:TG_SPLIT: 0
	.section	.text._ZN7rocprim17ROCPRIM_400000_NS6detail17trampoline_kernelINS0_14default_configENS1_27upper_bound_config_selectorIjiEEZNS1_14transform_implILb0ES3_S5_N6thrust23THRUST_200600_302600_NS6detail15normal_iteratorINS8_10device_ptrIjEEEENSA_INSB_IiEEEEZNS1_13binary_searchIS3_S5_SD_SD_SF_NS1_21upper_bound_search_opENS9_16wrapped_functionINS0_4lessIvEEbEEEE10hipError_tPvRmT1_T2_T3_mmT4_T5_P12ihipStream_tbEUlRKjE_EESM_SQ_SR_mSS_SV_bEUlT_E_NS1_11comp_targetILNS1_3genE8ELNS1_11target_archE1030ELNS1_3gpuE2ELNS1_3repE0EEENS1_30default_config_static_selectorELNS0_4arch9wavefront6targetE1EEEvSP_,"axG",@progbits,_ZN7rocprim17ROCPRIM_400000_NS6detail17trampoline_kernelINS0_14default_configENS1_27upper_bound_config_selectorIjiEEZNS1_14transform_implILb0ES3_S5_N6thrust23THRUST_200600_302600_NS6detail15normal_iteratorINS8_10device_ptrIjEEEENSA_INSB_IiEEEEZNS1_13binary_searchIS3_S5_SD_SD_SF_NS1_21upper_bound_search_opENS9_16wrapped_functionINS0_4lessIvEEbEEEE10hipError_tPvRmT1_T2_T3_mmT4_T5_P12ihipStream_tbEUlRKjE_EESM_SQ_SR_mSS_SV_bEUlT_E_NS1_11comp_targetILNS1_3genE8ELNS1_11target_archE1030ELNS1_3gpuE2ELNS1_3repE0EEENS1_30default_config_static_selectorELNS0_4arch9wavefront6targetE1EEEvSP_,comdat
	.protected	_ZN7rocprim17ROCPRIM_400000_NS6detail17trampoline_kernelINS0_14default_configENS1_27upper_bound_config_selectorIjiEEZNS1_14transform_implILb0ES3_S5_N6thrust23THRUST_200600_302600_NS6detail15normal_iteratorINS8_10device_ptrIjEEEENSA_INSB_IiEEEEZNS1_13binary_searchIS3_S5_SD_SD_SF_NS1_21upper_bound_search_opENS9_16wrapped_functionINS0_4lessIvEEbEEEE10hipError_tPvRmT1_T2_T3_mmT4_T5_P12ihipStream_tbEUlRKjE_EESM_SQ_SR_mSS_SV_bEUlT_E_NS1_11comp_targetILNS1_3genE8ELNS1_11target_archE1030ELNS1_3gpuE2ELNS1_3repE0EEENS1_30default_config_static_selectorELNS0_4arch9wavefront6targetE1EEEvSP_ ; -- Begin function _ZN7rocprim17ROCPRIM_400000_NS6detail17trampoline_kernelINS0_14default_configENS1_27upper_bound_config_selectorIjiEEZNS1_14transform_implILb0ES3_S5_N6thrust23THRUST_200600_302600_NS6detail15normal_iteratorINS8_10device_ptrIjEEEENSA_INSB_IiEEEEZNS1_13binary_searchIS3_S5_SD_SD_SF_NS1_21upper_bound_search_opENS9_16wrapped_functionINS0_4lessIvEEbEEEE10hipError_tPvRmT1_T2_T3_mmT4_T5_P12ihipStream_tbEUlRKjE_EESM_SQ_SR_mSS_SV_bEUlT_E_NS1_11comp_targetILNS1_3genE8ELNS1_11target_archE1030ELNS1_3gpuE2ELNS1_3repE0EEENS1_30default_config_static_selectorELNS0_4arch9wavefront6targetE1EEEvSP_
	.globl	_ZN7rocprim17ROCPRIM_400000_NS6detail17trampoline_kernelINS0_14default_configENS1_27upper_bound_config_selectorIjiEEZNS1_14transform_implILb0ES3_S5_N6thrust23THRUST_200600_302600_NS6detail15normal_iteratorINS8_10device_ptrIjEEEENSA_INSB_IiEEEEZNS1_13binary_searchIS3_S5_SD_SD_SF_NS1_21upper_bound_search_opENS9_16wrapped_functionINS0_4lessIvEEbEEEE10hipError_tPvRmT1_T2_T3_mmT4_T5_P12ihipStream_tbEUlRKjE_EESM_SQ_SR_mSS_SV_bEUlT_E_NS1_11comp_targetILNS1_3genE8ELNS1_11target_archE1030ELNS1_3gpuE2ELNS1_3repE0EEENS1_30default_config_static_selectorELNS0_4arch9wavefront6targetE1EEEvSP_
	.p2align	8
	.type	_ZN7rocprim17ROCPRIM_400000_NS6detail17trampoline_kernelINS0_14default_configENS1_27upper_bound_config_selectorIjiEEZNS1_14transform_implILb0ES3_S5_N6thrust23THRUST_200600_302600_NS6detail15normal_iteratorINS8_10device_ptrIjEEEENSA_INSB_IiEEEEZNS1_13binary_searchIS3_S5_SD_SD_SF_NS1_21upper_bound_search_opENS9_16wrapped_functionINS0_4lessIvEEbEEEE10hipError_tPvRmT1_T2_T3_mmT4_T5_P12ihipStream_tbEUlRKjE_EESM_SQ_SR_mSS_SV_bEUlT_E_NS1_11comp_targetILNS1_3genE8ELNS1_11target_archE1030ELNS1_3gpuE2ELNS1_3repE0EEENS1_30default_config_static_selectorELNS0_4arch9wavefront6targetE1EEEvSP_,@function
_ZN7rocprim17ROCPRIM_400000_NS6detail17trampoline_kernelINS0_14default_configENS1_27upper_bound_config_selectorIjiEEZNS1_14transform_implILb0ES3_S5_N6thrust23THRUST_200600_302600_NS6detail15normal_iteratorINS8_10device_ptrIjEEEENSA_INSB_IiEEEEZNS1_13binary_searchIS3_S5_SD_SD_SF_NS1_21upper_bound_search_opENS9_16wrapped_functionINS0_4lessIvEEbEEEE10hipError_tPvRmT1_T2_T3_mmT4_T5_P12ihipStream_tbEUlRKjE_EESM_SQ_SR_mSS_SV_bEUlT_E_NS1_11comp_targetILNS1_3genE8ELNS1_11target_archE1030ELNS1_3gpuE2ELNS1_3repE0EEENS1_30default_config_static_selectorELNS0_4arch9wavefront6targetE1EEEvSP_: ; @_ZN7rocprim17ROCPRIM_400000_NS6detail17trampoline_kernelINS0_14default_configENS1_27upper_bound_config_selectorIjiEEZNS1_14transform_implILb0ES3_S5_N6thrust23THRUST_200600_302600_NS6detail15normal_iteratorINS8_10device_ptrIjEEEENSA_INSB_IiEEEEZNS1_13binary_searchIS3_S5_SD_SD_SF_NS1_21upper_bound_search_opENS9_16wrapped_functionINS0_4lessIvEEbEEEE10hipError_tPvRmT1_T2_T3_mmT4_T5_P12ihipStream_tbEUlRKjE_EESM_SQ_SR_mSS_SV_bEUlT_E_NS1_11comp_targetILNS1_3genE8ELNS1_11target_archE1030ELNS1_3gpuE2ELNS1_3repE0EEENS1_30default_config_static_selectorELNS0_4arch9wavefront6targetE1EEEvSP_
; %bb.0:
	.section	.rodata,"a",@progbits
	.p2align	6, 0x0
	.amdhsa_kernel _ZN7rocprim17ROCPRIM_400000_NS6detail17trampoline_kernelINS0_14default_configENS1_27upper_bound_config_selectorIjiEEZNS1_14transform_implILb0ES3_S5_N6thrust23THRUST_200600_302600_NS6detail15normal_iteratorINS8_10device_ptrIjEEEENSA_INSB_IiEEEEZNS1_13binary_searchIS3_S5_SD_SD_SF_NS1_21upper_bound_search_opENS9_16wrapped_functionINS0_4lessIvEEbEEEE10hipError_tPvRmT1_T2_T3_mmT4_T5_P12ihipStream_tbEUlRKjE_EESM_SQ_SR_mSS_SV_bEUlT_E_NS1_11comp_targetILNS1_3genE8ELNS1_11target_archE1030ELNS1_3gpuE2ELNS1_3repE0EEENS1_30default_config_static_selectorELNS0_4arch9wavefront6targetE1EEEvSP_
		.amdhsa_group_segment_fixed_size 0
		.amdhsa_private_segment_fixed_size 0
		.amdhsa_kernarg_size 56
		.amdhsa_user_sgpr_count 6
		.amdhsa_user_sgpr_private_segment_buffer 1
		.amdhsa_user_sgpr_dispatch_ptr 0
		.amdhsa_user_sgpr_queue_ptr 0
		.amdhsa_user_sgpr_kernarg_segment_ptr 1
		.amdhsa_user_sgpr_dispatch_id 0
		.amdhsa_user_sgpr_flat_scratch_init 0
		.amdhsa_user_sgpr_kernarg_preload_length 0
		.amdhsa_user_sgpr_kernarg_preload_offset 0
		.amdhsa_user_sgpr_private_segment_size 0
		.amdhsa_uses_dynamic_stack 0
		.amdhsa_system_sgpr_private_segment_wavefront_offset 0
		.amdhsa_system_sgpr_workgroup_id_x 1
		.amdhsa_system_sgpr_workgroup_id_y 0
		.amdhsa_system_sgpr_workgroup_id_z 0
		.amdhsa_system_sgpr_workgroup_info 0
		.amdhsa_system_vgpr_workitem_id 0
		.amdhsa_next_free_vgpr 1
		.amdhsa_next_free_sgpr 0
		.amdhsa_accum_offset 4
		.amdhsa_reserve_vcc 0
		.amdhsa_reserve_flat_scratch 0
		.amdhsa_float_round_mode_32 0
		.amdhsa_float_round_mode_16_64 0
		.amdhsa_float_denorm_mode_32 3
		.amdhsa_float_denorm_mode_16_64 3
		.amdhsa_dx10_clamp 1
		.amdhsa_ieee_mode 1
		.amdhsa_fp16_overflow 0
		.amdhsa_tg_split 0
		.amdhsa_exception_fp_ieee_invalid_op 0
		.amdhsa_exception_fp_denorm_src 0
		.amdhsa_exception_fp_ieee_div_zero 0
		.amdhsa_exception_fp_ieee_overflow 0
		.amdhsa_exception_fp_ieee_underflow 0
		.amdhsa_exception_fp_ieee_inexact 0
		.amdhsa_exception_int_div_zero 0
	.end_amdhsa_kernel
	.section	.text._ZN7rocprim17ROCPRIM_400000_NS6detail17trampoline_kernelINS0_14default_configENS1_27upper_bound_config_selectorIjiEEZNS1_14transform_implILb0ES3_S5_N6thrust23THRUST_200600_302600_NS6detail15normal_iteratorINS8_10device_ptrIjEEEENSA_INSB_IiEEEEZNS1_13binary_searchIS3_S5_SD_SD_SF_NS1_21upper_bound_search_opENS9_16wrapped_functionINS0_4lessIvEEbEEEE10hipError_tPvRmT1_T2_T3_mmT4_T5_P12ihipStream_tbEUlRKjE_EESM_SQ_SR_mSS_SV_bEUlT_E_NS1_11comp_targetILNS1_3genE8ELNS1_11target_archE1030ELNS1_3gpuE2ELNS1_3repE0EEENS1_30default_config_static_selectorELNS0_4arch9wavefront6targetE1EEEvSP_,"axG",@progbits,_ZN7rocprim17ROCPRIM_400000_NS6detail17trampoline_kernelINS0_14default_configENS1_27upper_bound_config_selectorIjiEEZNS1_14transform_implILb0ES3_S5_N6thrust23THRUST_200600_302600_NS6detail15normal_iteratorINS8_10device_ptrIjEEEENSA_INSB_IiEEEEZNS1_13binary_searchIS3_S5_SD_SD_SF_NS1_21upper_bound_search_opENS9_16wrapped_functionINS0_4lessIvEEbEEEE10hipError_tPvRmT1_T2_T3_mmT4_T5_P12ihipStream_tbEUlRKjE_EESM_SQ_SR_mSS_SV_bEUlT_E_NS1_11comp_targetILNS1_3genE8ELNS1_11target_archE1030ELNS1_3gpuE2ELNS1_3repE0EEENS1_30default_config_static_selectorELNS0_4arch9wavefront6targetE1EEEvSP_,comdat
.Lfunc_end365:
	.size	_ZN7rocprim17ROCPRIM_400000_NS6detail17trampoline_kernelINS0_14default_configENS1_27upper_bound_config_selectorIjiEEZNS1_14transform_implILb0ES3_S5_N6thrust23THRUST_200600_302600_NS6detail15normal_iteratorINS8_10device_ptrIjEEEENSA_INSB_IiEEEEZNS1_13binary_searchIS3_S5_SD_SD_SF_NS1_21upper_bound_search_opENS9_16wrapped_functionINS0_4lessIvEEbEEEE10hipError_tPvRmT1_T2_T3_mmT4_T5_P12ihipStream_tbEUlRKjE_EESM_SQ_SR_mSS_SV_bEUlT_E_NS1_11comp_targetILNS1_3genE8ELNS1_11target_archE1030ELNS1_3gpuE2ELNS1_3repE0EEENS1_30default_config_static_selectorELNS0_4arch9wavefront6targetE1EEEvSP_, .Lfunc_end365-_ZN7rocprim17ROCPRIM_400000_NS6detail17trampoline_kernelINS0_14default_configENS1_27upper_bound_config_selectorIjiEEZNS1_14transform_implILb0ES3_S5_N6thrust23THRUST_200600_302600_NS6detail15normal_iteratorINS8_10device_ptrIjEEEENSA_INSB_IiEEEEZNS1_13binary_searchIS3_S5_SD_SD_SF_NS1_21upper_bound_search_opENS9_16wrapped_functionINS0_4lessIvEEbEEEE10hipError_tPvRmT1_T2_T3_mmT4_T5_P12ihipStream_tbEUlRKjE_EESM_SQ_SR_mSS_SV_bEUlT_E_NS1_11comp_targetILNS1_3genE8ELNS1_11target_archE1030ELNS1_3gpuE2ELNS1_3repE0EEENS1_30default_config_static_selectorELNS0_4arch9wavefront6targetE1EEEvSP_
                                        ; -- End function
	.section	.AMDGPU.csdata,"",@progbits
; Kernel info:
; codeLenInByte = 0
; NumSgprs: 4
; NumVgprs: 0
; NumAgprs: 0
; TotalNumVgprs: 0
; ScratchSize: 0
; MemoryBound: 0
; FloatMode: 240
; IeeeMode: 1
; LDSByteSize: 0 bytes/workgroup (compile time only)
; SGPRBlocks: 0
; VGPRBlocks: 0
; NumSGPRsForWavesPerEU: 4
; NumVGPRsForWavesPerEU: 1
; AccumOffset: 4
; Occupancy: 8
; WaveLimiterHint : 0
; COMPUTE_PGM_RSRC2:SCRATCH_EN: 0
; COMPUTE_PGM_RSRC2:USER_SGPR: 6
; COMPUTE_PGM_RSRC2:TRAP_HANDLER: 0
; COMPUTE_PGM_RSRC2:TGID_X_EN: 1
; COMPUTE_PGM_RSRC2:TGID_Y_EN: 0
; COMPUTE_PGM_RSRC2:TGID_Z_EN: 0
; COMPUTE_PGM_RSRC2:TIDIG_COMP_CNT: 0
; COMPUTE_PGM_RSRC3_GFX90A:ACCUM_OFFSET: 0
; COMPUTE_PGM_RSRC3_GFX90A:TG_SPLIT: 0
	.section	.text._ZN7rocprim17ROCPRIM_400000_NS6detail17trampoline_kernelINS0_14default_configENS1_27upper_bound_config_selectorItiEEZNS1_14transform_implILb0ES3_S5_N6thrust23THRUST_200600_302600_NS6detail15normal_iteratorINS8_10device_ptrItEEEENSA_INSB_IiEEEEZNS1_13binary_searchIS3_S5_SD_SD_SF_NS1_21upper_bound_search_opENS9_16wrapped_functionINS0_4lessIvEEbEEEE10hipError_tPvRmT1_T2_T3_mmT4_T5_P12ihipStream_tbEUlRKtE_EESM_SQ_SR_mSS_SV_bEUlT_E_NS1_11comp_targetILNS1_3genE0ELNS1_11target_archE4294967295ELNS1_3gpuE0ELNS1_3repE0EEENS1_30default_config_static_selectorELNS0_4arch9wavefront6targetE1EEEvSP_,"axG",@progbits,_ZN7rocprim17ROCPRIM_400000_NS6detail17trampoline_kernelINS0_14default_configENS1_27upper_bound_config_selectorItiEEZNS1_14transform_implILb0ES3_S5_N6thrust23THRUST_200600_302600_NS6detail15normal_iteratorINS8_10device_ptrItEEEENSA_INSB_IiEEEEZNS1_13binary_searchIS3_S5_SD_SD_SF_NS1_21upper_bound_search_opENS9_16wrapped_functionINS0_4lessIvEEbEEEE10hipError_tPvRmT1_T2_T3_mmT4_T5_P12ihipStream_tbEUlRKtE_EESM_SQ_SR_mSS_SV_bEUlT_E_NS1_11comp_targetILNS1_3genE0ELNS1_11target_archE4294967295ELNS1_3gpuE0ELNS1_3repE0EEENS1_30default_config_static_selectorELNS0_4arch9wavefront6targetE1EEEvSP_,comdat
	.protected	_ZN7rocprim17ROCPRIM_400000_NS6detail17trampoline_kernelINS0_14default_configENS1_27upper_bound_config_selectorItiEEZNS1_14transform_implILb0ES3_S5_N6thrust23THRUST_200600_302600_NS6detail15normal_iteratorINS8_10device_ptrItEEEENSA_INSB_IiEEEEZNS1_13binary_searchIS3_S5_SD_SD_SF_NS1_21upper_bound_search_opENS9_16wrapped_functionINS0_4lessIvEEbEEEE10hipError_tPvRmT1_T2_T3_mmT4_T5_P12ihipStream_tbEUlRKtE_EESM_SQ_SR_mSS_SV_bEUlT_E_NS1_11comp_targetILNS1_3genE0ELNS1_11target_archE4294967295ELNS1_3gpuE0ELNS1_3repE0EEENS1_30default_config_static_selectorELNS0_4arch9wavefront6targetE1EEEvSP_ ; -- Begin function _ZN7rocprim17ROCPRIM_400000_NS6detail17trampoline_kernelINS0_14default_configENS1_27upper_bound_config_selectorItiEEZNS1_14transform_implILb0ES3_S5_N6thrust23THRUST_200600_302600_NS6detail15normal_iteratorINS8_10device_ptrItEEEENSA_INSB_IiEEEEZNS1_13binary_searchIS3_S5_SD_SD_SF_NS1_21upper_bound_search_opENS9_16wrapped_functionINS0_4lessIvEEbEEEE10hipError_tPvRmT1_T2_T3_mmT4_T5_P12ihipStream_tbEUlRKtE_EESM_SQ_SR_mSS_SV_bEUlT_E_NS1_11comp_targetILNS1_3genE0ELNS1_11target_archE4294967295ELNS1_3gpuE0ELNS1_3repE0EEENS1_30default_config_static_selectorELNS0_4arch9wavefront6targetE1EEEvSP_
	.globl	_ZN7rocprim17ROCPRIM_400000_NS6detail17trampoline_kernelINS0_14default_configENS1_27upper_bound_config_selectorItiEEZNS1_14transform_implILb0ES3_S5_N6thrust23THRUST_200600_302600_NS6detail15normal_iteratorINS8_10device_ptrItEEEENSA_INSB_IiEEEEZNS1_13binary_searchIS3_S5_SD_SD_SF_NS1_21upper_bound_search_opENS9_16wrapped_functionINS0_4lessIvEEbEEEE10hipError_tPvRmT1_T2_T3_mmT4_T5_P12ihipStream_tbEUlRKtE_EESM_SQ_SR_mSS_SV_bEUlT_E_NS1_11comp_targetILNS1_3genE0ELNS1_11target_archE4294967295ELNS1_3gpuE0ELNS1_3repE0EEENS1_30default_config_static_selectorELNS0_4arch9wavefront6targetE1EEEvSP_
	.p2align	8
	.type	_ZN7rocprim17ROCPRIM_400000_NS6detail17trampoline_kernelINS0_14default_configENS1_27upper_bound_config_selectorItiEEZNS1_14transform_implILb0ES3_S5_N6thrust23THRUST_200600_302600_NS6detail15normal_iteratorINS8_10device_ptrItEEEENSA_INSB_IiEEEEZNS1_13binary_searchIS3_S5_SD_SD_SF_NS1_21upper_bound_search_opENS9_16wrapped_functionINS0_4lessIvEEbEEEE10hipError_tPvRmT1_T2_T3_mmT4_T5_P12ihipStream_tbEUlRKtE_EESM_SQ_SR_mSS_SV_bEUlT_E_NS1_11comp_targetILNS1_3genE0ELNS1_11target_archE4294967295ELNS1_3gpuE0ELNS1_3repE0EEENS1_30default_config_static_selectorELNS0_4arch9wavefront6targetE1EEEvSP_,@function
_ZN7rocprim17ROCPRIM_400000_NS6detail17trampoline_kernelINS0_14default_configENS1_27upper_bound_config_selectorItiEEZNS1_14transform_implILb0ES3_S5_N6thrust23THRUST_200600_302600_NS6detail15normal_iteratorINS8_10device_ptrItEEEENSA_INSB_IiEEEEZNS1_13binary_searchIS3_S5_SD_SD_SF_NS1_21upper_bound_search_opENS9_16wrapped_functionINS0_4lessIvEEbEEEE10hipError_tPvRmT1_T2_T3_mmT4_T5_P12ihipStream_tbEUlRKtE_EESM_SQ_SR_mSS_SV_bEUlT_E_NS1_11comp_targetILNS1_3genE0ELNS1_11target_archE4294967295ELNS1_3gpuE0ELNS1_3repE0EEENS1_30default_config_static_selectorELNS0_4arch9wavefront6targetE1EEEvSP_: ; @_ZN7rocprim17ROCPRIM_400000_NS6detail17trampoline_kernelINS0_14default_configENS1_27upper_bound_config_selectorItiEEZNS1_14transform_implILb0ES3_S5_N6thrust23THRUST_200600_302600_NS6detail15normal_iteratorINS8_10device_ptrItEEEENSA_INSB_IiEEEEZNS1_13binary_searchIS3_S5_SD_SD_SF_NS1_21upper_bound_search_opENS9_16wrapped_functionINS0_4lessIvEEbEEEE10hipError_tPvRmT1_T2_T3_mmT4_T5_P12ihipStream_tbEUlRKtE_EESM_SQ_SR_mSS_SV_bEUlT_E_NS1_11comp_targetILNS1_3genE0ELNS1_11target_archE4294967295ELNS1_3gpuE0ELNS1_3repE0EEENS1_30default_config_static_selectorELNS0_4arch9wavefront6targetE1EEEvSP_
; %bb.0:
	.section	.rodata,"a",@progbits
	.p2align	6, 0x0
	.amdhsa_kernel _ZN7rocprim17ROCPRIM_400000_NS6detail17trampoline_kernelINS0_14default_configENS1_27upper_bound_config_selectorItiEEZNS1_14transform_implILb0ES3_S5_N6thrust23THRUST_200600_302600_NS6detail15normal_iteratorINS8_10device_ptrItEEEENSA_INSB_IiEEEEZNS1_13binary_searchIS3_S5_SD_SD_SF_NS1_21upper_bound_search_opENS9_16wrapped_functionINS0_4lessIvEEbEEEE10hipError_tPvRmT1_T2_T3_mmT4_T5_P12ihipStream_tbEUlRKtE_EESM_SQ_SR_mSS_SV_bEUlT_E_NS1_11comp_targetILNS1_3genE0ELNS1_11target_archE4294967295ELNS1_3gpuE0ELNS1_3repE0EEENS1_30default_config_static_selectorELNS0_4arch9wavefront6targetE1EEEvSP_
		.amdhsa_group_segment_fixed_size 0
		.amdhsa_private_segment_fixed_size 0
		.amdhsa_kernarg_size 56
		.amdhsa_user_sgpr_count 6
		.amdhsa_user_sgpr_private_segment_buffer 1
		.amdhsa_user_sgpr_dispatch_ptr 0
		.amdhsa_user_sgpr_queue_ptr 0
		.amdhsa_user_sgpr_kernarg_segment_ptr 1
		.amdhsa_user_sgpr_dispatch_id 0
		.amdhsa_user_sgpr_flat_scratch_init 0
		.amdhsa_user_sgpr_kernarg_preload_length 0
		.amdhsa_user_sgpr_kernarg_preload_offset 0
		.amdhsa_user_sgpr_private_segment_size 0
		.amdhsa_uses_dynamic_stack 0
		.amdhsa_system_sgpr_private_segment_wavefront_offset 0
		.amdhsa_system_sgpr_workgroup_id_x 1
		.amdhsa_system_sgpr_workgroup_id_y 0
		.amdhsa_system_sgpr_workgroup_id_z 0
		.amdhsa_system_sgpr_workgroup_info 0
		.amdhsa_system_vgpr_workitem_id 0
		.amdhsa_next_free_vgpr 1
		.amdhsa_next_free_sgpr 0
		.amdhsa_accum_offset 4
		.amdhsa_reserve_vcc 0
		.amdhsa_reserve_flat_scratch 0
		.amdhsa_float_round_mode_32 0
		.amdhsa_float_round_mode_16_64 0
		.amdhsa_float_denorm_mode_32 3
		.amdhsa_float_denorm_mode_16_64 3
		.amdhsa_dx10_clamp 1
		.amdhsa_ieee_mode 1
		.amdhsa_fp16_overflow 0
		.amdhsa_tg_split 0
		.amdhsa_exception_fp_ieee_invalid_op 0
		.amdhsa_exception_fp_denorm_src 0
		.amdhsa_exception_fp_ieee_div_zero 0
		.amdhsa_exception_fp_ieee_overflow 0
		.amdhsa_exception_fp_ieee_underflow 0
		.amdhsa_exception_fp_ieee_inexact 0
		.amdhsa_exception_int_div_zero 0
	.end_amdhsa_kernel
	.section	.text._ZN7rocprim17ROCPRIM_400000_NS6detail17trampoline_kernelINS0_14default_configENS1_27upper_bound_config_selectorItiEEZNS1_14transform_implILb0ES3_S5_N6thrust23THRUST_200600_302600_NS6detail15normal_iteratorINS8_10device_ptrItEEEENSA_INSB_IiEEEEZNS1_13binary_searchIS3_S5_SD_SD_SF_NS1_21upper_bound_search_opENS9_16wrapped_functionINS0_4lessIvEEbEEEE10hipError_tPvRmT1_T2_T3_mmT4_T5_P12ihipStream_tbEUlRKtE_EESM_SQ_SR_mSS_SV_bEUlT_E_NS1_11comp_targetILNS1_3genE0ELNS1_11target_archE4294967295ELNS1_3gpuE0ELNS1_3repE0EEENS1_30default_config_static_selectorELNS0_4arch9wavefront6targetE1EEEvSP_,"axG",@progbits,_ZN7rocprim17ROCPRIM_400000_NS6detail17trampoline_kernelINS0_14default_configENS1_27upper_bound_config_selectorItiEEZNS1_14transform_implILb0ES3_S5_N6thrust23THRUST_200600_302600_NS6detail15normal_iteratorINS8_10device_ptrItEEEENSA_INSB_IiEEEEZNS1_13binary_searchIS3_S5_SD_SD_SF_NS1_21upper_bound_search_opENS9_16wrapped_functionINS0_4lessIvEEbEEEE10hipError_tPvRmT1_T2_T3_mmT4_T5_P12ihipStream_tbEUlRKtE_EESM_SQ_SR_mSS_SV_bEUlT_E_NS1_11comp_targetILNS1_3genE0ELNS1_11target_archE4294967295ELNS1_3gpuE0ELNS1_3repE0EEENS1_30default_config_static_selectorELNS0_4arch9wavefront6targetE1EEEvSP_,comdat
.Lfunc_end366:
	.size	_ZN7rocprim17ROCPRIM_400000_NS6detail17trampoline_kernelINS0_14default_configENS1_27upper_bound_config_selectorItiEEZNS1_14transform_implILb0ES3_S5_N6thrust23THRUST_200600_302600_NS6detail15normal_iteratorINS8_10device_ptrItEEEENSA_INSB_IiEEEEZNS1_13binary_searchIS3_S5_SD_SD_SF_NS1_21upper_bound_search_opENS9_16wrapped_functionINS0_4lessIvEEbEEEE10hipError_tPvRmT1_T2_T3_mmT4_T5_P12ihipStream_tbEUlRKtE_EESM_SQ_SR_mSS_SV_bEUlT_E_NS1_11comp_targetILNS1_3genE0ELNS1_11target_archE4294967295ELNS1_3gpuE0ELNS1_3repE0EEENS1_30default_config_static_selectorELNS0_4arch9wavefront6targetE1EEEvSP_, .Lfunc_end366-_ZN7rocprim17ROCPRIM_400000_NS6detail17trampoline_kernelINS0_14default_configENS1_27upper_bound_config_selectorItiEEZNS1_14transform_implILb0ES3_S5_N6thrust23THRUST_200600_302600_NS6detail15normal_iteratorINS8_10device_ptrItEEEENSA_INSB_IiEEEEZNS1_13binary_searchIS3_S5_SD_SD_SF_NS1_21upper_bound_search_opENS9_16wrapped_functionINS0_4lessIvEEbEEEE10hipError_tPvRmT1_T2_T3_mmT4_T5_P12ihipStream_tbEUlRKtE_EESM_SQ_SR_mSS_SV_bEUlT_E_NS1_11comp_targetILNS1_3genE0ELNS1_11target_archE4294967295ELNS1_3gpuE0ELNS1_3repE0EEENS1_30default_config_static_selectorELNS0_4arch9wavefront6targetE1EEEvSP_
                                        ; -- End function
	.section	.AMDGPU.csdata,"",@progbits
; Kernel info:
; codeLenInByte = 0
; NumSgprs: 4
; NumVgprs: 0
; NumAgprs: 0
; TotalNumVgprs: 0
; ScratchSize: 0
; MemoryBound: 0
; FloatMode: 240
; IeeeMode: 1
; LDSByteSize: 0 bytes/workgroup (compile time only)
; SGPRBlocks: 0
; VGPRBlocks: 0
; NumSGPRsForWavesPerEU: 4
; NumVGPRsForWavesPerEU: 1
; AccumOffset: 4
; Occupancy: 8
; WaveLimiterHint : 0
; COMPUTE_PGM_RSRC2:SCRATCH_EN: 0
; COMPUTE_PGM_RSRC2:USER_SGPR: 6
; COMPUTE_PGM_RSRC2:TRAP_HANDLER: 0
; COMPUTE_PGM_RSRC2:TGID_X_EN: 1
; COMPUTE_PGM_RSRC2:TGID_Y_EN: 0
; COMPUTE_PGM_RSRC2:TGID_Z_EN: 0
; COMPUTE_PGM_RSRC2:TIDIG_COMP_CNT: 0
; COMPUTE_PGM_RSRC3_GFX90A:ACCUM_OFFSET: 0
; COMPUTE_PGM_RSRC3_GFX90A:TG_SPLIT: 0
	.section	.text._ZN7rocprim17ROCPRIM_400000_NS6detail17trampoline_kernelINS0_14default_configENS1_27upper_bound_config_selectorItiEEZNS1_14transform_implILb0ES3_S5_N6thrust23THRUST_200600_302600_NS6detail15normal_iteratorINS8_10device_ptrItEEEENSA_INSB_IiEEEEZNS1_13binary_searchIS3_S5_SD_SD_SF_NS1_21upper_bound_search_opENS9_16wrapped_functionINS0_4lessIvEEbEEEE10hipError_tPvRmT1_T2_T3_mmT4_T5_P12ihipStream_tbEUlRKtE_EESM_SQ_SR_mSS_SV_bEUlT_E_NS1_11comp_targetILNS1_3genE5ELNS1_11target_archE942ELNS1_3gpuE9ELNS1_3repE0EEENS1_30default_config_static_selectorELNS0_4arch9wavefront6targetE1EEEvSP_,"axG",@progbits,_ZN7rocprim17ROCPRIM_400000_NS6detail17trampoline_kernelINS0_14default_configENS1_27upper_bound_config_selectorItiEEZNS1_14transform_implILb0ES3_S5_N6thrust23THRUST_200600_302600_NS6detail15normal_iteratorINS8_10device_ptrItEEEENSA_INSB_IiEEEEZNS1_13binary_searchIS3_S5_SD_SD_SF_NS1_21upper_bound_search_opENS9_16wrapped_functionINS0_4lessIvEEbEEEE10hipError_tPvRmT1_T2_T3_mmT4_T5_P12ihipStream_tbEUlRKtE_EESM_SQ_SR_mSS_SV_bEUlT_E_NS1_11comp_targetILNS1_3genE5ELNS1_11target_archE942ELNS1_3gpuE9ELNS1_3repE0EEENS1_30default_config_static_selectorELNS0_4arch9wavefront6targetE1EEEvSP_,comdat
	.protected	_ZN7rocprim17ROCPRIM_400000_NS6detail17trampoline_kernelINS0_14default_configENS1_27upper_bound_config_selectorItiEEZNS1_14transform_implILb0ES3_S5_N6thrust23THRUST_200600_302600_NS6detail15normal_iteratorINS8_10device_ptrItEEEENSA_INSB_IiEEEEZNS1_13binary_searchIS3_S5_SD_SD_SF_NS1_21upper_bound_search_opENS9_16wrapped_functionINS0_4lessIvEEbEEEE10hipError_tPvRmT1_T2_T3_mmT4_T5_P12ihipStream_tbEUlRKtE_EESM_SQ_SR_mSS_SV_bEUlT_E_NS1_11comp_targetILNS1_3genE5ELNS1_11target_archE942ELNS1_3gpuE9ELNS1_3repE0EEENS1_30default_config_static_selectorELNS0_4arch9wavefront6targetE1EEEvSP_ ; -- Begin function _ZN7rocprim17ROCPRIM_400000_NS6detail17trampoline_kernelINS0_14default_configENS1_27upper_bound_config_selectorItiEEZNS1_14transform_implILb0ES3_S5_N6thrust23THRUST_200600_302600_NS6detail15normal_iteratorINS8_10device_ptrItEEEENSA_INSB_IiEEEEZNS1_13binary_searchIS3_S5_SD_SD_SF_NS1_21upper_bound_search_opENS9_16wrapped_functionINS0_4lessIvEEbEEEE10hipError_tPvRmT1_T2_T3_mmT4_T5_P12ihipStream_tbEUlRKtE_EESM_SQ_SR_mSS_SV_bEUlT_E_NS1_11comp_targetILNS1_3genE5ELNS1_11target_archE942ELNS1_3gpuE9ELNS1_3repE0EEENS1_30default_config_static_selectorELNS0_4arch9wavefront6targetE1EEEvSP_
	.globl	_ZN7rocprim17ROCPRIM_400000_NS6detail17trampoline_kernelINS0_14default_configENS1_27upper_bound_config_selectorItiEEZNS1_14transform_implILb0ES3_S5_N6thrust23THRUST_200600_302600_NS6detail15normal_iteratorINS8_10device_ptrItEEEENSA_INSB_IiEEEEZNS1_13binary_searchIS3_S5_SD_SD_SF_NS1_21upper_bound_search_opENS9_16wrapped_functionINS0_4lessIvEEbEEEE10hipError_tPvRmT1_T2_T3_mmT4_T5_P12ihipStream_tbEUlRKtE_EESM_SQ_SR_mSS_SV_bEUlT_E_NS1_11comp_targetILNS1_3genE5ELNS1_11target_archE942ELNS1_3gpuE9ELNS1_3repE0EEENS1_30default_config_static_selectorELNS0_4arch9wavefront6targetE1EEEvSP_
	.p2align	8
	.type	_ZN7rocprim17ROCPRIM_400000_NS6detail17trampoline_kernelINS0_14default_configENS1_27upper_bound_config_selectorItiEEZNS1_14transform_implILb0ES3_S5_N6thrust23THRUST_200600_302600_NS6detail15normal_iteratorINS8_10device_ptrItEEEENSA_INSB_IiEEEEZNS1_13binary_searchIS3_S5_SD_SD_SF_NS1_21upper_bound_search_opENS9_16wrapped_functionINS0_4lessIvEEbEEEE10hipError_tPvRmT1_T2_T3_mmT4_T5_P12ihipStream_tbEUlRKtE_EESM_SQ_SR_mSS_SV_bEUlT_E_NS1_11comp_targetILNS1_3genE5ELNS1_11target_archE942ELNS1_3gpuE9ELNS1_3repE0EEENS1_30default_config_static_selectorELNS0_4arch9wavefront6targetE1EEEvSP_,@function
_ZN7rocprim17ROCPRIM_400000_NS6detail17trampoline_kernelINS0_14default_configENS1_27upper_bound_config_selectorItiEEZNS1_14transform_implILb0ES3_S5_N6thrust23THRUST_200600_302600_NS6detail15normal_iteratorINS8_10device_ptrItEEEENSA_INSB_IiEEEEZNS1_13binary_searchIS3_S5_SD_SD_SF_NS1_21upper_bound_search_opENS9_16wrapped_functionINS0_4lessIvEEbEEEE10hipError_tPvRmT1_T2_T3_mmT4_T5_P12ihipStream_tbEUlRKtE_EESM_SQ_SR_mSS_SV_bEUlT_E_NS1_11comp_targetILNS1_3genE5ELNS1_11target_archE942ELNS1_3gpuE9ELNS1_3repE0EEENS1_30default_config_static_selectorELNS0_4arch9wavefront6targetE1EEEvSP_: ; @_ZN7rocprim17ROCPRIM_400000_NS6detail17trampoline_kernelINS0_14default_configENS1_27upper_bound_config_selectorItiEEZNS1_14transform_implILb0ES3_S5_N6thrust23THRUST_200600_302600_NS6detail15normal_iteratorINS8_10device_ptrItEEEENSA_INSB_IiEEEEZNS1_13binary_searchIS3_S5_SD_SD_SF_NS1_21upper_bound_search_opENS9_16wrapped_functionINS0_4lessIvEEbEEEE10hipError_tPvRmT1_T2_T3_mmT4_T5_P12ihipStream_tbEUlRKtE_EESM_SQ_SR_mSS_SV_bEUlT_E_NS1_11comp_targetILNS1_3genE5ELNS1_11target_archE942ELNS1_3gpuE9ELNS1_3repE0EEENS1_30default_config_static_selectorELNS0_4arch9wavefront6targetE1EEEvSP_
; %bb.0:
	.section	.rodata,"a",@progbits
	.p2align	6, 0x0
	.amdhsa_kernel _ZN7rocprim17ROCPRIM_400000_NS6detail17trampoline_kernelINS0_14default_configENS1_27upper_bound_config_selectorItiEEZNS1_14transform_implILb0ES3_S5_N6thrust23THRUST_200600_302600_NS6detail15normal_iteratorINS8_10device_ptrItEEEENSA_INSB_IiEEEEZNS1_13binary_searchIS3_S5_SD_SD_SF_NS1_21upper_bound_search_opENS9_16wrapped_functionINS0_4lessIvEEbEEEE10hipError_tPvRmT1_T2_T3_mmT4_T5_P12ihipStream_tbEUlRKtE_EESM_SQ_SR_mSS_SV_bEUlT_E_NS1_11comp_targetILNS1_3genE5ELNS1_11target_archE942ELNS1_3gpuE9ELNS1_3repE0EEENS1_30default_config_static_selectorELNS0_4arch9wavefront6targetE1EEEvSP_
		.amdhsa_group_segment_fixed_size 0
		.amdhsa_private_segment_fixed_size 0
		.amdhsa_kernarg_size 56
		.amdhsa_user_sgpr_count 6
		.amdhsa_user_sgpr_private_segment_buffer 1
		.amdhsa_user_sgpr_dispatch_ptr 0
		.amdhsa_user_sgpr_queue_ptr 0
		.amdhsa_user_sgpr_kernarg_segment_ptr 1
		.amdhsa_user_sgpr_dispatch_id 0
		.amdhsa_user_sgpr_flat_scratch_init 0
		.amdhsa_user_sgpr_kernarg_preload_length 0
		.amdhsa_user_sgpr_kernarg_preload_offset 0
		.amdhsa_user_sgpr_private_segment_size 0
		.amdhsa_uses_dynamic_stack 0
		.amdhsa_system_sgpr_private_segment_wavefront_offset 0
		.amdhsa_system_sgpr_workgroup_id_x 1
		.amdhsa_system_sgpr_workgroup_id_y 0
		.amdhsa_system_sgpr_workgroup_id_z 0
		.amdhsa_system_sgpr_workgroup_info 0
		.amdhsa_system_vgpr_workitem_id 0
		.amdhsa_next_free_vgpr 1
		.amdhsa_next_free_sgpr 0
		.amdhsa_accum_offset 4
		.amdhsa_reserve_vcc 0
		.amdhsa_reserve_flat_scratch 0
		.amdhsa_float_round_mode_32 0
		.amdhsa_float_round_mode_16_64 0
		.amdhsa_float_denorm_mode_32 3
		.amdhsa_float_denorm_mode_16_64 3
		.amdhsa_dx10_clamp 1
		.amdhsa_ieee_mode 1
		.amdhsa_fp16_overflow 0
		.amdhsa_tg_split 0
		.amdhsa_exception_fp_ieee_invalid_op 0
		.amdhsa_exception_fp_denorm_src 0
		.amdhsa_exception_fp_ieee_div_zero 0
		.amdhsa_exception_fp_ieee_overflow 0
		.amdhsa_exception_fp_ieee_underflow 0
		.amdhsa_exception_fp_ieee_inexact 0
		.amdhsa_exception_int_div_zero 0
	.end_amdhsa_kernel
	.section	.text._ZN7rocprim17ROCPRIM_400000_NS6detail17trampoline_kernelINS0_14default_configENS1_27upper_bound_config_selectorItiEEZNS1_14transform_implILb0ES3_S5_N6thrust23THRUST_200600_302600_NS6detail15normal_iteratorINS8_10device_ptrItEEEENSA_INSB_IiEEEEZNS1_13binary_searchIS3_S5_SD_SD_SF_NS1_21upper_bound_search_opENS9_16wrapped_functionINS0_4lessIvEEbEEEE10hipError_tPvRmT1_T2_T3_mmT4_T5_P12ihipStream_tbEUlRKtE_EESM_SQ_SR_mSS_SV_bEUlT_E_NS1_11comp_targetILNS1_3genE5ELNS1_11target_archE942ELNS1_3gpuE9ELNS1_3repE0EEENS1_30default_config_static_selectorELNS0_4arch9wavefront6targetE1EEEvSP_,"axG",@progbits,_ZN7rocprim17ROCPRIM_400000_NS6detail17trampoline_kernelINS0_14default_configENS1_27upper_bound_config_selectorItiEEZNS1_14transform_implILb0ES3_S5_N6thrust23THRUST_200600_302600_NS6detail15normal_iteratorINS8_10device_ptrItEEEENSA_INSB_IiEEEEZNS1_13binary_searchIS3_S5_SD_SD_SF_NS1_21upper_bound_search_opENS9_16wrapped_functionINS0_4lessIvEEbEEEE10hipError_tPvRmT1_T2_T3_mmT4_T5_P12ihipStream_tbEUlRKtE_EESM_SQ_SR_mSS_SV_bEUlT_E_NS1_11comp_targetILNS1_3genE5ELNS1_11target_archE942ELNS1_3gpuE9ELNS1_3repE0EEENS1_30default_config_static_selectorELNS0_4arch9wavefront6targetE1EEEvSP_,comdat
.Lfunc_end367:
	.size	_ZN7rocprim17ROCPRIM_400000_NS6detail17trampoline_kernelINS0_14default_configENS1_27upper_bound_config_selectorItiEEZNS1_14transform_implILb0ES3_S5_N6thrust23THRUST_200600_302600_NS6detail15normal_iteratorINS8_10device_ptrItEEEENSA_INSB_IiEEEEZNS1_13binary_searchIS3_S5_SD_SD_SF_NS1_21upper_bound_search_opENS9_16wrapped_functionINS0_4lessIvEEbEEEE10hipError_tPvRmT1_T2_T3_mmT4_T5_P12ihipStream_tbEUlRKtE_EESM_SQ_SR_mSS_SV_bEUlT_E_NS1_11comp_targetILNS1_3genE5ELNS1_11target_archE942ELNS1_3gpuE9ELNS1_3repE0EEENS1_30default_config_static_selectorELNS0_4arch9wavefront6targetE1EEEvSP_, .Lfunc_end367-_ZN7rocprim17ROCPRIM_400000_NS6detail17trampoline_kernelINS0_14default_configENS1_27upper_bound_config_selectorItiEEZNS1_14transform_implILb0ES3_S5_N6thrust23THRUST_200600_302600_NS6detail15normal_iteratorINS8_10device_ptrItEEEENSA_INSB_IiEEEEZNS1_13binary_searchIS3_S5_SD_SD_SF_NS1_21upper_bound_search_opENS9_16wrapped_functionINS0_4lessIvEEbEEEE10hipError_tPvRmT1_T2_T3_mmT4_T5_P12ihipStream_tbEUlRKtE_EESM_SQ_SR_mSS_SV_bEUlT_E_NS1_11comp_targetILNS1_3genE5ELNS1_11target_archE942ELNS1_3gpuE9ELNS1_3repE0EEENS1_30default_config_static_selectorELNS0_4arch9wavefront6targetE1EEEvSP_
                                        ; -- End function
	.section	.AMDGPU.csdata,"",@progbits
; Kernel info:
; codeLenInByte = 0
; NumSgprs: 4
; NumVgprs: 0
; NumAgprs: 0
; TotalNumVgprs: 0
; ScratchSize: 0
; MemoryBound: 0
; FloatMode: 240
; IeeeMode: 1
; LDSByteSize: 0 bytes/workgroup (compile time only)
; SGPRBlocks: 0
; VGPRBlocks: 0
; NumSGPRsForWavesPerEU: 4
; NumVGPRsForWavesPerEU: 1
; AccumOffset: 4
; Occupancy: 8
; WaveLimiterHint : 0
; COMPUTE_PGM_RSRC2:SCRATCH_EN: 0
; COMPUTE_PGM_RSRC2:USER_SGPR: 6
; COMPUTE_PGM_RSRC2:TRAP_HANDLER: 0
; COMPUTE_PGM_RSRC2:TGID_X_EN: 1
; COMPUTE_PGM_RSRC2:TGID_Y_EN: 0
; COMPUTE_PGM_RSRC2:TGID_Z_EN: 0
; COMPUTE_PGM_RSRC2:TIDIG_COMP_CNT: 0
; COMPUTE_PGM_RSRC3_GFX90A:ACCUM_OFFSET: 0
; COMPUTE_PGM_RSRC3_GFX90A:TG_SPLIT: 0
	.section	.text._ZN7rocprim17ROCPRIM_400000_NS6detail17trampoline_kernelINS0_14default_configENS1_27upper_bound_config_selectorItiEEZNS1_14transform_implILb0ES3_S5_N6thrust23THRUST_200600_302600_NS6detail15normal_iteratorINS8_10device_ptrItEEEENSA_INSB_IiEEEEZNS1_13binary_searchIS3_S5_SD_SD_SF_NS1_21upper_bound_search_opENS9_16wrapped_functionINS0_4lessIvEEbEEEE10hipError_tPvRmT1_T2_T3_mmT4_T5_P12ihipStream_tbEUlRKtE_EESM_SQ_SR_mSS_SV_bEUlT_E_NS1_11comp_targetILNS1_3genE4ELNS1_11target_archE910ELNS1_3gpuE8ELNS1_3repE0EEENS1_30default_config_static_selectorELNS0_4arch9wavefront6targetE1EEEvSP_,"axG",@progbits,_ZN7rocprim17ROCPRIM_400000_NS6detail17trampoline_kernelINS0_14default_configENS1_27upper_bound_config_selectorItiEEZNS1_14transform_implILb0ES3_S5_N6thrust23THRUST_200600_302600_NS6detail15normal_iteratorINS8_10device_ptrItEEEENSA_INSB_IiEEEEZNS1_13binary_searchIS3_S5_SD_SD_SF_NS1_21upper_bound_search_opENS9_16wrapped_functionINS0_4lessIvEEbEEEE10hipError_tPvRmT1_T2_T3_mmT4_T5_P12ihipStream_tbEUlRKtE_EESM_SQ_SR_mSS_SV_bEUlT_E_NS1_11comp_targetILNS1_3genE4ELNS1_11target_archE910ELNS1_3gpuE8ELNS1_3repE0EEENS1_30default_config_static_selectorELNS0_4arch9wavefront6targetE1EEEvSP_,comdat
	.protected	_ZN7rocprim17ROCPRIM_400000_NS6detail17trampoline_kernelINS0_14default_configENS1_27upper_bound_config_selectorItiEEZNS1_14transform_implILb0ES3_S5_N6thrust23THRUST_200600_302600_NS6detail15normal_iteratorINS8_10device_ptrItEEEENSA_INSB_IiEEEEZNS1_13binary_searchIS3_S5_SD_SD_SF_NS1_21upper_bound_search_opENS9_16wrapped_functionINS0_4lessIvEEbEEEE10hipError_tPvRmT1_T2_T3_mmT4_T5_P12ihipStream_tbEUlRKtE_EESM_SQ_SR_mSS_SV_bEUlT_E_NS1_11comp_targetILNS1_3genE4ELNS1_11target_archE910ELNS1_3gpuE8ELNS1_3repE0EEENS1_30default_config_static_selectorELNS0_4arch9wavefront6targetE1EEEvSP_ ; -- Begin function _ZN7rocprim17ROCPRIM_400000_NS6detail17trampoline_kernelINS0_14default_configENS1_27upper_bound_config_selectorItiEEZNS1_14transform_implILb0ES3_S5_N6thrust23THRUST_200600_302600_NS6detail15normal_iteratorINS8_10device_ptrItEEEENSA_INSB_IiEEEEZNS1_13binary_searchIS3_S5_SD_SD_SF_NS1_21upper_bound_search_opENS9_16wrapped_functionINS0_4lessIvEEbEEEE10hipError_tPvRmT1_T2_T3_mmT4_T5_P12ihipStream_tbEUlRKtE_EESM_SQ_SR_mSS_SV_bEUlT_E_NS1_11comp_targetILNS1_3genE4ELNS1_11target_archE910ELNS1_3gpuE8ELNS1_3repE0EEENS1_30default_config_static_selectorELNS0_4arch9wavefront6targetE1EEEvSP_
	.globl	_ZN7rocprim17ROCPRIM_400000_NS6detail17trampoline_kernelINS0_14default_configENS1_27upper_bound_config_selectorItiEEZNS1_14transform_implILb0ES3_S5_N6thrust23THRUST_200600_302600_NS6detail15normal_iteratorINS8_10device_ptrItEEEENSA_INSB_IiEEEEZNS1_13binary_searchIS3_S5_SD_SD_SF_NS1_21upper_bound_search_opENS9_16wrapped_functionINS0_4lessIvEEbEEEE10hipError_tPvRmT1_T2_T3_mmT4_T5_P12ihipStream_tbEUlRKtE_EESM_SQ_SR_mSS_SV_bEUlT_E_NS1_11comp_targetILNS1_3genE4ELNS1_11target_archE910ELNS1_3gpuE8ELNS1_3repE0EEENS1_30default_config_static_selectorELNS0_4arch9wavefront6targetE1EEEvSP_
	.p2align	8
	.type	_ZN7rocprim17ROCPRIM_400000_NS6detail17trampoline_kernelINS0_14default_configENS1_27upper_bound_config_selectorItiEEZNS1_14transform_implILb0ES3_S5_N6thrust23THRUST_200600_302600_NS6detail15normal_iteratorINS8_10device_ptrItEEEENSA_INSB_IiEEEEZNS1_13binary_searchIS3_S5_SD_SD_SF_NS1_21upper_bound_search_opENS9_16wrapped_functionINS0_4lessIvEEbEEEE10hipError_tPvRmT1_T2_T3_mmT4_T5_P12ihipStream_tbEUlRKtE_EESM_SQ_SR_mSS_SV_bEUlT_E_NS1_11comp_targetILNS1_3genE4ELNS1_11target_archE910ELNS1_3gpuE8ELNS1_3repE0EEENS1_30default_config_static_selectorELNS0_4arch9wavefront6targetE1EEEvSP_,@function
_ZN7rocprim17ROCPRIM_400000_NS6detail17trampoline_kernelINS0_14default_configENS1_27upper_bound_config_selectorItiEEZNS1_14transform_implILb0ES3_S5_N6thrust23THRUST_200600_302600_NS6detail15normal_iteratorINS8_10device_ptrItEEEENSA_INSB_IiEEEEZNS1_13binary_searchIS3_S5_SD_SD_SF_NS1_21upper_bound_search_opENS9_16wrapped_functionINS0_4lessIvEEbEEEE10hipError_tPvRmT1_T2_T3_mmT4_T5_P12ihipStream_tbEUlRKtE_EESM_SQ_SR_mSS_SV_bEUlT_E_NS1_11comp_targetILNS1_3genE4ELNS1_11target_archE910ELNS1_3gpuE8ELNS1_3repE0EEENS1_30default_config_static_selectorELNS0_4arch9wavefront6targetE1EEEvSP_: ; @_ZN7rocprim17ROCPRIM_400000_NS6detail17trampoline_kernelINS0_14default_configENS1_27upper_bound_config_selectorItiEEZNS1_14transform_implILb0ES3_S5_N6thrust23THRUST_200600_302600_NS6detail15normal_iteratorINS8_10device_ptrItEEEENSA_INSB_IiEEEEZNS1_13binary_searchIS3_S5_SD_SD_SF_NS1_21upper_bound_search_opENS9_16wrapped_functionINS0_4lessIvEEbEEEE10hipError_tPvRmT1_T2_T3_mmT4_T5_P12ihipStream_tbEUlRKtE_EESM_SQ_SR_mSS_SV_bEUlT_E_NS1_11comp_targetILNS1_3genE4ELNS1_11target_archE910ELNS1_3gpuE8ELNS1_3repE0EEENS1_30default_config_static_selectorELNS0_4arch9wavefront6targetE1EEEvSP_
; %bb.0:
	s_load_dwordx4 s[16:19], s[4:5], 0x0
	s_load_dwordx4 s[0:3], s[4:5], 0x18
	s_load_dwordx2 s[10:11], s[4:5], 0x28
	s_load_dword s15, s[4:5], 0x38
	s_waitcnt lgkmcnt(0)
	s_lshl_b64 s[8:9], s[18:19], 1
	s_add_u32 s7, s16, s8
	s_addc_u32 s14, s17, s9
	s_lshl_b64 s[8:9], s[18:19], 2
	s_add_u32 s12, s0, s8
	s_addc_u32 s13, s1, s9
	s_lshl_b32 s8, s6, 8
	s_add_i32 s15, s15, -1
	s_mov_b32 s9, 0
	s_cmp_lg_u32 s6, s15
	s_mov_b64 s[0:1], -1
	s_cbranch_scc0 .LBB368_6
; %bb.1:
	v_mov_b32_e32 v2, 0
	s_cmp_eq_u64 s[10:11], 0
	s_mov_b64 s[0:1], 0
	s_cbranch_scc1 .LBB368_5
; %bb.2:
	s_lshl_b64 s[16:17], s[8:9], 1
	s_add_u32 s6, s7, s16
	s_addc_u32 s15, s14, s17
	v_lshlrev_b32_e32 v1, 1, v0
	v_mov_b32_e32 v3, s15
	v_add_co_u32_e32 v2, vcc, s6, v1
	v_addc_co_u32_e32 v3, vcc, 0, v3, vcc
	flat_load_ushort v1, v[2:3]
	v_pk_mov_b32 v[2:3], 0, 0
	v_pk_mov_b32 v[4:5], s[10:11], s[10:11] op_sel:[0,1]
	v_mov_b32_e32 v6, s3
.LBB368_3:                              ; =>This Inner Loop Header: Depth=1
	v_sub_co_u32_e32 v8, vcc, v4, v2
	v_subb_co_u32_e32 v9, vcc, v5, v3, vcc
	v_lshrrev_b64 v[10:11], 1, v[8:9]
	v_add_co_u32_e32 v7, vcc, v10, v2
	v_lshrrev_b64 v[8:9], 6, v[8:9]
	v_addc_co_u32_e32 v10, vcc, v11, v3, vcc
	v_add_co_u32_e32 v8, vcc, v7, v8
	v_addc_co_u32_e32 v9, vcc, v10, v9, vcc
	v_lshlrev_b64 v[10:11], 1, v[8:9]
	v_add_co_u32_e32 v10, vcc, s2, v10
	v_addc_co_u32_e32 v11, vcc, v6, v11, vcc
	global_load_ushort v7, v[10:11], off
	v_add_co_u32_e32 v10, vcc, 1, v8
	v_addc_co_u32_e32 v11, vcc, 0, v9, vcc
	s_waitcnt vmcnt(0) lgkmcnt(0)
	v_cmp_gt_u16_e32 vcc, v7, v1
	v_cndmask_b32_e32 v5, v5, v9, vcc
	v_cndmask_b32_e32 v4, v4, v8, vcc
	;; [unrolled: 1-line block ×4, first 2 shown]
	v_cmp_ge_u64_e32 vcc, v[2:3], v[4:5]
	s_or_b64 s[0:1], vcc, s[0:1]
	s_andn2_b64 exec, exec, s[0:1]
	s_cbranch_execnz .LBB368_3
; %bb.4:
	s_or_b64 exec, exec, s[0:1]
.LBB368_5:
	s_lshl_b64 s[0:1], s[8:9], 2
	s_add_u32 s0, s12, s0
	s_addc_u32 s1, s13, s1
	v_lshlrev_b32_e32 v1, 2, v0
	v_mov_b32_e32 v3, s1
	v_add_co_u32_e32 v4, vcc, s0, v1
	v_addc_co_u32_e32 v5, vcc, 0, v3, vcc
	s_mov_b64 s[0:1], 0
	flat_store_dword v[4:5], v2
.LBB368_6:
	s_and_b64 vcc, exec, s[0:1]
	s_cbranch_vccz .LBB368_11
; %bb.7:
	s_load_dword s0, s[4:5], 0x10
                                        ; implicit-def: $vgpr1
	s_waitcnt lgkmcnt(0)
	s_sub_i32 s0, s0, s8
	v_cmp_gt_u32_e32 vcc, s0, v0
	s_and_saveexec_b64 s[4:5], vcc
	s_cbranch_execnz .LBB368_12
; %bb.8:
	s_or_b64 exec, exec, s[4:5]
                                        ; implicit-def: $vgpr2
	s_and_saveexec_b64 s[4:5], vcc
	s_cbranch_execnz .LBB368_13
.LBB368_9:
	s_or_b64 exec, exec, s[4:5]
	s_and_saveexec_b64 s[0:1], vcc
	s_cbranch_execz .LBB368_11
.LBB368_10:
	s_lshl_b64 s[0:1], s[8:9], 2
	s_add_u32 s0, s12, s0
	s_addc_u32 s1, s13, s1
	v_lshlrev_b32_e32 v0, 2, v0
	s_waitcnt vmcnt(0) lgkmcnt(0)
	v_mov_b32_e32 v1, s1
	v_add_co_u32_e32 v0, vcc, s0, v0
	v_addc_co_u32_e32 v1, vcc, 0, v1, vcc
	flat_store_dword v[0:1], v2
.LBB368_11:
	s_endpgm
.LBB368_12:
	s_lshl_b64 s[0:1], s[8:9], 1
	s_add_u32 s0, s7, s0
	s_addc_u32 s1, s14, s1
	v_lshlrev_b32_e32 v1, 1, v0
	v_mov_b32_e32 v3, s1
	v_add_co_u32_e64 v2, s[0:1], s0, v1
	v_addc_co_u32_e64 v3, s[0:1], 0, v3, s[0:1]
	flat_load_ushort v1, v[2:3]
	s_or_b64 exec, exec, s[4:5]
                                        ; implicit-def: $vgpr2
	s_and_saveexec_b64 s[4:5], vcc
	s_cbranch_execz .LBB368_9
.LBB368_13:
	s_cmp_eq_u64 s[10:11], 0
	s_mov_b64 s[6:7], 0
	s_cbranch_scc1 .LBB368_17
; %bb.14:
	v_pk_mov_b32 v[2:3], 0, 0
	v_pk_mov_b32 v[4:5], s[10:11], s[10:11] op_sel:[0,1]
	v_mov_b32_e32 v6, s3
.LBB368_15:                             ; =>This Inner Loop Header: Depth=1
	v_sub_co_u32_e64 v8, s[0:1], v4, v2
	v_subb_co_u32_e64 v9, s[0:1], v5, v3, s[0:1]
	v_lshrrev_b64 v[10:11], 1, v[8:9]
	v_add_co_u32_e64 v7, s[0:1], v10, v2
	v_lshrrev_b64 v[8:9], 6, v[8:9]
	v_addc_co_u32_e64 v10, s[0:1], v11, v3, s[0:1]
	v_add_co_u32_e64 v8, s[0:1], v7, v8
	v_addc_co_u32_e64 v9, s[0:1], v10, v9, s[0:1]
	v_lshlrev_b64 v[10:11], 1, v[8:9]
	v_add_co_u32_e64 v10, s[0:1], s2, v10
	v_addc_co_u32_e64 v11, s[0:1], v6, v11, s[0:1]
	global_load_ushort v7, v[10:11], off
	v_add_co_u32_e64 v10, s[0:1], 1, v8
	v_addc_co_u32_e64 v11, s[0:1], 0, v9, s[0:1]
	s_waitcnt vmcnt(0) lgkmcnt(0)
	v_cmp_gt_u16_e64 s[0:1], v7, v1
	v_cndmask_b32_e64 v5, v5, v9, s[0:1]
	v_cndmask_b32_e64 v4, v4, v8, s[0:1]
	;; [unrolled: 1-line block ×4, first 2 shown]
	v_cmp_ge_u64_e64 s[0:1], v[2:3], v[4:5]
	s_or_b64 s[6:7], s[0:1], s[6:7]
	s_andn2_b64 exec, exec, s[6:7]
	s_cbranch_execnz .LBB368_15
; %bb.16:
	s_or_b64 exec, exec, s[6:7]
	s_or_b64 exec, exec, s[4:5]
	s_and_saveexec_b64 s[0:1], vcc
	s_cbranch_execnz .LBB368_10
	s_branch .LBB368_11
.LBB368_17:
	v_mov_b32_e32 v2, 0
	s_or_b64 exec, exec, s[4:5]
	s_and_saveexec_b64 s[0:1], vcc
	s_cbranch_execnz .LBB368_10
	s_branch .LBB368_11
	.section	.rodata,"a",@progbits
	.p2align	6, 0x0
	.amdhsa_kernel _ZN7rocprim17ROCPRIM_400000_NS6detail17trampoline_kernelINS0_14default_configENS1_27upper_bound_config_selectorItiEEZNS1_14transform_implILb0ES3_S5_N6thrust23THRUST_200600_302600_NS6detail15normal_iteratorINS8_10device_ptrItEEEENSA_INSB_IiEEEEZNS1_13binary_searchIS3_S5_SD_SD_SF_NS1_21upper_bound_search_opENS9_16wrapped_functionINS0_4lessIvEEbEEEE10hipError_tPvRmT1_T2_T3_mmT4_T5_P12ihipStream_tbEUlRKtE_EESM_SQ_SR_mSS_SV_bEUlT_E_NS1_11comp_targetILNS1_3genE4ELNS1_11target_archE910ELNS1_3gpuE8ELNS1_3repE0EEENS1_30default_config_static_selectorELNS0_4arch9wavefront6targetE1EEEvSP_
		.amdhsa_group_segment_fixed_size 0
		.amdhsa_private_segment_fixed_size 0
		.amdhsa_kernarg_size 312
		.amdhsa_user_sgpr_count 6
		.amdhsa_user_sgpr_private_segment_buffer 1
		.amdhsa_user_sgpr_dispatch_ptr 0
		.amdhsa_user_sgpr_queue_ptr 0
		.amdhsa_user_sgpr_kernarg_segment_ptr 1
		.amdhsa_user_sgpr_dispatch_id 0
		.amdhsa_user_sgpr_flat_scratch_init 0
		.amdhsa_user_sgpr_kernarg_preload_length 0
		.amdhsa_user_sgpr_kernarg_preload_offset 0
		.amdhsa_user_sgpr_private_segment_size 0
		.amdhsa_uses_dynamic_stack 0
		.amdhsa_system_sgpr_private_segment_wavefront_offset 0
		.amdhsa_system_sgpr_workgroup_id_x 1
		.amdhsa_system_sgpr_workgroup_id_y 0
		.amdhsa_system_sgpr_workgroup_id_z 0
		.amdhsa_system_sgpr_workgroup_info 0
		.amdhsa_system_vgpr_workitem_id 0
		.amdhsa_next_free_vgpr 12
		.amdhsa_next_free_sgpr 20
		.amdhsa_accum_offset 12
		.amdhsa_reserve_vcc 1
		.amdhsa_reserve_flat_scratch 0
		.amdhsa_float_round_mode_32 0
		.amdhsa_float_round_mode_16_64 0
		.amdhsa_float_denorm_mode_32 3
		.amdhsa_float_denorm_mode_16_64 3
		.amdhsa_dx10_clamp 1
		.amdhsa_ieee_mode 1
		.amdhsa_fp16_overflow 0
		.amdhsa_tg_split 0
		.amdhsa_exception_fp_ieee_invalid_op 0
		.amdhsa_exception_fp_denorm_src 0
		.amdhsa_exception_fp_ieee_div_zero 0
		.amdhsa_exception_fp_ieee_overflow 0
		.amdhsa_exception_fp_ieee_underflow 0
		.amdhsa_exception_fp_ieee_inexact 0
		.amdhsa_exception_int_div_zero 0
	.end_amdhsa_kernel
	.section	.text._ZN7rocprim17ROCPRIM_400000_NS6detail17trampoline_kernelINS0_14default_configENS1_27upper_bound_config_selectorItiEEZNS1_14transform_implILb0ES3_S5_N6thrust23THRUST_200600_302600_NS6detail15normal_iteratorINS8_10device_ptrItEEEENSA_INSB_IiEEEEZNS1_13binary_searchIS3_S5_SD_SD_SF_NS1_21upper_bound_search_opENS9_16wrapped_functionINS0_4lessIvEEbEEEE10hipError_tPvRmT1_T2_T3_mmT4_T5_P12ihipStream_tbEUlRKtE_EESM_SQ_SR_mSS_SV_bEUlT_E_NS1_11comp_targetILNS1_3genE4ELNS1_11target_archE910ELNS1_3gpuE8ELNS1_3repE0EEENS1_30default_config_static_selectorELNS0_4arch9wavefront6targetE1EEEvSP_,"axG",@progbits,_ZN7rocprim17ROCPRIM_400000_NS6detail17trampoline_kernelINS0_14default_configENS1_27upper_bound_config_selectorItiEEZNS1_14transform_implILb0ES3_S5_N6thrust23THRUST_200600_302600_NS6detail15normal_iteratorINS8_10device_ptrItEEEENSA_INSB_IiEEEEZNS1_13binary_searchIS3_S5_SD_SD_SF_NS1_21upper_bound_search_opENS9_16wrapped_functionINS0_4lessIvEEbEEEE10hipError_tPvRmT1_T2_T3_mmT4_T5_P12ihipStream_tbEUlRKtE_EESM_SQ_SR_mSS_SV_bEUlT_E_NS1_11comp_targetILNS1_3genE4ELNS1_11target_archE910ELNS1_3gpuE8ELNS1_3repE0EEENS1_30default_config_static_selectorELNS0_4arch9wavefront6targetE1EEEvSP_,comdat
.Lfunc_end368:
	.size	_ZN7rocprim17ROCPRIM_400000_NS6detail17trampoline_kernelINS0_14default_configENS1_27upper_bound_config_selectorItiEEZNS1_14transform_implILb0ES3_S5_N6thrust23THRUST_200600_302600_NS6detail15normal_iteratorINS8_10device_ptrItEEEENSA_INSB_IiEEEEZNS1_13binary_searchIS3_S5_SD_SD_SF_NS1_21upper_bound_search_opENS9_16wrapped_functionINS0_4lessIvEEbEEEE10hipError_tPvRmT1_T2_T3_mmT4_T5_P12ihipStream_tbEUlRKtE_EESM_SQ_SR_mSS_SV_bEUlT_E_NS1_11comp_targetILNS1_3genE4ELNS1_11target_archE910ELNS1_3gpuE8ELNS1_3repE0EEENS1_30default_config_static_selectorELNS0_4arch9wavefront6targetE1EEEvSP_, .Lfunc_end368-_ZN7rocprim17ROCPRIM_400000_NS6detail17trampoline_kernelINS0_14default_configENS1_27upper_bound_config_selectorItiEEZNS1_14transform_implILb0ES3_S5_N6thrust23THRUST_200600_302600_NS6detail15normal_iteratorINS8_10device_ptrItEEEENSA_INSB_IiEEEEZNS1_13binary_searchIS3_S5_SD_SD_SF_NS1_21upper_bound_search_opENS9_16wrapped_functionINS0_4lessIvEEbEEEE10hipError_tPvRmT1_T2_T3_mmT4_T5_P12ihipStream_tbEUlRKtE_EESM_SQ_SR_mSS_SV_bEUlT_E_NS1_11comp_targetILNS1_3genE4ELNS1_11target_archE910ELNS1_3gpuE8ELNS1_3repE0EEENS1_30default_config_static_selectorELNS0_4arch9wavefront6targetE1EEEvSP_
                                        ; -- End function
	.section	.AMDGPU.csdata,"",@progbits
; Kernel info:
; codeLenInByte = 720
; NumSgprs: 24
; NumVgprs: 12
; NumAgprs: 0
; TotalNumVgprs: 12
; ScratchSize: 0
; MemoryBound: 0
; FloatMode: 240
; IeeeMode: 1
; LDSByteSize: 0 bytes/workgroup (compile time only)
; SGPRBlocks: 2
; VGPRBlocks: 1
; NumSGPRsForWavesPerEU: 24
; NumVGPRsForWavesPerEU: 12
; AccumOffset: 12
; Occupancy: 8
; WaveLimiterHint : 0
; COMPUTE_PGM_RSRC2:SCRATCH_EN: 0
; COMPUTE_PGM_RSRC2:USER_SGPR: 6
; COMPUTE_PGM_RSRC2:TRAP_HANDLER: 0
; COMPUTE_PGM_RSRC2:TGID_X_EN: 1
; COMPUTE_PGM_RSRC2:TGID_Y_EN: 0
; COMPUTE_PGM_RSRC2:TGID_Z_EN: 0
; COMPUTE_PGM_RSRC2:TIDIG_COMP_CNT: 0
; COMPUTE_PGM_RSRC3_GFX90A:ACCUM_OFFSET: 2
; COMPUTE_PGM_RSRC3_GFX90A:TG_SPLIT: 0
	.section	.text._ZN7rocprim17ROCPRIM_400000_NS6detail17trampoline_kernelINS0_14default_configENS1_27upper_bound_config_selectorItiEEZNS1_14transform_implILb0ES3_S5_N6thrust23THRUST_200600_302600_NS6detail15normal_iteratorINS8_10device_ptrItEEEENSA_INSB_IiEEEEZNS1_13binary_searchIS3_S5_SD_SD_SF_NS1_21upper_bound_search_opENS9_16wrapped_functionINS0_4lessIvEEbEEEE10hipError_tPvRmT1_T2_T3_mmT4_T5_P12ihipStream_tbEUlRKtE_EESM_SQ_SR_mSS_SV_bEUlT_E_NS1_11comp_targetILNS1_3genE3ELNS1_11target_archE908ELNS1_3gpuE7ELNS1_3repE0EEENS1_30default_config_static_selectorELNS0_4arch9wavefront6targetE1EEEvSP_,"axG",@progbits,_ZN7rocprim17ROCPRIM_400000_NS6detail17trampoline_kernelINS0_14default_configENS1_27upper_bound_config_selectorItiEEZNS1_14transform_implILb0ES3_S5_N6thrust23THRUST_200600_302600_NS6detail15normal_iteratorINS8_10device_ptrItEEEENSA_INSB_IiEEEEZNS1_13binary_searchIS3_S5_SD_SD_SF_NS1_21upper_bound_search_opENS9_16wrapped_functionINS0_4lessIvEEbEEEE10hipError_tPvRmT1_T2_T3_mmT4_T5_P12ihipStream_tbEUlRKtE_EESM_SQ_SR_mSS_SV_bEUlT_E_NS1_11comp_targetILNS1_3genE3ELNS1_11target_archE908ELNS1_3gpuE7ELNS1_3repE0EEENS1_30default_config_static_selectorELNS0_4arch9wavefront6targetE1EEEvSP_,comdat
	.protected	_ZN7rocprim17ROCPRIM_400000_NS6detail17trampoline_kernelINS0_14default_configENS1_27upper_bound_config_selectorItiEEZNS1_14transform_implILb0ES3_S5_N6thrust23THRUST_200600_302600_NS6detail15normal_iteratorINS8_10device_ptrItEEEENSA_INSB_IiEEEEZNS1_13binary_searchIS3_S5_SD_SD_SF_NS1_21upper_bound_search_opENS9_16wrapped_functionINS0_4lessIvEEbEEEE10hipError_tPvRmT1_T2_T3_mmT4_T5_P12ihipStream_tbEUlRKtE_EESM_SQ_SR_mSS_SV_bEUlT_E_NS1_11comp_targetILNS1_3genE3ELNS1_11target_archE908ELNS1_3gpuE7ELNS1_3repE0EEENS1_30default_config_static_selectorELNS0_4arch9wavefront6targetE1EEEvSP_ ; -- Begin function _ZN7rocprim17ROCPRIM_400000_NS6detail17trampoline_kernelINS0_14default_configENS1_27upper_bound_config_selectorItiEEZNS1_14transform_implILb0ES3_S5_N6thrust23THRUST_200600_302600_NS6detail15normal_iteratorINS8_10device_ptrItEEEENSA_INSB_IiEEEEZNS1_13binary_searchIS3_S5_SD_SD_SF_NS1_21upper_bound_search_opENS9_16wrapped_functionINS0_4lessIvEEbEEEE10hipError_tPvRmT1_T2_T3_mmT4_T5_P12ihipStream_tbEUlRKtE_EESM_SQ_SR_mSS_SV_bEUlT_E_NS1_11comp_targetILNS1_3genE3ELNS1_11target_archE908ELNS1_3gpuE7ELNS1_3repE0EEENS1_30default_config_static_selectorELNS0_4arch9wavefront6targetE1EEEvSP_
	.globl	_ZN7rocprim17ROCPRIM_400000_NS6detail17trampoline_kernelINS0_14default_configENS1_27upper_bound_config_selectorItiEEZNS1_14transform_implILb0ES3_S5_N6thrust23THRUST_200600_302600_NS6detail15normal_iteratorINS8_10device_ptrItEEEENSA_INSB_IiEEEEZNS1_13binary_searchIS3_S5_SD_SD_SF_NS1_21upper_bound_search_opENS9_16wrapped_functionINS0_4lessIvEEbEEEE10hipError_tPvRmT1_T2_T3_mmT4_T5_P12ihipStream_tbEUlRKtE_EESM_SQ_SR_mSS_SV_bEUlT_E_NS1_11comp_targetILNS1_3genE3ELNS1_11target_archE908ELNS1_3gpuE7ELNS1_3repE0EEENS1_30default_config_static_selectorELNS0_4arch9wavefront6targetE1EEEvSP_
	.p2align	8
	.type	_ZN7rocprim17ROCPRIM_400000_NS6detail17trampoline_kernelINS0_14default_configENS1_27upper_bound_config_selectorItiEEZNS1_14transform_implILb0ES3_S5_N6thrust23THRUST_200600_302600_NS6detail15normal_iteratorINS8_10device_ptrItEEEENSA_INSB_IiEEEEZNS1_13binary_searchIS3_S5_SD_SD_SF_NS1_21upper_bound_search_opENS9_16wrapped_functionINS0_4lessIvEEbEEEE10hipError_tPvRmT1_T2_T3_mmT4_T5_P12ihipStream_tbEUlRKtE_EESM_SQ_SR_mSS_SV_bEUlT_E_NS1_11comp_targetILNS1_3genE3ELNS1_11target_archE908ELNS1_3gpuE7ELNS1_3repE0EEENS1_30default_config_static_selectorELNS0_4arch9wavefront6targetE1EEEvSP_,@function
_ZN7rocprim17ROCPRIM_400000_NS6detail17trampoline_kernelINS0_14default_configENS1_27upper_bound_config_selectorItiEEZNS1_14transform_implILb0ES3_S5_N6thrust23THRUST_200600_302600_NS6detail15normal_iteratorINS8_10device_ptrItEEEENSA_INSB_IiEEEEZNS1_13binary_searchIS3_S5_SD_SD_SF_NS1_21upper_bound_search_opENS9_16wrapped_functionINS0_4lessIvEEbEEEE10hipError_tPvRmT1_T2_T3_mmT4_T5_P12ihipStream_tbEUlRKtE_EESM_SQ_SR_mSS_SV_bEUlT_E_NS1_11comp_targetILNS1_3genE3ELNS1_11target_archE908ELNS1_3gpuE7ELNS1_3repE0EEENS1_30default_config_static_selectorELNS0_4arch9wavefront6targetE1EEEvSP_: ; @_ZN7rocprim17ROCPRIM_400000_NS6detail17trampoline_kernelINS0_14default_configENS1_27upper_bound_config_selectorItiEEZNS1_14transform_implILb0ES3_S5_N6thrust23THRUST_200600_302600_NS6detail15normal_iteratorINS8_10device_ptrItEEEENSA_INSB_IiEEEEZNS1_13binary_searchIS3_S5_SD_SD_SF_NS1_21upper_bound_search_opENS9_16wrapped_functionINS0_4lessIvEEbEEEE10hipError_tPvRmT1_T2_T3_mmT4_T5_P12ihipStream_tbEUlRKtE_EESM_SQ_SR_mSS_SV_bEUlT_E_NS1_11comp_targetILNS1_3genE3ELNS1_11target_archE908ELNS1_3gpuE7ELNS1_3repE0EEENS1_30default_config_static_selectorELNS0_4arch9wavefront6targetE1EEEvSP_
; %bb.0:
	.section	.rodata,"a",@progbits
	.p2align	6, 0x0
	.amdhsa_kernel _ZN7rocprim17ROCPRIM_400000_NS6detail17trampoline_kernelINS0_14default_configENS1_27upper_bound_config_selectorItiEEZNS1_14transform_implILb0ES3_S5_N6thrust23THRUST_200600_302600_NS6detail15normal_iteratorINS8_10device_ptrItEEEENSA_INSB_IiEEEEZNS1_13binary_searchIS3_S5_SD_SD_SF_NS1_21upper_bound_search_opENS9_16wrapped_functionINS0_4lessIvEEbEEEE10hipError_tPvRmT1_T2_T3_mmT4_T5_P12ihipStream_tbEUlRKtE_EESM_SQ_SR_mSS_SV_bEUlT_E_NS1_11comp_targetILNS1_3genE3ELNS1_11target_archE908ELNS1_3gpuE7ELNS1_3repE0EEENS1_30default_config_static_selectorELNS0_4arch9wavefront6targetE1EEEvSP_
		.amdhsa_group_segment_fixed_size 0
		.amdhsa_private_segment_fixed_size 0
		.amdhsa_kernarg_size 56
		.amdhsa_user_sgpr_count 6
		.amdhsa_user_sgpr_private_segment_buffer 1
		.amdhsa_user_sgpr_dispatch_ptr 0
		.amdhsa_user_sgpr_queue_ptr 0
		.amdhsa_user_sgpr_kernarg_segment_ptr 1
		.amdhsa_user_sgpr_dispatch_id 0
		.amdhsa_user_sgpr_flat_scratch_init 0
		.amdhsa_user_sgpr_kernarg_preload_length 0
		.amdhsa_user_sgpr_kernarg_preload_offset 0
		.amdhsa_user_sgpr_private_segment_size 0
		.amdhsa_uses_dynamic_stack 0
		.amdhsa_system_sgpr_private_segment_wavefront_offset 0
		.amdhsa_system_sgpr_workgroup_id_x 1
		.amdhsa_system_sgpr_workgroup_id_y 0
		.amdhsa_system_sgpr_workgroup_id_z 0
		.amdhsa_system_sgpr_workgroup_info 0
		.amdhsa_system_vgpr_workitem_id 0
		.amdhsa_next_free_vgpr 1
		.amdhsa_next_free_sgpr 0
		.amdhsa_accum_offset 4
		.amdhsa_reserve_vcc 0
		.amdhsa_reserve_flat_scratch 0
		.amdhsa_float_round_mode_32 0
		.amdhsa_float_round_mode_16_64 0
		.amdhsa_float_denorm_mode_32 3
		.amdhsa_float_denorm_mode_16_64 3
		.amdhsa_dx10_clamp 1
		.amdhsa_ieee_mode 1
		.amdhsa_fp16_overflow 0
		.amdhsa_tg_split 0
		.amdhsa_exception_fp_ieee_invalid_op 0
		.amdhsa_exception_fp_denorm_src 0
		.amdhsa_exception_fp_ieee_div_zero 0
		.amdhsa_exception_fp_ieee_overflow 0
		.amdhsa_exception_fp_ieee_underflow 0
		.amdhsa_exception_fp_ieee_inexact 0
		.amdhsa_exception_int_div_zero 0
	.end_amdhsa_kernel
	.section	.text._ZN7rocprim17ROCPRIM_400000_NS6detail17trampoline_kernelINS0_14default_configENS1_27upper_bound_config_selectorItiEEZNS1_14transform_implILb0ES3_S5_N6thrust23THRUST_200600_302600_NS6detail15normal_iteratorINS8_10device_ptrItEEEENSA_INSB_IiEEEEZNS1_13binary_searchIS3_S5_SD_SD_SF_NS1_21upper_bound_search_opENS9_16wrapped_functionINS0_4lessIvEEbEEEE10hipError_tPvRmT1_T2_T3_mmT4_T5_P12ihipStream_tbEUlRKtE_EESM_SQ_SR_mSS_SV_bEUlT_E_NS1_11comp_targetILNS1_3genE3ELNS1_11target_archE908ELNS1_3gpuE7ELNS1_3repE0EEENS1_30default_config_static_selectorELNS0_4arch9wavefront6targetE1EEEvSP_,"axG",@progbits,_ZN7rocprim17ROCPRIM_400000_NS6detail17trampoline_kernelINS0_14default_configENS1_27upper_bound_config_selectorItiEEZNS1_14transform_implILb0ES3_S5_N6thrust23THRUST_200600_302600_NS6detail15normal_iteratorINS8_10device_ptrItEEEENSA_INSB_IiEEEEZNS1_13binary_searchIS3_S5_SD_SD_SF_NS1_21upper_bound_search_opENS9_16wrapped_functionINS0_4lessIvEEbEEEE10hipError_tPvRmT1_T2_T3_mmT4_T5_P12ihipStream_tbEUlRKtE_EESM_SQ_SR_mSS_SV_bEUlT_E_NS1_11comp_targetILNS1_3genE3ELNS1_11target_archE908ELNS1_3gpuE7ELNS1_3repE0EEENS1_30default_config_static_selectorELNS0_4arch9wavefront6targetE1EEEvSP_,comdat
.Lfunc_end369:
	.size	_ZN7rocprim17ROCPRIM_400000_NS6detail17trampoline_kernelINS0_14default_configENS1_27upper_bound_config_selectorItiEEZNS1_14transform_implILb0ES3_S5_N6thrust23THRUST_200600_302600_NS6detail15normal_iteratorINS8_10device_ptrItEEEENSA_INSB_IiEEEEZNS1_13binary_searchIS3_S5_SD_SD_SF_NS1_21upper_bound_search_opENS9_16wrapped_functionINS0_4lessIvEEbEEEE10hipError_tPvRmT1_T2_T3_mmT4_T5_P12ihipStream_tbEUlRKtE_EESM_SQ_SR_mSS_SV_bEUlT_E_NS1_11comp_targetILNS1_3genE3ELNS1_11target_archE908ELNS1_3gpuE7ELNS1_3repE0EEENS1_30default_config_static_selectorELNS0_4arch9wavefront6targetE1EEEvSP_, .Lfunc_end369-_ZN7rocprim17ROCPRIM_400000_NS6detail17trampoline_kernelINS0_14default_configENS1_27upper_bound_config_selectorItiEEZNS1_14transform_implILb0ES3_S5_N6thrust23THRUST_200600_302600_NS6detail15normal_iteratorINS8_10device_ptrItEEEENSA_INSB_IiEEEEZNS1_13binary_searchIS3_S5_SD_SD_SF_NS1_21upper_bound_search_opENS9_16wrapped_functionINS0_4lessIvEEbEEEE10hipError_tPvRmT1_T2_T3_mmT4_T5_P12ihipStream_tbEUlRKtE_EESM_SQ_SR_mSS_SV_bEUlT_E_NS1_11comp_targetILNS1_3genE3ELNS1_11target_archE908ELNS1_3gpuE7ELNS1_3repE0EEENS1_30default_config_static_selectorELNS0_4arch9wavefront6targetE1EEEvSP_
                                        ; -- End function
	.section	.AMDGPU.csdata,"",@progbits
; Kernel info:
; codeLenInByte = 0
; NumSgprs: 4
; NumVgprs: 0
; NumAgprs: 0
; TotalNumVgprs: 0
; ScratchSize: 0
; MemoryBound: 0
; FloatMode: 240
; IeeeMode: 1
; LDSByteSize: 0 bytes/workgroup (compile time only)
; SGPRBlocks: 0
; VGPRBlocks: 0
; NumSGPRsForWavesPerEU: 4
; NumVGPRsForWavesPerEU: 1
; AccumOffset: 4
; Occupancy: 8
; WaveLimiterHint : 0
; COMPUTE_PGM_RSRC2:SCRATCH_EN: 0
; COMPUTE_PGM_RSRC2:USER_SGPR: 6
; COMPUTE_PGM_RSRC2:TRAP_HANDLER: 0
; COMPUTE_PGM_RSRC2:TGID_X_EN: 1
; COMPUTE_PGM_RSRC2:TGID_Y_EN: 0
; COMPUTE_PGM_RSRC2:TGID_Z_EN: 0
; COMPUTE_PGM_RSRC2:TIDIG_COMP_CNT: 0
; COMPUTE_PGM_RSRC3_GFX90A:ACCUM_OFFSET: 0
; COMPUTE_PGM_RSRC3_GFX90A:TG_SPLIT: 0
	.section	.text._ZN7rocprim17ROCPRIM_400000_NS6detail17trampoline_kernelINS0_14default_configENS1_27upper_bound_config_selectorItiEEZNS1_14transform_implILb0ES3_S5_N6thrust23THRUST_200600_302600_NS6detail15normal_iteratorINS8_10device_ptrItEEEENSA_INSB_IiEEEEZNS1_13binary_searchIS3_S5_SD_SD_SF_NS1_21upper_bound_search_opENS9_16wrapped_functionINS0_4lessIvEEbEEEE10hipError_tPvRmT1_T2_T3_mmT4_T5_P12ihipStream_tbEUlRKtE_EESM_SQ_SR_mSS_SV_bEUlT_E_NS1_11comp_targetILNS1_3genE2ELNS1_11target_archE906ELNS1_3gpuE6ELNS1_3repE0EEENS1_30default_config_static_selectorELNS0_4arch9wavefront6targetE1EEEvSP_,"axG",@progbits,_ZN7rocprim17ROCPRIM_400000_NS6detail17trampoline_kernelINS0_14default_configENS1_27upper_bound_config_selectorItiEEZNS1_14transform_implILb0ES3_S5_N6thrust23THRUST_200600_302600_NS6detail15normal_iteratorINS8_10device_ptrItEEEENSA_INSB_IiEEEEZNS1_13binary_searchIS3_S5_SD_SD_SF_NS1_21upper_bound_search_opENS9_16wrapped_functionINS0_4lessIvEEbEEEE10hipError_tPvRmT1_T2_T3_mmT4_T5_P12ihipStream_tbEUlRKtE_EESM_SQ_SR_mSS_SV_bEUlT_E_NS1_11comp_targetILNS1_3genE2ELNS1_11target_archE906ELNS1_3gpuE6ELNS1_3repE0EEENS1_30default_config_static_selectorELNS0_4arch9wavefront6targetE1EEEvSP_,comdat
	.protected	_ZN7rocprim17ROCPRIM_400000_NS6detail17trampoline_kernelINS0_14default_configENS1_27upper_bound_config_selectorItiEEZNS1_14transform_implILb0ES3_S5_N6thrust23THRUST_200600_302600_NS6detail15normal_iteratorINS8_10device_ptrItEEEENSA_INSB_IiEEEEZNS1_13binary_searchIS3_S5_SD_SD_SF_NS1_21upper_bound_search_opENS9_16wrapped_functionINS0_4lessIvEEbEEEE10hipError_tPvRmT1_T2_T3_mmT4_T5_P12ihipStream_tbEUlRKtE_EESM_SQ_SR_mSS_SV_bEUlT_E_NS1_11comp_targetILNS1_3genE2ELNS1_11target_archE906ELNS1_3gpuE6ELNS1_3repE0EEENS1_30default_config_static_selectorELNS0_4arch9wavefront6targetE1EEEvSP_ ; -- Begin function _ZN7rocprim17ROCPRIM_400000_NS6detail17trampoline_kernelINS0_14default_configENS1_27upper_bound_config_selectorItiEEZNS1_14transform_implILb0ES3_S5_N6thrust23THRUST_200600_302600_NS6detail15normal_iteratorINS8_10device_ptrItEEEENSA_INSB_IiEEEEZNS1_13binary_searchIS3_S5_SD_SD_SF_NS1_21upper_bound_search_opENS9_16wrapped_functionINS0_4lessIvEEbEEEE10hipError_tPvRmT1_T2_T3_mmT4_T5_P12ihipStream_tbEUlRKtE_EESM_SQ_SR_mSS_SV_bEUlT_E_NS1_11comp_targetILNS1_3genE2ELNS1_11target_archE906ELNS1_3gpuE6ELNS1_3repE0EEENS1_30default_config_static_selectorELNS0_4arch9wavefront6targetE1EEEvSP_
	.globl	_ZN7rocprim17ROCPRIM_400000_NS6detail17trampoline_kernelINS0_14default_configENS1_27upper_bound_config_selectorItiEEZNS1_14transform_implILb0ES3_S5_N6thrust23THRUST_200600_302600_NS6detail15normal_iteratorINS8_10device_ptrItEEEENSA_INSB_IiEEEEZNS1_13binary_searchIS3_S5_SD_SD_SF_NS1_21upper_bound_search_opENS9_16wrapped_functionINS0_4lessIvEEbEEEE10hipError_tPvRmT1_T2_T3_mmT4_T5_P12ihipStream_tbEUlRKtE_EESM_SQ_SR_mSS_SV_bEUlT_E_NS1_11comp_targetILNS1_3genE2ELNS1_11target_archE906ELNS1_3gpuE6ELNS1_3repE0EEENS1_30default_config_static_selectorELNS0_4arch9wavefront6targetE1EEEvSP_
	.p2align	8
	.type	_ZN7rocprim17ROCPRIM_400000_NS6detail17trampoline_kernelINS0_14default_configENS1_27upper_bound_config_selectorItiEEZNS1_14transform_implILb0ES3_S5_N6thrust23THRUST_200600_302600_NS6detail15normal_iteratorINS8_10device_ptrItEEEENSA_INSB_IiEEEEZNS1_13binary_searchIS3_S5_SD_SD_SF_NS1_21upper_bound_search_opENS9_16wrapped_functionINS0_4lessIvEEbEEEE10hipError_tPvRmT1_T2_T3_mmT4_T5_P12ihipStream_tbEUlRKtE_EESM_SQ_SR_mSS_SV_bEUlT_E_NS1_11comp_targetILNS1_3genE2ELNS1_11target_archE906ELNS1_3gpuE6ELNS1_3repE0EEENS1_30default_config_static_selectorELNS0_4arch9wavefront6targetE1EEEvSP_,@function
_ZN7rocprim17ROCPRIM_400000_NS6detail17trampoline_kernelINS0_14default_configENS1_27upper_bound_config_selectorItiEEZNS1_14transform_implILb0ES3_S5_N6thrust23THRUST_200600_302600_NS6detail15normal_iteratorINS8_10device_ptrItEEEENSA_INSB_IiEEEEZNS1_13binary_searchIS3_S5_SD_SD_SF_NS1_21upper_bound_search_opENS9_16wrapped_functionINS0_4lessIvEEbEEEE10hipError_tPvRmT1_T2_T3_mmT4_T5_P12ihipStream_tbEUlRKtE_EESM_SQ_SR_mSS_SV_bEUlT_E_NS1_11comp_targetILNS1_3genE2ELNS1_11target_archE906ELNS1_3gpuE6ELNS1_3repE0EEENS1_30default_config_static_selectorELNS0_4arch9wavefront6targetE1EEEvSP_: ; @_ZN7rocprim17ROCPRIM_400000_NS6detail17trampoline_kernelINS0_14default_configENS1_27upper_bound_config_selectorItiEEZNS1_14transform_implILb0ES3_S5_N6thrust23THRUST_200600_302600_NS6detail15normal_iteratorINS8_10device_ptrItEEEENSA_INSB_IiEEEEZNS1_13binary_searchIS3_S5_SD_SD_SF_NS1_21upper_bound_search_opENS9_16wrapped_functionINS0_4lessIvEEbEEEE10hipError_tPvRmT1_T2_T3_mmT4_T5_P12ihipStream_tbEUlRKtE_EESM_SQ_SR_mSS_SV_bEUlT_E_NS1_11comp_targetILNS1_3genE2ELNS1_11target_archE906ELNS1_3gpuE6ELNS1_3repE0EEENS1_30default_config_static_selectorELNS0_4arch9wavefront6targetE1EEEvSP_
; %bb.0:
	.section	.rodata,"a",@progbits
	.p2align	6, 0x0
	.amdhsa_kernel _ZN7rocprim17ROCPRIM_400000_NS6detail17trampoline_kernelINS0_14default_configENS1_27upper_bound_config_selectorItiEEZNS1_14transform_implILb0ES3_S5_N6thrust23THRUST_200600_302600_NS6detail15normal_iteratorINS8_10device_ptrItEEEENSA_INSB_IiEEEEZNS1_13binary_searchIS3_S5_SD_SD_SF_NS1_21upper_bound_search_opENS9_16wrapped_functionINS0_4lessIvEEbEEEE10hipError_tPvRmT1_T2_T3_mmT4_T5_P12ihipStream_tbEUlRKtE_EESM_SQ_SR_mSS_SV_bEUlT_E_NS1_11comp_targetILNS1_3genE2ELNS1_11target_archE906ELNS1_3gpuE6ELNS1_3repE0EEENS1_30default_config_static_selectorELNS0_4arch9wavefront6targetE1EEEvSP_
		.amdhsa_group_segment_fixed_size 0
		.amdhsa_private_segment_fixed_size 0
		.amdhsa_kernarg_size 56
		.amdhsa_user_sgpr_count 6
		.amdhsa_user_sgpr_private_segment_buffer 1
		.amdhsa_user_sgpr_dispatch_ptr 0
		.amdhsa_user_sgpr_queue_ptr 0
		.amdhsa_user_sgpr_kernarg_segment_ptr 1
		.amdhsa_user_sgpr_dispatch_id 0
		.amdhsa_user_sgpr_flat_scratch_init 0
		.amdhsa_user_sgpr_kernarg_preload_length 0
		.amdhsa_user_sgpr_kernarg_preload_offset 0
		.amdhsa_user_sgpr_private_segment_size 0
		.amdhsa_uses_dynamic_stack 0
		.amdhsa_system_sgpr_private_segment_wavefront_offset 0
		.amdhsa_system_sgpr_workgroup_id_x 1
		.amdhsa_system_sgpr_workgroup_id_y 0
		.amdhsa_system_sgpr_workgroup_id_z 0
		.amdhsa_system_sgpr_workgroup_info 0
		.amdhsa_system_vgpr_workitem_id 0
		.amdhsa_next_free_vgpr 1
		.amdhsa_next_free_sgpr 0
		.amdhsa_accum_offset 4
		.amdhsa_reserve_vcc 0
		.amdhsa_reserve_flat_scratch 0
		.amdhsa_float_round_mode_32 0
		.amdhsa_float_round_mode_16_64 0
		.amdhsa_float_denorm_mode_32 3
		.amdhsa_float_denorm_mode_16_64 3
		.amdhsa_dx10_clamp 1
		.amdhsa_ieee_mode 1
		.amdhsa_fp16_overflow 0
		.amdhsa_tg_split 0
		.amdhsa_exception_fp_ieee_invalid_op 0
		.amdhsa_exception_fp_denorm_src 0
		.amdhsa_exception_fp_ieee_div_zero 0
		.amdhsa_exception_fp_ieee_overflow 0
		.amdhsa_exception_fp_ieee_underflow 0
		.amdhsa_exception_fp_ieee_inexact 0
		.amdhsa_exception_int_div_zero 0
	.end_amdhsa_kernel
	.section	.text._ZN7rocprim17ROCPRIM_400000_NS6detail17trampoline_kernelINS0_14default_configENS1_27upper_bound_config_selectorItiEEZNS1_14transform_implILb0ES3_S5_N6thrust23THRUST_200600_302600_NS6detail15normal_iteratorINS8_10device_ptrItEEEENSA_INSB_IiEEEEZNS1_13binary_searchIS3_S5_SD_SD_SF_NS1_21upper_bound_search_opENS9_16wrapped_functionINS0_4lessIvEEbEEEE10hipError_tPvRmT1_T2_T3_mmT4_T5_P12ihipStream_tbEUlRKtE_EESM_SQ_SR_mSS_SV_bEUlT_E_NS1_11comp_targetILNS1_3genE2ELNS1_11target_archE906ELNS1_3gpuE6ELNS1_3repE0EEENS1_30default_config_static_selectorELNS0_4arch9wavefront6targetE1EEEvSP_,"axG",@progbits,_ZN7rocprim17ROCPRIM_400000_NS6detail17trampoline_kernelINS0_14default_configENS1_27upper_bound_config_selectorItiEEZNS1_14transform_implILb0ES3_S5_N6thrust23THRUST_200600_302600_NS6detail15normal_iteratorINS8_10device_ptrItEEEENSA_INSB_IiEEEEZNS1_13binary_searchIS3_S5_SD_SD_SF_NS1_21upper_bound_search_opENS9_16wrapped_functionINS0_4lessIvEEbEEEE10hipError_tPvRmT1_T2_T3_mmT4_T5_P12ihipStream_tbEUlRKtE_EESM_SQ_SR_mSS_SV_bEUlT_E_NS1_11comp_targetILNS1_3genE2ELNS1_11target_archE906ELNS1_3gpuE6ELNS1_3repE0EEENS1_30default_config_static_selectorELNS0_4arch9wavefront6targetE1EEEvSP_,comdat
.Lfunc_end370:
	.size	_ZN7rocprim17ROCPRIM_400000_NS6detail17trampoline_kernelINS0_14default_configENS1_27upper_bound_config_selectorItiEEZNS1_14transform_implILb0ES3_S5_N6thrust23THRUST_200600_302600_NS6detail15normal_iteratorINS8_10device_ptrItEEEENSA_INSB_IiEEEEZNS1_13binary_searchIS3_S5_SD_SD_SF_NS1_21upper_bound_search_opENS9_16wrapped_functionINS0_4lessIvEEbEEEE10hipError_tPvRmT1_T2_T3_mmT4_T5_P12ihipStream_tbEUlRKtE_EESM_SQ_SR_mSS_SV_bEUlT_E_NS1_11comp_targetILNS1_3genE2ELNS1_11target_archE906ELNS1_3gpuE6ELNS1_3repE0EEENS1_30default_config_static_selectorELNS0_4arch9wavefront6targetE1EEEvSP_, .Lfunc_end370-_ZN7rocprim17ROCPRIM_400000_NS6detail17trampoline_kernelINS0_14default_configENS1_27upper_bound_config_selectorItiEEZNS1_14transform_implILb0ES3_S5_N6thrust23THRUST_200600_302600_NS6detail15normal_iteratorINS8_10device_ptrItEEEENSA_INSB_IiEEEEZNS1_13binary_searchIS3_S5_SD_SD_SF_NS1_21upper_bound_search_opENS9_16wrapped_functionINS0_4lessIvEEbEEEE10hipError_tPvRmT1_T2_T3_mmT4_T5_P12ihipStream_tbEUlRKtE_EESM_SQ_SR_mSS_SV_bEUlT_E_NS1_11comp_targetILNS1_3genE2ELNS1_11target_archE906ELNS1_3gpuE6ELNS1_3repE0EEENS1_30default_config_static_selectorELNS0_4arch9wavefront6targetE1EEEvSP_
                                        ; -- End function
	.section	.AMDGPU.csdata,"",@progbits
; Kernel info:
; codeLenInByte = 0
; NumSgprs: 4
; NumVgprs: 0
; NumAgprs: 0
; TotalNumVgprs: 0
; ScratchSize: 0
; MemoryBound: 0
; FloatMode: 240
; IeeeMode: 1
; LDSByteSize: 0 bytes/workgroup (compile time only)
; SGPRBlocks: 0
; VGPRBlocks: 0
; NumSGPRsForWavesPerEU: 4
; NumVGPRsForWavesPerEU: 1
; AccumOffset: 4
; Occupancy: 8
; WaveLimiterHint : 0
; COMPUTE_PGM_RSRC2:SCRATCH_EN: 0
; COMPUTE_PGM_RSRC2:USER_SGPR: 6
; COMPUTE_PGM_RSRC2:TRAP_HANDLER: 0
; COMPUTE_PGM_RSRC2:TGID_X_EN: 1
; COMPUTE_PGM_RSRC2:TGID_Y_EN: 0
; COMPUTE_PGM_RSRC2:TGID_Z_EN: 0
; COMPUTE_PGM_RSRC2:TIDIG_COMP_CNT: 0
; COMPUTE_PGM_RSRC3_GFX90A:ACCUM_OFFSET: 0
; COMPUTE_PGM_RSRC3_GFX90A:TG_SPLIT: 0
	.section	.text._ZN7rocprim17ROCPRIM_400000_NS6detail17trampoline_kernelINS0_14default_configENS1_27upper_bound_config_selectorItiEEZNS1_14transform_implILb0ES3_S5_N6thrust23THRUST_200600_302600_NS6detail15normal_iteratorINS8_10device_ptrItEEEENSA_INSB_IiEEEEZNS1_13binary_searchIS3_S5_SD_SD_SF_NS1_21upper_bound_search_opENS9_16wrapped_functionINS0_4lessIvEEbEEEE10hipError_tPvRmT1_T2_T3_mmT4_T5_P12ihipStream_tbEUlRKtE_EESM_SQ_SR_mSS_SV_bEUlT_E_NS1_11comp_targetILNS1_3genE10ELNS1_11target_archE1201ELNS1_3gpuE5ELNS1_3repE0EEENS1_30default_config_static_selectorELNS0_4arch9wavefront6targetE1EEEvSP_,"axG",@progbits,_ZN7rocprim17ROCPRIM_400000_NS6detail17trampoline_kernelINS0_14default_configENS1_27upper_bound_config_selectorItiEEZNS1_14transform_implILb0ES3_S5_N6thrust23THRUST_200600_302600_NS6detail15normal_iteratorINS8_10device_ptrItEEEENSA_INSB_IiEEEEZNS1_13binary_searchIS3_S5_SD_SD_SF_NS1_21upper_bound_search_opENS9_16wrapped_functionINS0_4lessIvEEbEEEE10hipError_tPvRmT1_T2_T3_mmT4_T5_P12ihipStream_tbEUlRKtE_EESM_SQ_SR_mSS_SV_bEUlT_E_NS1_11comp_targetILNS1_3genE10ELNS1_11target_archE1201ELNS1_3gpuE5ELNS1_3repE0EEENS1_30default_config_static_selectorELNS0_4arch9wavefront6targetE1EEEvSP_,comdat
	.protected	_ZN7rocprim17ROCPRIM_400000_NS6detail17trampoline_kernelINS0_14default_configENS1_27upper_bound_config_selectorItiEEZNS1_14transform_implILb0ES3_S5_N6thrust23THRUST_200600_302600_NS6detail15normal_iteratorINS8_10device_ptrItEEEENSA_INSB_IiEEEEZNS1_13binary_searchIS3_S5_SD_SD_SF_NS1_21upper_bound_search_opENS9_16wrapped_functionINS0_4lessIvEEbEEEE10hipError_tPvRmT1_T2_T3_mmT4_T5_P12ihipStream_tbEUlRKtE_EESM_SQ_SR_mSS_SV_bEUlT_E_NS1_11comp_targetILNS1_3genE10ELNS1_11target_archE1201ELNS1_3gpuE5ELNS1_3repE0EEENS1_30default_config_static_selectorELNS0_4arch9wavefront6targetE1EEEvSP_ ; -- Begin function _ZN7rocprim17ROCPRIM_400000_NS6detail17trampoline_kernelINS0_14default_configENS1_27upper_bound_config_selectorItiEEZNS1_14transform_implILb0ES3_S5_N6thrust23THRUST_200600_302600_NS6detail15normal_iteratorINS8_10device_ptrItEEEENSA_INSB_IiEEEEZNS1_13binary_searchIS3_S5_SD_SD_SF_NS1_21upper_bound_search_opENS9_16wrapped_functionINS0_4lessIvEEbEEEE10hipError_tPvRmT1_T2_T3_mmT4_T5_P12ihipStream_tbEUlRKtE_EESM_SQ_SR_mSS_SV_bEUlT_E_NS1_11comp_targetILNS1_3genE10ELNS1_11target_archE1201ELNS1_3gpuE5ELNS1_3repE0EEENS1_30default_config_static_selectorELNS0_4arch9wavefront6targetE1EEEvSP_
	.globl	_ZN7rocprim17ROCPRIM_400000_NS6detail17trampoline_kernelINS0_14default_configENS1_27upper_bound_config_selectorItiEEZNS1_14transform_implILb0ES3_S5_N6thrust23THRUST_200600_302600_NS6detail15normal_iteratorINS8_10device_ptrItEEEENSA_INSB_IiEEEEZNS1_13binary_searchIS3_S5_SD_SD_SF_NS1_21upper_bound_search_opENS9_16wrapped_functionINS0_4lessIvEEbEEEE10hipError_tPvRmT1_T2_T3_mmT4_T5_P12ihipStream_tbEUlRKtE_EESM_SQ_SR_mSS_SV_bEUlT_E_NS1_11comp_targetILNS1_3genE10ELNS1_11target_archE1201ELNS1_3gpuE5ELNS1_3repE0EEENS1_30default_config_static_selectorELNS0_4arch9wavefront6targetE1EEEvSP_
	.p2align	8
	.type	_ZN7rocprim17ROCPRIM_400000_NS6detail17trampoline_kernelINS0_14default_configENS1_27upper_bound_config_selectorItiEEZNS1_14transform_implILb0ES3_S5_N6thrust23THRUST_200600_302600_NS6detail15normal_iteratorINS8_10device_ptrItEEEENSA_INSB_IiEEEEZNS1_13binary_searchIS3_S5_SD_SD_SF_NS1_21upper_bound_search_opENS9_16wrapped_functionINS0_4lessIvEEbEEEE10hipError_tPvRmT1_T2_T3_mmT4_T5_P12ihipStream_tbEUlRKtE_EESM_SQ_SR_mSS_SV_bEUlT_E_NS1_11comp_targetILNS1_3genE10ELNS1_11target_archE1201ELNS1_3gpuE5ELNS1_3repE0EEENS1_30default_config_static_selectorELNS0_4arch9wavefront6targetE1EEEvSP_,@function
_ZN7rocprim17ROCPRIM_400000_NS6detail17trampoline_kernelINS0_14default_configENS1_27upper_bound_config_selectorItiEEZNS1_14transform_implILb0ES3_S5_N6thrust23THRUST_200600_302600_NS6detail15normal_iteratorINS8_10device_ptrItEEEENSA_INSB_IiEEEEZNS1_13binary_searchIS3_S5_SD_SD_SF_NS1_21upper_bound_search_opENS9_16wrapped_functionINS0_4lessIvEEbEEEE10hipError_tPvRmT1_T2_T3_mmT4_T5_P12ihipStream_tbEUlRKtE_EESM_SQ_SR_mSS_SV_bEUlT_E_NS1_11comp_targetILNS1_3genE10ELNS1_11target_archE1201ELNS1_3gpuE5ELNS1_3repE0EEENS1_30default_config_static_selectorELNS0_4arch9wavefront6targetE1EEEvSP_: ; @_ZN7rocprim17ROCPRIM_400000_NS6detail17trampoline_kernelINS0_14default_configENS1_27upper_bound_config_selectorItiEEZNS1_14transform_implILb0ES3_S5_N6thrust23THRUST_200600_302600_NS6detail15normal_iteratorINS8_10device_ptrItEEEENSA_INSB_IiEEEEZNS1_13binary_searchIS3_S5_SD_SD_SF_NS1_21upper_bound_search_opENS9_16wrapped_functionINS0_4lessIvEEbEEEE10hipError_tPvRmT1_T2_T3_mmT4_T5_P12ihipStream_tbEUlRKtE_EESM_SQ_SR_mSS_SV_bEUlT_E_NS1_11comp_targetILNS1_3genE10ELNS1_11target_archE1201ELNS1_3gpuE5ELNS1_3repE0EEENS1_30default_config_static_selectorELNS0_4arch9wavefront6targetE1EEEvSP_
; %bb.0:
	.section	.rodata,"a",@progbits
	.p2align	6, 0x0
	.amdhsa_kernel _ZN7rocprim17ROCPRIM_400000_NS6detail17trampoline_kernelINS0_14default_configENS1_27upper_bound_config_selectorItiEEZNS1_14transform_implILb0ES3_S5_N6thrust23THRUST_200600_302600_NS6detail15normal_iteratorINS8_10device_ptrItEEEENSA_INSB_IiEEEEZNS1_13binary_searchIS3_S5_SD_SD_SF_NS1_21upper_bound_search_opENS9_16wrapped_functionINS0_4lessIvEEbEEEE10hipError_tPvRmT1_T2_T3_mmT4_T5_P12ihipStream_tbEUlRKtE_EESM_SQ_SR_mSS_SV_bEUlT_E_NS1_11comp_targetILNS1_3genE10ELNS1_11target_archE1201ELNS1_3gpuE5ELNS1_3repE0EEENS1_30default_config_static_selectorELNS0_4arch9wavefront6targetE1EEEvSP_
		.amdhsa_group_segment_fixed_size 0
		.amdhsa_private_segment_fixed_size 0
		.amdhsa_kernarg_size 56
		.amdhsa_user_sgpr_count 6
		.amdhsa_user_sgpr_private_segment_buffer 1
		.amdhsa_user_sgpr_dispatch_ptr 0
		.amdhsa_user_sgpr_queue_ptr 0
		.amdhsa_user_sgpr_kernarg_segment_ptr 1
		.amdhsa_user_sgpr_dispatch_id 0
		.amdhsa_user_sgpr_flat_scratch_init 0
		.amdhsa_user_sgpr_kernarg_preload_length 0
		.amdhsa_user_sgpr_kernarg_preload_offset 0
		.amdhsa_user_sgpr_private_segment_size 0
		.amdhsa_uses_dynamic_stack 0
		.amdhsa_system_sgpr_private_segment_wavefront_offset 0
		.amdhsa_system_sgpr_workgroup_id_x 1
		.amdhsa_system_sgpr_workgroup_id_y 0
		.amdhsa_system_sgpr_workgroup_id_z 0
		.amdhsa_system_sgpr_workgroup_info 0
		.amdhsa_system_vgpr_workitem_id 0
		.amdhsa_next_free_vgpr 1
		.amdhsa_next_free_sgpr 0
		.amdhsa_accum_offset 4
		.amdhsa_reserve_vcc 0
		.amdhsa_reserve_flat_scratch 0
		.amdhsa_float_round_mode_32 0
		.amdhsa_float_round_mode_16_64 0
		.amdhsa_float_denorm_mode_32 3
		.amdhsa_float_denorm_mode_16_64 3
		.amdhsa_dx10_clamp 1
		.amdhsa_ieee_mode 1
		.amdhsa_fp16_overflow 0
		.amdhsa_tg_split 0
		.amdhsa_exception_fp_ieee_invalid_op 0
		.amdhsa_exception_fp_denorm_src 0
		.amdhsa_exception_fp_ieee_div_zero 0
		.amdhsa_exception_fp_ieee_overflow 0
		.amdhsa_exception_fp_ieee_underflow 0
		.amdhsa_exception_fp_ieee_inexact 0
		.amdhsa_exception_int_div_zero 0
	.end_amdhsa_kernel
	.section	.text._ZN7rocprim17ROCPRIM_400000_NS6detail17trampoline_kernelINS0_14default_configENS1_27upper_bound_config_selectorItiEEZNS1_14transform_implILb0ES3_S5_N6thrust23THRUST_200600_302600_NS6detail15normal_iteratorINS8_10device_ptrItEEEENSA_INSB_IiEEEEZNS1_13binary_searchIS3_S5_SD_SD_SF_NS1_21upper_bound_search_opENS9_16wrapped_functionINS0_4lessIvEEbEEEE10hipError_tPvRmT1_T2_T3_mmT4_T5_P12ihipStream_tbEUlRKtE_EESM_SQ_SR_mSS_SV_bEUlT_E_NS1_11comp_targetILNS1_3genE10ELNS1_11target_archE1201ELNS1_3gpuE5ELNS1_3repE0EEENS1_30default_config_static_selectorELNS0_4arch9wavefront6targetE1EEEvSP_,"axG",@progbits,_ZN7rocprim17ROCPRIM_400000_NS6detail17trampoline_kernelINS0_14default_configENS1_27upper_bound_config_selectorItiEEZNS1_14transform_implILb0ES3_S5_N6thrust23THRUST_200600_302600_NS6detail15normal_iteratorINS8_10device_ptrItEEEENSA_INSB_IiEEEEZNS1_13binary_searchIS3_S5_SD_SD_SF_NS1_21upper_bound_search_opENS9_16wrapped_functionINS0_4lessIvEEbEEEE10hipError_tPvRmT1_T2_T3_mmT4_T5_P12ihipStream_tbEUlRKtE_EESM_SQ_SR_mSS_SV_bEUlT_E_NS1_11comp_targetILNS1_3genE10ELNS1_11target_archE1201ELNS1_3gpuE5ELNS1_3repE0EEENS1_30default_config_static_selectorELNS0_4arch9wavefront6targetE1EEEvSP_,comdat
.Lfunc_end371:
	.size	_ZN7rocprim17ROCPRIM_400000_NS6detail17trampoline_kernelINS0_14default_configENS1_27upper_bound_config_selectorItiEEZNS1_14transform_implILb0ES3_S5_N6thrust23THRUST_200600_302600_NS6detail15normal_iteratorINS8_10device_ptrItEEEENSA_INSB_IiEEEEZNS1_13binary_searchIS3_S5_SD_SD_SF_NS1_21upper_bound_search_opENS9_16wrapped_functionINS0_4lessIvEEbEEEE10hipError_tPvRmT1_T2_T3_mmT4_T5_P12ihipStream_tbEUlRKtE_EESM_SQ_SR_mSS_SV_bEUlT_E_NS1_11comp_targetILNS1_3genE10ELNS1_11target_archE1201ELNS1_3gpuE5ELNS1_3repE0EEENS1_30default_config_static_selectorELNS0_4arch9wavefront6targetE1EEEvSP_, .Lfunc_end371-_ZN7rocprim17ROCPRIM_400000_NS6detail17trampoline_kernelINS0_14default_configENS1_27upper_bound_config_selectorItiEEZNS1_14transform_implILb0ES3_S5_N6thrust23THRUST_200600_302600_NS6detail15normal_iteratorINS8_10device_ptrItEEEENSA_INSB_IiEEEEZNS1_13binary_searchIS3_S5_SD_SD_SF_NS1_21upper_bound_search_opENS9_16wrapped_functionINS0_4lessIvEEbEEEE10hipError_tPvRmT1_T2_T3_mmT4_T5_P12ihipStream_tbEUlRKtE_EESM_SQ_SR_mSS_SV_bEUlT_E_NS1_11comp_targetILNS1_3genE10ELNS1_11target_archE1201ELNS1_3gpuE5ELNS1_3repE0EEENS1_30default_config_static_selectorELNS0_4arch9wavefront6targetE1EEEvSP_
                                        ; -- End function
	.section	.AMDGPU.csdata,"",@progbits
; Kernel info:
; codeLenInByte = 0
; NumSgprs: 4
; NumVgprs: 0
; NumAgprs: 0
; TotalNumVgprs: 0
; ScratchSize: 0
; MemoryBound: 0
; FloatMode: 240
; IeeeMode: 1
; LDSByteSize: 0 bytes/workgroup (compile time only)
; SGPRBlocks: 0
; VGPRBlocks: 0
; NumSGPRsForWavesPerEU: 4
; NumVGPRsForWavesPerEU: 1
; AccumOffset: 4
; Occupancy: 8
; WaveLimiterHint : 0
; COMPUTE_PGM_RSRC2:SCRATCH_EN: 0
; COMPUTE_PGM_RSRC2:USER_SGPR: 6
; COMPUTE_PGM_RSRC2:TRAP_HANDLER: 0
; COMPUTE_PGM_RSRC2:TGID_X_EN: 1
; COMPUTE_PGM_RSRC2:TGID_Y_EN: 0
; COMPUTE_PGM_RSRC2:TGID_Z_EN: 0
; COMPUTE_PGM_RSRC2:TIDIG_COMP_CNT: 0
; COMPUTE_PGM_RSRC3_GFX90A:ACCUM_OFFSET: 0
; COMPUTE_PGM_RSRC3_GFX90A:TG_SPLIT: 0
	.section	.text._ZN7rocprim17ROCPRIM_400000_NS6detail17trampoline_kernelINS0_14default_configENS1_27upper_bound_config_selectorItiEEZNS1_14transform_implILb0ES3_S5_N6thrust23THRUST_200600_302600_NS6detail15normal_iteratorINS8_10device_ptrItEEEENSA_INSB_IiEEEEZNS1_13binary_searchIS3_S5_SD_SD_SF_NS1_21upper_bound_search_opENS9_16wrapped_functionINS0_4lessIvEEbEEEE10hipError_tPvRmT1_T2_T3_mmT4_T5_P12ihipStream_tbEUlRKtE_EESM_SQ_SR_mSS_SV_bEUlT_E_NS1_11comp_targetILNS1_3genE10ELNS1_11target_archE1200ELNS1_3gpuE4ELNS1_3repE0EEENS1_30default_config_static_selectorELNS0_4arch9wavefront6targetE1EEEvSP_,"axG",@progbits,_ZN7rocprim17ROCPRIM_400000_NS6detail17trampoline_kernelINS0_14default_configENS1_27upper_bound_config_selectorItiEEZNS1_14transform_implILb0ES3_S5_N6thrust23THRUST_200600_302600_NS6detail15normal_iteratorINS8_10device_ptrItEEEENSA_INSB_IiEEEEZNS1_13binary_searchIS3_S5_SD_SD_SF_NS1_21upper_bound_search_opENS9_16wrapped_functionINS0_4lessIvEEbEEEE10hipError_tPvRmT1_T2_T3_mmT4_T5_P12ihipStream_tbEUlRKtE_EESM_SQ_SR_mSS_SV_bEUlT_E_NS1_11comp_targetILNS1_3genE10ELNS1_11target_archE1200ELNS1_3gpuE4ELNS1_3repE0EEENS1_30default_config_static_selectorELNS0_4arch9wavefront6targetE1EEEvSP_,comdat
	.protected	_ZN7rocprim17ROCPRIM_400000_NS6detail17trampoline_kernelINS0_14default_configENS1_27upper_bound_config_selectorItiEEZNS1_14transform_implILb0ES3_S5_N6thrust23THRUST_200600_302600_NS6detail15normal_iteratorINS8_10device_ptrItEEEENSA_INSB_IiEEEEZNS1_13binary_searchIS3_S5_SD_SD_SF_NS1_21upper_bound_search_opENS9_16wrapped_functionINS0_4lessIvEEbEEEE10hipError_tPvRmT1_T2_T3_mmT4_T5_P12ihipStream_tbEUlRKtE_EESM_SQ_SR_mSS_SV_bEUlT_E_NS1_11comp_targetILNS1_3genE10ELNS1_11target_archE1200ELNS1_3gpuE4ELNS1_3repE0EEENS1_30default_config_static_selectorELNS0_4arch9wavefront6targetE1EEEvSP_ ; -- Begin function _ZN7rocprim17ROCPRIM_400000_NS6detail17trampoline_kernelINS0_14default_configENS1_27upper_bound_config_selectorItiEEZNS1_14transform_implILb0ES3_S5_N6thrust23THRUST_200600_302600_NS6detail15normal_iteratorINS8_10device_ptrItEEEENSA_INSB_IiEEEEZNS1_13binary_searchIS3_S5_SD_SD_SF_NS1_21upper_bound_search_opENS9_16wrapped_functionINS0_4lessIvEEbEEEE10hipError_tPvRmT1_T2_T3_mmT4_T5_P12ihipStream_tbEUlRKtE_EESM_SQ_SR_mSS_SV_bEUlT_E_NS1_11comp_targetILNS1_3genE10ELNS1_11target_archE1200ELNS1_3gpuE4ELNS1_3repE0EEENS1_30default_config_static_selectorELNS0_4arch9wavefront6targetE1EEEvSP_
	.globl	_ZN7rocprim17ROCPRIM_400000_NS6detail17trampoline_kernelINS0_14default_configENS1_27upper_bound_config_selectorItiEEZNS1_14transform_implILb0ES3_S5_N6thrust23THRUST_200600_302600_NS6detail15normal_iteratorINS8_10device_ptrItEEEENSA_INSB_IiEEEEZNS1_13binary_searchIS3_S5_SD_SD_SF_NS1_21upper_bound_search_opENS9_16wrapped_functionINS0_4lessIvEEbEEEE10hipError_tPvRmT1_T2_T3_mmT4_T5_P12ihipStream_tbEUlRKtE_EESM_SQ_SR_mSS_SV_bEUlT_E_NS1_11comp_targetILNS1_3genE10ELNS1_11target_archE1200ELNS1_3gpuE4ELNS1_3repE0EEENS1_30default_config_static_selectorELNS0_4arch9wavefront6targetE1EEEvSP_
	.p2align	8
	.type	_ZN7rocprim17ROCPRIM_400000_NS6detail17trampoline_kernelINS0_14default_configENS1_27upper_bound_config_selectorItiEEZNS1_14transform_implILb0ES3_S5_N6thrust23THRUST_200600_302600_NS6detail15normal_iteratorINS8_10device_ptrItEEEENSA_INSB_IiEEEEZNS1_13binary_searchIS3_S5_SD_SD_SF_NS1_21upper_bound_search_opENS9_16wrapped_functionINS0_4lessIvEEbEEEE10hipError_tPvRmT1_T2_T3_mmT4_T5_P12ihipStream_tbEUlRKtE_EESM_SQ_SR_mSS_SV_bEUlT_E_NS1_11comp_targetILNS1_3genE10ELNS1_11target_archE1200ELNS1_3gpuE4ELNS1_3repE0EEENS1_30default_config_static_selectorELNS0_4arch9wavefront6targetE1EEEvSP_,@function
_ZN7rocprim17ROCPRIM_400000_NS6detail17trampoline_kernelINS0_14default_configENS1_27upper_bound_config_selectorItiEEZNS1_14transform_implILb0ES3_S5_N6thrust23THRUST_200600_302600_NS6detail15normal_iteratorINS8_10device_ptrItEEEENSA_INSB_IiEEEEZNS1_13binary_searchIS3_S5_SD_SD_SF_NS1_21upper_bound_search_opENS9_16wrapped_functionINS0_4lessIvEEbEEEE10hipError_tPvRmT1_T2_T3_mmT4_T5_P12ihipStream_tbEUlRKtE_EESM_SQ_SR_mSS_SV_bEUlT_E_NS1_11comp_targetILNS1_3genE10ELNS1_11target_archE1200ELNS1_3gpuE4ELNS1_3repE0EEENS1_30default_config_static_selectorELNS0_4arch9wavefront6targetE1EEEvSP_: ; @_ZN7rocprim17ROCPRIM_400000_NS6detail17trampoline_kernelINS0_14default_configENS1_27upper_bound_config_selectorItiEEZNS1_14transform_implILb0ES3_S5_N6thrust23THRUST_200600_302600_NS6detail15normal_iteratorINS8_10device_ptrItEEEENSA_INSB_IiEEEEZNS1_13binary_searchIS3_S5_SD_SD_SF_NS1_21upper_bound_search_opENS9_16wrapped_functionINS0_4lessIvEEbEEEE10hipError_tPvRmT1_T2_T3_mmT4_T5_P12ihipStream_tbEUlRKtE_EESM_SQ_SR_mSS_SV_bEUlT_E_NS1_11comp_targetILNS1_3genE10ELNS1_11target_archE1200ELNS1_3gpuE4ELNS1_3repE0EEENS1_30default_config_static_selectorELNS0_4arch9wavefront6targetE1EEEvSP_
; %bb.0:
	.section	.rodata,"a",@progbits
	.p2align	6, 0x0
	.amdhsa_kernel _ZN7rocprim17ROCPRIM_400000_NS6detail17trampoline_kernelINS0_14default_configENS1_27upper_bound_config_selectorItiEEZNS1_14transform_implILb0ES3_S5_N6thrust23THRUST_200600_302600_NS6detail15normal_iteratorINS8_10device_ptrItEEEENSA_INSB_IiEEEEZNS1_13binary_searchIS3_S5_SD_SD_SF_NS1_21upper_bound_search_opENS9_16wrapped_functionINS0_4lessIvEEbEEEE10hipError_tPvRmT1_T2_T3_mmT4_T5_P12ihipStream_tbEUlRKtE_EESM_SQ_SR_mSS_SV_bEUlT_E_NS1_11comp_targetILNS1_3genE10ELNS1_11target_archE1200ELNS1_3gpuE4ELNS1_3repE0EEENS1_30default_config_static_selectorELNS0_4arch9wavefront6targetE1EEEvSP_
		.amdhsa_group_segment_fixed_size 0
		.amdhsa_private_segment_fixed_size 0
		.amdhsa_kernarg_size 56
		.amdhsa_user_sgpr_count 6
		.amdhsa_user_sgpr_private_segment_buffer 1
		.amdhsa_user_sgpr_dispatch_ptr 0
		.amdhsa_user_sgpr_queue_ptr 0
		.amdhsa_user_sgpr_kernarg_segment_ptr 1
		.amdhsa_user_sgpr_dispatch_id 0
		.amdhsa_user_sgpr_flat_scratch_init 0
		.amdhsa_user_sgpr_kernarg_preload_length 0
		.amdhsa_user_sgpr_kernarg_preload_offset 0
		.amdhsa_user_sgpr_private_segment_size 0
		.amdhsa_uses_dynamic_stack 0
		.amdhsa_system_sgpr_private_segment_wavefront_offset 0
		.amdhsa_system_sgpr_workgroup_id_x 1
		.amdhsa_system_sgpr_workgroup_id_y 0
		.amdhsa_system_sgpr_workgroup_id_z 0
		.amdhsa_system_sgpr_workgroup_info 0
		.amdhsa_system_vgpr_workitem_id 0
		.amdhsa_next_free_vgpr 1
		.amdhsa_next_free_sgpr 0
		.amdhsa_accum_offset 4
		.amdhsa_reserve_vcc 0
		.amdhsa_reserve_flat_scratch 0
		.amdhsa_float_round_mode_32 0
		.amdhsa_float_round_mode_16_64 0
		.amdhsa_float_denorm_mode_32 3
		.amdhsa_float_denorm_mode_16_64 3
		.amdhsa_dx10_clamp 1
		.amdhsa_ieee_mode 1
		.amdhsa_fp16_overflow 0
		.amdhsa_tg_split 0
		.amdhsa_exception_fp_ieee_invalid_op 0
		.amdhsa_exception_fp_denorm_src 0
		.amdhsa_exception_fp_ieee_div_zero 0
		.amdhsa_exception_fp_ieee_overflow 0
		.amdhsa_exception_fp_ieee_underflow 0
		.amdhsa_exception_fp_ieee_inexact 0
		.amdhsa_exception_int_div_zero 0
	.end_amdhsa_kernel
	.section	.text._ZN7rocprim17ROCPRIM_400000_NS6detail17trampoline_kernelINS0_14default_configENS1_27upper_bound_config_selectorItiEEZNS1_14transform_implILb0ES3_S5_N6thrust23THRUST_200600_302600_NS6detail15normal_iteratorINS8_10device_ptrItEEEENSA_INSB_IiEEEEZNS1_13binary_searchIS3_S5_SD_SD_SF_NS1_21upper_bound_search_opENS9_16wrapped_functionINS0_4lessIvEEbEEEE10hipError_tPvRmT1_T2_T3_mmT4_T5_P12ihipStream_tbEUlRKtE_EESM_SQ_SR_mSS_SV_bEUlT_E_NS1_11comp_targetILNS1_3genE10ELNS1_11target_archE1200ELNS1_3gpuE4ELNS1_3repE0EEENS1_30default_config_static_selectorELNS0_4arch9wavefront6targetE1EEEvSP_,"axG",@progbits,_ZN7rocprim17ROCPRIM_400000_NS6detail17trampoline_kernelINS0_14default_configENS1_27upper_bound_config_selectorItiEEZNS1_14transform_implILb0ES3_S5_N6thrust23THRUST_200600_302600_NS6detail15normal_iteratorINS8_10device_ptrItEEEENSA_INSB_IiEEEEZNS1_13binary_searchIS3_S5_SD_SD_SF_NS1_21upper_bound_search_opENS9_16wrapped_functionINS0_4lessIvEEbEEEE10hipError_tPvRmT1_T2_T3_mmT4_T5_P12ihipStream_tbEUlRKtE_EESM_SQ_SR_mSS_SV_bEUlT_E_NS1_11comp_targetILNS1_3genE10ELNS1_11target_archE1200ELNS1_3gpuE4ELNS1_3repE0EEENS1_30default_config_static_selectorELNS0_4arch9wavefront6targetE1EEEvSP_,comdat
.Lfunc_end372:
	.size	_ZN7rocprim17ROCPRIM_400000_NS6detail17trampoline_kernelINS0_14default_configENS1_27upper_bound_config_selectorItiEEZNS1_14transform_implILb0ES3_S5_N6thrust23THRUST_200600_302600_NS6detail15normal_iteratorINS8_10device_ptrItEEEENSA_INSB_IiEEEEZNS1_13binary_searchIS3_S5_SD_SD_SF_NS1_21upper_bound_search_opENS9_16wrapped_functionINS0_4lessIvEEbEEEE10hipError_tPvRmT1_T2_T3_mmT4_T5_P12ihipStream_tbEUlRKtE_EESM_SQ_SR_mSS_SV_bEUlT_E_NS1_11comp_targetILNS1_3genE10ELNS1_11target_archE1200ELNS1_3gpuE4ELNS1_3repE0EEENS1_30default_config_static_selectorELNS0_4arch9wavefront6targetE1EEEvSP_, .Lfunc_end372-_ZN7rocprim17ROCPRIM_400000_NS6detail17trampoline_kernelINS0_14default_configENS1_27upper_bound_config_selectorItiEEZNS1_14transform_implILb0ES3_S5_N6thrust23THRUST_200600_302600_NS6detail15normal_iteratorINS8_10device_ptrItEEEENSA_INSB_IiEEEEZNS1_13binary_searchIS3_S5_SD_SD_SF_NS1_21upper_bound_search_opENS9_16wrapped_functionINS0_4lessIvEEbEEEE10hipError_tPvRmT1_T2_T3_mmT4_T5_P12ihipStream_tbEUlRKtE_EESM_SQ_SR_mSS_SV_bEUlT_E_NS1_11comp_targetILNS1_3genE10ELNS1_11target_archE1200ELNS1_3gpuE4ELNS1_3repE0EEENS1_30default_config_static_selectorELNS0_4arch9wavefront6targetE1EEEvSP_
                                        ; -- End function
	.section	.AMDGPU.csdata,"",@progbits
; Kernel info:
; codeLenInByte = 0
; NumSgprs: 4
; NumVgprs: 0
; NumAgprs: 0
; TotalNumVgprs: 0
; ScratchSize: 0
; MemoryBound: 0
; FloatMode: 240
; IeeeMode: 1
; LDSByteSize: 0 bytes/workgroup (compile time only)
; SGPRBlocks: 0
; VGPRBlocks: 0
; NumSGPRsForWavesPerEU: 4
; NumVGPRsForWavesPerEU: 1
; AccumOffset: 4
; Occupancy: 8
; WaveLimiterHint : 0
; COMPUTE_PGM_RSRC2:SCRATCH_EN: 0
; COMPUTE_PGM_RSRC2:USER_SGPR: 6
; COMPUTE_PGM_RSRC2:TRAP_HANDLER: 0
; COMPUTE_PGM_RSRC2:TGID_X_EN: 1
; COMPUTE_PGM_RSRC2:TGID_Y_EN: 0
; COMPUTE_PGM_RSRC2:TGID_Z_EN: 0
; COMPUTE_PGM_RSRC2:TIDIG_COMP_CNT: 0
; COMPUTE_PGM_RSRC3_GFX90A:ACCUM_OFFSET: 0
; COMPUTE_PGM_RSRC3_GFX90A:TG_SPLIT: 0
	.section	.text._ZN7rocprim17ROCPRIM_400000_NS6detail17trampoline_kernelINS0_14default_configENS1_27upper_bound_config_selectorItiEEZNS1_14transform_implILb0ES3_S5_N6thrust23THRUST_200600_302600_NS6detail15normal_iteratorINS8_10device_ptrItEEEENSA_INSB_IiEEEEZNS1_13binary_searchIS3_S5_SD_SD_SF_NS1_21upper_bound_search_opENS9_16wrapped_functionINS0_4lessIvEEbEEEE10hipError_tPvRmT1_T2_T3_mmT4_T5_P12ihipStream_tbEUlRKtE_EESM_SQ_SR_mSS_SV_bEUlT_E_NS1_11comp_targetILNS1_3genE9ELNS1_11target_archE1100ELNS1_3gpuE3ELNS1_3repE0EEENS1_30default_config_static_selectorELNS0_4arch9wavefront6targetE1EEEvSP_,"axG",@progbits,_ZN7rocprim17ROCPRIM_400000_NS6detail17trampoline_kernelINS0_14default_configENS1_27upper_bound_config_selectorItiEEZNS1_14transform_implILb0ES3_S5_N6thrust23THRUST_200600_302600_NS6detail15normal_iteratorINS8_10device_ptrItEEEENSA_INSB_IiEEEEZNS1_13binary_searchIS3_S5_SD_SD_SF_NS1_21upper_bound_search_opENS9_16wrapped_functionINS0_4lessIvEEbEEEE10hipError_tPvRmT1_T2_T3_mmT4_T5_P12ihipStream_tbEUlRKtE_EESM_SQ_SR_mSS_SV_bEUlT_E_NS1_11comp_targetILNS1_3genE9ELNS1_11target_archE1100ELNS1_3gpuE3ELNS1_3repE0EEENS1_30default_config_static_selectorELNS0_4arch9wavefront6targetE1EEEvSP_,comdat
	.protected	_ZN7rocprim17ROCPRIM_400000_NS6detail17trampoline_kernelINS0_14default_configENS1_27upper_bound_config_selectorItiEEZNS1_14transform_implILb0ES3_S5_N6thrust23THRUST_200600_302600_NS6detail15normal_iteratorINS8_10device_ptrItEEEENSA_INSB_IiEEEEZNS1_13binary_searchIS3_S5_SD_SD_SF_NS1_21upper_bound_search_opENS9_16wrapped_functionINS0_4lessIvEEbEEEE10hipError_tPvRmT1_T2_T3_mmT4_T5_P12ihipStream_tbEUlRKtE_EESM_SQ_SR_mSS_SV_bEUlT_E_NS1_11comp_targetILNS1_3genE9ELNS1_11target_archE1100ELNS1_3gpuE3ELNS1_3repE0EEENS1_30default_config_static_selectorELNS0_4arch9wavefront6targetE1EEEvSP_ ; -- Begin function _ZN7rocprim17ROCPRIM_400000_NS6detail17trampoline_kernelINS0_14default_configENS1_27upper_bound_config_selectorItiEEZNS1_14transform_implILb0ES3_S5_N6thrust23THRUST_200600_302600_NS6detail15normal_iteratorINS8_10device_ptrItEEEENSA_INSB_IiEEEEZNS1_13binary_searchIS3_S5_SD_SD_SF_NS1_21upper_bound_search_opENS9_16wrapped_functionINS0_4lessIvEEbEEEE10hipError_tPvRmT1_T2_T3_mmT4_T5_P12ihipStream_tbEUlRKtE_EESM_SQ_SR_mSS_SV_bEUlT_E_NS1_11comp_targetILNS1_3genE9ELNS1_11target_archE1100ELNS1_3gpuE3ELNS1_3repE0EEENS1_30default_config_static_selectorELNS0_4arch9wavefront6targetE1EEEvSP_
	.globl	_ZN7rocprim17ROCPRIM_400000_NS6detail17trampoline_kernelINS0_14default_configENS1_27upper_bound_config_selectorItiEEZNS1_14transform_implILb0ES3_S5_N6thrust23THRUST_200600_302600_NS6detail15normal_iteratorINS8_10device_ptrItEEEENSA_INSB_IiEEEEZNS1_13binary_searchIS3_S5_SD_SD_SF_NS1_21upper_bound_search_opENS9_16wrapped_functionINS0_4lessIvEEbEEEE10hipError_tPvRmT1_T2_T3_mmT4_T5_P12ihipStream_tbEUlRKtE_EESM_SQ_SR_mSS_SV_bEUlT_E_NS1_11comp_targetILNS1_3genE9ELNS1_11target_archE1100ELNS1_3gpuE3ELNS1_3repE0EEENS1_30default_config_static_selectorELNS0_4arch9wavefront6targetE1EEEvSP_
	.p2align	8
	.type	_ZN7rocprim17ROCPRIM_400000_NS6detail17trampoline_kernelINS0_14default_configENS1_27upper_bound_config_selectorItiEEZNS1_14transform_implILb0ES3_S5_N6thrust23THRUST_200600_302600_NS6detail15normal_iteratorINS8_10device_ptrItEEEENSA_INSB_IiEEEEZNS1_13binary_searchIS3_S5_SD_SD_SF_NS1_21upper_bound_search_opENS9_16wrapped_functionINS0_4lessIvEEbEEEE10hipError_tPvRmT1_T2_T3_mmT4_T5_P12ihipStream_tbEUlRKtE_EESM_SQ_SR_mSS_SV_bEUlT_E_NS1_11comp_targetILNS1_3genE9ELNS1_11target_archE1100ELNS1_3gpuE3ELNS1_3repE0EEENS1_30default_config_static_selectorELNS0_4arch9wavefront6targetE1EEEvSP_,@function
_ZN7rocprim17ROCPRIM_400000_NS6detail17trampoline_kernelINS0_14default_configENS1_27upper_bound_config_selectorItiEEZNS1_14transform_implILb0ES3_S5_N6thrust23THRUST_200600_302600_NS6detail15normal_iteratorINS8_10device_ptrItEEEENSA_INSB_IiEEEEZNS1_13binary_searchIS3_S5_SD_SD_SF_NS1_21upper_bound_search_opENS9_16wrapped_functionINS0_4lessIvEEbEEEE10hipError_tPvRmT1_T2_T3_mmT4_T5_P12ihipStream_tbEUlRKtE_EESM_SQ_SR_mSS_SV_bEUlT_E_NS1_11comp_targetILNS1_3genE9ELNS1_11target_archE1100ELNS1_3gpuE3ELNS1_3repE0EEENS1_30default_config_static_selectorELNS0_4arch9wavefront6targetE1EEEvSP_: ; @_ZN7rocprim17ROCPRIM_400000_NS6detail17trampoline_kernelINS0_14default_configENS1_27upper_bound_config_selectorItiEEZNS1_14transform_implILb0ES3_S5_N6thrust23THRUST_200600_302600_NS6detail15normal_iteratorINS8_10device_ptrItEEEENSA_INSB_IiEEEEZNS1_13binary_searchIS3_S5_SD_SD_SF_NS1_21upper_bound_search_opENS9_16wrapped_functionINS0_4lessIvEEbEEEE10hipError_tPvRmT1_T2_T3_mmT4_T5_P12ihipStream_tbEUlRKtE_EESM_SQ_SR_mSS_SV_bEUlT_E_NS1_11comp_targetILNS1_3genE9ELNS1_11target_archE1100ELNS1_3gpuE3ELNS1_3repE0EEENS1_30default_config_static_selectorELNS0_4arch9wavefront6targetE1EEEvSP_
; %bb.0:
	.section	.rodata,"a",@progbits
	.p2align	6, 0x0
	.amdhsa_kernel _ZN7rocprim17ROCPRIM_400000_NS6detail17trampoline_kernelINS0_14default_configENS1_27upper_bound_config_selectorItiEEZNS1_14transform_implILb0ES3_S5_N6thrust23THRUST_200600_302600_NS6detail15normal_iteratorINS8_10device_ptrItEEEENSA_INSB_IiEEEEZNS1_13binary_searchIS3_S5_SD_SD_SF_NS1_21upper_bound_search_opENS9_16wrapped_functionINS0_4lessIvEEbEEEE10hipError_tPvRmT1_T2_T3_mmT4_T5_P12ihipStream_tbEUlRKtE_EESM_SQ_SR_mSS_SV_bEUlT_E_NS1_11comp_targetILNS1_3genE9ELNS1_11target_archE1100ELNS1_3gpuE3ELNS1_3repE0EEENS1_30default_config_static_selectorELNS0_4arch9wavefront6targetE1EEEvSP_
		.amdhsa_group_segment_fixed_size 0
		.amdhsa_private_segment_fixed_size 0
		.amdhsa_kernarg_size 56
		.amdhsa_user_sgpr_count 6
		.amdhsa_user_sgpr_private_segment_buffer 1
		.amdhsa_user_sgpr_dispatch_ptr 0
		.amdhsa_user_sgpr_queue_ptr 0
		.amdhsa_user_sgpr_kernarg_segment_ptr 1
		.amdhsa_user_sgpr_dispatch_id 0
		.amdhsa_user_sgpr_flat_scratch_init 0
		.amdhsa_user_sgpr_kernarg_preload_length 0
		.amdhsa_user_sgpr_kernarg_preload_offset 0
		.amdhsa_user_sgpr_private_segment_size 0
		.amdhsa_uses_dynamic_stack 0
		.amdhsa_system_sgpr_private_segment_wavefront_offset 0
		.amdhsa_system_sgpr_workgroup_id_x 1
		.amdhsa_system_sgpr_workgroup_id_y 0
		.amdhsa_system_sgpr_workgroup_id_z 0
		.amdhsa_system_sgpr_workgroup_info 0
		.amdhsa_system_vgpr_workitem_id 0
		.amdhsa_next_free_vgpr 1
		.amdhsa_next_free_sgpr 0
		.amdhsa_accum_offset 4
		.amdhsa_reserve_vcc 0
		.amdhsa_reserve_flat_scratch 0
		.amdhsa_float_round_mode_32 0
		.amdhsa_float_round_mode_16_64 0
		.amdhsa_float_denorm_mode_32 3
		.amdhsa_float_denorm_mode_16_64 3
		.amdhsa_dx10_clamp 1
		.amdhsa_ieee_mode 1
		.amdhsa_fp16_overflow 0
		.amdhsa_tg_split 0
		.amdhsa_exception_fp_ieee_invalid_op 0
		.amdhsa_exception_fp_denorm_src 0
		.amdhsa_exception_fp_ieee_div_zero 0
		.amdhsa_exception_fp_ieee_overflow 0
		.amdhsa_exception_fp_ieee_underflow 0
		.amdhsa_exception_fp_ieee_inexact 0
		.amdhsa_exception_int_div_zero 0
	.end_amdhsa_kernel
	.section	.text._ZN7rocprim17ROCPRIM_400000_NS6detail17trampoline_kernelINS0_14default_configENS1_27upper_bound_config_selectorItiEEZNS1_14transform_implILb0ES3_S5_N6thrust23THRUST_200600_302600_NS6detail15normal_iteratorINS8_10device_ptrItEEEENSA_INSB_IiEEEEZNS1_13binary_searchIS3_S5_SD_SD_SF_NS1_21upper_bound_search_opENS9_16wrapped_functionINS0_4lessIvEEbEEEE10hipError_tPvRmT1_T2_T3_mmT4_T5_P12ihipStream_tbEUlRKtE_EESM_SQ_SR_mSS_SV_bEUlT_E_NS1_11comp_targetILNS1_3genE9ELNS1_11target_archE1100ELNS1_3gpuE3ELNS1_3repE0EEENS1_30default_config_static_selectorELNS0_4arch9wavefront6targetE1EEEvSP_,"axG",@progbits,_ZN7rocprim17ROCPRIM_400000_NS6detail17trampoline_kernelINS0_14default_configENS1_27upper_bound_config_selectorItiEEZNS1_14transform_implILb0ES3_S5_N6thrust23THRUST_200600_302600_NS6detail15normal_iteratorINS8_10device_ptrItEEEENSA_INSB_IiEEEEZNS1_13binary_searchIS3_S5_SD_SD_SF_NS1_21upper_bound_search_opENS9_16wrapped_functionINS0_4lessIvEEbEEEE10hipError_tPvRmT1_T2_T3_mmT4_T5_P12ihipStream_tbEUlRKtE_EESM_SQ_SR_mSS_SV_bEUlT_E_NS1_11comp_targetILNS1_3genE9ELNS1_11target_archE1100ELNS1_3gpuE3ELNS1_3repE0EEENS1_30default_config_static_selectorELNS0_4arch9wavefront6targetE1EEEvSP_,comdat
.Lfunc_end373:
	.size	_ZN7rocprim17ROCPRIM_400000_NS6detail17trampoline_kernelINS0_14default_configENS1_27upper_bound_config_selectorItiEEZNS1_14transform_implILb0ES3_S5_N6thrust23THRUST_200600_302600_NS6detail15normal_iteratorINS8_10device_ptrItEEEENSA_INSB_IiEEEEZNS1_13binary_searchIS3_S5_SD_SD_SF_NS1_21upper_bound_search_opENS9_16wrapped_functionINS0_4lessIvEEbEEEE10hipError_tPvRmT1_T2_T3_mmT4_T5_P12ihipStream_tbEUlRKtE_EESM_SQ_SR_mSS_SV_bEUlT_E_NS1_11comp_targetILNS1_3genE9ELNS1_11target_archE1100ELNS1_3gpuE3ELNS1_3repE0EEENS1_30default_config_static_selectorELNS0_4arch9wavefront6targetE1EEEvSP_, .Lfunc_end373-_ZN7rocprim17ROCPRIM_400000_NS6detail17trampoline_kernelINS0_14default_configENS1_27upper_bound_config_selectorItiEEZNS1_14transform_implILb0ES3_S5_N6thrust23THRUST_200600_302600_NS6detail15normal_iteratorINS8_10device_ptrItEEEENSA_INSB_IiEEEEZNS1_13binary_searchIS3_S5_SD_SD_SF_NS1_21upper_bound_search_opENS9_16wrapped_functionINS0_4lessIvEEbEEEE10hipError_tPvRmT1_T2_T3_mmT4_T5_P12ihipStream_tbEUlRKtE_EESM_SQ_SR_mSS_SV_bEUlT_E_NS1_11comp_targetILNS1_3genE9ELNS1_11target_archE1100ELNS1_3gpuE3ELNS1_3repE0EEENS1_30default_config_static_selectorELNS0_4arch9wavefront6targetE1EEEvSP_
                                        ; -- End function
	.section	.AMDGPU.csdata,"",@progbits
; Kernel info:
; codeLenInByte = 0
; NumSgprs: 4
; NumVgprs: 0
; NumAgprs: 0
; TotalNumVgprs: 0
; ScratchSize: 0
; MemoryBound: 0
; FloatMode: 240
; IeeeMode: 1
; LDSByteSize: 0 bytes/workgroup (compile time only)
; SGPRBlocks: 0
; VGPRBlocks: 0
; NumSGPRsForWavesPerEU: 4
; NumVGPRsForWavesPerEU: 1
; AccumOffset: 4
; Occupancy: 8
; WaveLimiterHint : 0
; COMPUTE_PGM_RSRC2:SCRATCH_EN: 0
; COMPUTE_PGM_RSRC2:USER_SGPR: 6
; COMPUTE_PGM_RSRC2:TRAP_HANDLER: 0
; COMPUTE_PGM_RSRC2:TGID_X_EN: 1
; COMPUTE_PGM_RSRC2:TGID_Y_EN: 0
; COMPUTE_PGM_RSRC2:TGID_Z_EN: 0
; COMPUTE_PGM_RSRC2:TIDIG_COMP_CNT: 0
; COMPUTE_PGM_RSRC3_GFX90A:ACCUM_OFFSET: 0
; COMPUTE_PGM_RSRC3_GFX90A:TG_SPLIT: 0
	.section	.text._ZN7rocprim17ROCPRIM_400000_NS6detail17trampoline_kernelINS0_14default_configENS1_27upper_bound_config_selectorItiEEZNS1_14transform_implILb0ES3_S5_N6thrust23THRUST_200600_302600_NS6detail15normal_iteratorINS8_10device_ptrItEEEENSA_INSB_IiEEEEZNS1_13binary_searchIS3_S5_SD_SD_SF_NS1_21upper_bound_search_opENS9_16wrapped_functionINS0_4lessIvEEbEEEE10hipError_tPvRmT1_T2_T3_mmT4_T5_P12ihipStream_tbEUlRKtE_EESM_SQ_SR_mSS_SV_bEUlT_E_NS1_11comp_targetILNS1_3genE8ELNS1_11target_archE1030ELNS1_3gpuE2ELNS1_3repE0EEENS1_30default_config_static_selectorELNS0_4arch9wavefront6targetE1EEEvSP_,"axG",@progbits,_ZN7rocprim17ROCPRIM_400000_NS6detail17trampoline_kernelINS0_14default_configENS1_27upper_bound_config_selectorItiEEZNS1_14transform_implILb0ES3_S5_N6thrust23THRUST_200600_302600_NS6detail15normal_iteratorINS8_10device_ptrItEEEENSA_INSB_IiEEEEZNS1_13binary_searchIS3_S5_SD_SD_SF_NS1_21upper_bound_search_opENS9_16wrapped_functionINS0_4lessIvEEbEEEE10hipError_tPvRmT1_T2_T3_mmT4_T5_P12ihipStream_tbEUlRKtE_EESM_SQ_SR_mSS_SV_bEUlT_E_NS1_11comp_targetILNS1_3genE8ELNS1_11target_archE1030ELNS1_3gpuE2ELNS1_3repE0EEENS1_30default_config_static_selectorELNS0_4arch9wavefront6targetE1EEEvSP_,comdat
	.protected	_ZN7rocprim17ROCPRIM_400000_NS6detail17trampoline_kernelINS0_14default_configENS1_27upper_bound_config_selectorItiEEZNS1_14transform_implILb0ES3_S5_N6thrust23THRUST_200600_302600_NS6detail15normal_iteratorINS8_10device_ptrItEEEENSA_INSB_IiEEEEZNS1_13binary_searchIS3_S5_SD_SD_SF_NS1_21upper_bound_search_opENS9_16wrapped_functionINS0_4lessIvEEbEEEE10hipError_tPvRmT1_T2_T3_mmT4_T5_P12ihipStream_tbEUlRKtE_EESM_SQ_SR_mSS_SV_bEUlT_E_NS1_11comp_targetILNS1_3genE8ELNS1_11target_archE1030ELNS1_3gpuE2ELNS1_3repE0EEENS1_30default_config_static_selectorELNS0_4arch9wavefront6targetE1EEEvSP_ ; -- Begin function _ZN7rocprim17ROCPRIM_400000_NS6detail17trampoline_kernelINS0_14default_configENS1_27upper_bound_config_selectorItiEEZNS1_14transform_implILb0ES3_S5_N6thrust23THRUST_200600_302600_NS6detail15normal_iteratorINS8_10device_ptrItEEEENSA_INSB_IiEEEEZNS1_13binary_searchIS3_S5_SD_SD_SF_NS1_21upper_bound_search_opENS9_16wrapped_functionINS0_4lessIvEEbEEEE10hipError_tPvRmT1_T2_T3_mmT4_T5_P12ihipStream_tbEUlRKtE_EESM_SQ_SR_mSS_SV_bEUlT_E_NS1_11comp_targetILNS1_3genE8ELNS1_11target_archE1030ELNS1_3gpuE2ELNS1_3repE0EEENS1_30default_config_static_selectorELNS0_4arch9wavefront6targetE1EEEvSP_
	.globl	_ZN7rocprim17ROCPRIM_400000_NS6detail17trampoline_kernelINS0_14default_configENS1_27upper_bound_config_selectorItiEEZNS1_14transform_implILb0ES3_S5_N6thrust23THRUST_200600_302600_NS6detail15normal_iteratorINS8_10device_ptrItEEEENSA_INSB_IiEEEEZNS1_13binary_searchIS3_S5_SD_SD_SF_NS1_21upper_bound_search_opENS9_16wrapped_functionINS0_4lessIvEEbEEEE10hipError_tPvRmT1_T2_T3_mmT4_T5_P12ihipStream_tbEUlRKtE_EESM_SQ_SR_mSS_SV_bEUlT_E_NS1_11comp_targetILNS1_3genE8ELNS1_11target_archE1030ELNS1_3gpuE2ELNS1_3repE0EEENS1_30default_config_static_selectorELNS0_4arch9wavefront6targetE1EEEvSP_
	.p2align	8
	.type	_ZN7rocprim17ROCPRIM_400000_NS6detail17trampoline_kernelINS0_14default_configENS1_27upper_bound_config_selectorItiEEZNS1_14transform_implILb0ES3_S5_N6thrust23THRUST_200600_302600_NS6detail15normal_iteratorINS8_10device_ptrItEEEENSA_INSB_IiEEEEZNS1_13binary_searchIS3_S5_SD_SD_SF_NS1_21upper_bound_search_opENS9_16wrapped_functionINS0_4lessIvEEbEEEE10hipError_tPvRmT1_T2_T3_mmT4_T5_P12ihipStream_tbEUlRKtE_EESM_SQ_SR_mSS_SV_bEUlT_E_NS1_11comp_targetILNS1_3genE8ELNS1_11target_archE1030ELNS1_3gpuE2ELNS1_3repE0EEENS1_30default_config_static_selectorELNS0_4arch9wavefront6targetE1EEEvSP_,@function
_ZN7rocprim17ROCPRIM_400000_NS6detail17trampoline_kernelINS0_14default_configENS1_27upper_bound_config_selectorItiEEZNS1_14transform_implILb0ES3_S5_N6thrust23THRUST_200600_302600_NS6detail15normal_iteratorINS8_10device_ptrItEEEENSA_INSB_IiEEEEZNS1_13binary_searchIS3_S5_SD_SD_SF_NS1_21upper_bound_search_opENS9_16wrapped_functionINS0_4lessIvEEbEEEE10hipError_tPvRmT1_T2_T3_mmT4_T5_P12ihipStream_tbEUlRKtE_EESM_SQ_SR_mSS_SV_bEUlT_E_NS1_11comp_targetILNS1_3genE8ELNS1_11target_archE1030ELNS1_3gpuE2ELNS1_3repE0EEENS1_30default_config_static_selectorELNS0_4arch9wavefront6targetE1EEEvSP_: ; @_ZN7rocprim17ROCPRIM_400000_NS6detail17trampoline_kernelINS0_14default_configENS1_27upper_bound_config_selectorItiEEZNS1_14transform_implILb0ES3_S5_N6thrust23THRUST_200600_302600_NS6detail15normal_iteratorINS8_10device_ptrItEEEENSA_INSB_IiEEEEZNS1_13binary_searchIS3_S5_SD_SD_SF_NS1_21upper_bound_search_opENS9_16wrapped_functionINS0_4lessIvEEbEEEE10hipError_tPvRmT1_T2_T3_mmT4_T5_P12ihipStream_tbEUlRKtE_EESM_SQ_SR_mSS_SV_bEUlT_E_NS1_11comp_targetILNS1_3genE8ELNS1_11target_archE1030ELNS1_3gpuE2ELNS1_3repE0EEENS1_30default_config_static_selectorELNS0_4arch9wavefront6targetE1EEEvSP_
; %bb.0:
	.section	.rodata,"a",@progbits
	.p2align	6, 0x0
	.amdhsa_kernel _ZN7rocprim17ROCPRIM_400000_NS6detail17trampoline_kernelINS0_14default_configENS1_27upper_bound_config_selectorItiEEZNS1_14transform_implILb0ES3_S5_N6thrust23THRUST_200600_302600_NS6detail15normal_iteratorINS8_10device_ptrItEEEENSA_INSB_IiEEEEZNS1_13binary_searchIS3_S5_SD_SD_SF_NS1_21upper_bound_search_opENS9_16wrapped_functionINS0_4lessIvEEbEEEE10hipError_tPvRmT1_T2_T3_mmT4_T5_P12ihipStream_tbEUlRKtE_EESM_SQ_SR_mSS_SV_bEUlT_E_NS1_11comp_targetILNS1_3genE8ELNS1_11target_archE1030ELNS1_3gpuE2ELNS1_3repE0EEENS1_30default_config_static_selectorELNS0_4arch9wavefront6targetE1EEEvSP_
		.amdhsa_group_segment_fixed_size 0
		.amdhsa_private_segment_fixed_size 0
		.amdhsa_kernarg_size 56
		.amdhsa_user_sgpr_count 6
		.amdhsa_user_sgpr_private_segment_buffer 1
		.amdhsa_user_sgpr_dispatch_ptr 0
		.amdhsa_user_sgpr_queue_ptr 0
		.amdhsa_user_sgpr_kernarg_segment_ptr 1
		.amdhsa_user_sgpr_dispatch_id 0
		.amdhsa_user_sgpr_flat_scratch_init 0
		.amdhsa_user_sgpr_kernarg_preload_length 0
		.amdhsa_user_sgpr_kernarg_preload_offset 0
		.amdhsa_user_sgpr_private_segment_size 0
		.amdhsa_uses_dynamic_stack 0
		.amdhsa_system_sgpr_private_segment_wavefront_offset 0
		.amdhsa_system_sgpr_workgroup_id_x 1
		.amdhsa_system_sgpr_workgroup_id_y 0
		.amdhsa_system_sgpr_workgroup_id_z 0
		.amdhsa_system_sgpr_workgroup_info 0
		.amdhsa_system_vgpr_workitem_id 0
		.amdhsa_next_free_vgpr 1
		.amdhsa_next_free_sgpr 0
		.amdhsa_accum_offset 4
		.amdhsa_reserve_vcc 0
		.amdhsa_reserve_flat_scratch 0
		.amdhsa_float_round_mode_32 0
		.amdhsa_float_round_mode_16_64 0
		.amdhsa_float_denorm_mode_32 3
		.amdhsa_float_denorm_mode_16_64 3
		.amdhsa_dx10_clamp 1
		.amdhsa_ieee_mode 1
		.amdhsa_fp16_overflow 0
		.amdhsa_tg_split 0
		.amdhsa_exception_fp_ieee_invalid_op 0
		.amdhsa_exception_fp_denorm_src 0
		.amdhsa_exception_fp_ieee_div_zero 0
		.amdhsa_exception_fp_ieee_overflow 0
		.amdhsa_exception_fp_ieee_underflow 0
		.amdhsa_exception_fp_ieee_inexact 0
		.amdhsa_exception_int_div_zero 0
	.end_amdhsa_kernel
	.section	.text._ZN7rocprim17ROCPRIM_400000_NS6detail17trampoline_kernelINS0_14default_configENS1_27upper_bound_config_selectorItiEEZNS1_14transform_implILb0ES3_S5_N6thrust23THRUST_200600_302600_NS6detail15normal_iteratorINS8_10device_ptrItEEEENSA_INSB_IiEEEEZNS1_13binary_searchIS3_S5_SD_SD_SF_NS1_21upper_bound_search_opENS9_16wrapped_functionINS0_4lessIvEEbEEEE10hipError_tPvRmT1_T2_T3_mmT4_T5_P12ihipStream_tbEUlRKtE_EESM_SQ_SR_mSS_SV_bEUlT_E_NS1_11comp_targetILNS1_3genE8ELNS1_11target_archE1030ELNS1_3gpuE2ELNS1_3repE0EEENS1_30default_config_static_selectorELNS0_4arch9wavefront6targetE1EEEvSP_,"axG",@progbits,_ZN7rocprim17ROCPRIM_400000_NS6detail17trampoline_kernelINS0_14default_configENS1_27upper_bound_config_selectorItiEEZNS1_14transform_implILb0ES3_S5_N6thrust23THRUST_200600_302600_NS6detail15normal_iteratorINS8_10device_ptrItEEEENSA_INSB_IiEEEEZNS1_13binary_searchIS3_S5_SD_SD_SF_NS1_21upper_bound_search_opENS9_16wrapped_functionINS0_4lessIvEEbEEEE10hipError_tPvRmT1_T2_T3_mmT4_T5_P12ihipStream_tbEUlRKtE_EESM_SQ_SR_mSS_SV_bEUlT_E_NS1_11comp_targetILNS1_3genE8ELNS1_11target_archE1030ELNS1_3gpuE2ELNS1_3repE0EEENS1_30default_config_static_selectorELNS0_4arch9wavefront6targetE1EEEvSP_,comdat
.Lfunc_end374:
	.size	_ZN7rocprim17ROCPRIM_400000_NS6detail17trampoline_kernelINS0_14default_configENS1_27upper_bound_config_selectorItiEEZNS1_14transform_implILb0ES3_S5_N6thrust23THRUST_200600_302600_NS6detail15normal_iteratorINS8_10device_ptrItEEEENSA_INSB_IiEEEEZNS1_13binary_searchIS3_S5_SD_SD_SF_NS1_21upper_bound_search_opENS9_16wrapped_functionINS0_4lessIvEEbEEEE10hipError_tPvRmT1_T2_T3_mmT4_T5_P12ihipStream_tbEUlRKtE_EESM_SQ_SR_mSS_SV_bEUlT_E_NS1_11comp_targetILNS1_3genE8ELNS1_11target_archE1030ELNS1_3gpuE2ELNS1_3repE0EEENS1_30default_config_static_selectorELNS0_4arch9wavefront6targetE1EEEvSP_, .Lfunc_end374-_ZN7rocprim17ROCPRIM_400000_NS6detail17trampoline_kernelINS0_14default_configENS1_27upper_bound_config_selectorItiEEZNS1_14transform_implILb0ES3_S5_N6thrust23THRUST_200600_302600_NS6detail15normal_iteratorINS8_10device_ptrItEEEENSA_INSB_IiEEEEZNS1_13binary_searchIS3_S5_SD_SD_SF_NS1_21upper_bound_search_opENS9_16wrapped_functionINS0_4lessIvEEbEEEE10hipError_tPvRmT1_T2_T3_mmT4_T5_P12ihipStream_tbEUlRKtE_EESM_SQ_SR_mSS_SV_bEUlT_E_NS1_11comp_targetILNS1_3genE8ELNS1_11target_archE1030ELNS1_3gpuE2ELNS1_3repE0EEENS1_30default_config_static_selectorELNS0_4arch9wavefront6targetE1EEEvSP_
                                        ; -- End function
	.section	.AMDGPU.csdata,"",@progbits
; Kernel info:
; codeLenInByte = 0
; NumSgprs: 4
; NumVgprs: 0
; NumAgprs: 0
; TotalNumVgprs: 0
; ScratchSize: 0
; MemoryBound: 0
; FloatMode: 240
; IeeeMode: 1
; LDSByteSize: 0 bytes/workgroup (compile time only)
; SGPRBlocks: 0
; VGPRBlocks: 0
; NumSGPRsForWavesPerEU: 4
; NumVGPRsForWavesPerEU: 1
; AccumOffset: 4
; Occupancy: 8
; WaveLimiterHint : 0
; COMPUTE_PGM_RSRC2:SCRATCH_EN: 0
; COMPUTE_PGM_RSRC2:USER_SGPR: 6
; COMPUTE_PGM_RSRC2:TRAP_HANDLER: 0
; COMPUTE_PGM_RSRC2:TGID_X_EN: 1
; COMPUTE_PGM_RSRC2:TGID_Y_EN: 0
; COMPUTE_PGM_RSRC2:TGID_Z_EN: 0
; COMPUTE_PGM_RSRC2:TIDIG_COMP_CNT: 0
; COMPUTE_PGM_RSRC3_GFX90A:ACCUM_OFFSET: 0
; COMPUTE_PGM_RSRC3_GFX90A:TG_SPLIT: 0
	.section	.text._ZN7rocprim17ROCPRIM_400000_NS6detail17trampoline_kernelINS0_14default_configENS1_27upper_bound_config_selectorIxiEEZNS1_14transform_implILb0ES3_S5_N6thrust23THRUST_200600_302600_NS6detail15normal_iteratorINS8_10device_ptrIxEEEENSA_INSB_IiEEEEZNS1_13binary_searchIS3_S5_SD_SD_SF_NS1_21upper_bound_search_opENS9_16wrapped_functionINS0_4lessIvEEbEEEE10hipError_tPvRmT1_T2_T3_mmT4_T5_P12ihipStream_tbEUlRKxE_EESM_SQ_SR_mSS_SV_bEUlT_E_NS1_11comp_targetILNS1_3genE0ELNS1_11target_archE4294967295ELNS1_3gpuE0ELNS1_3repE0EEENS1_30default_config_static_selectorELNS0_4arch9wavefront6targetE1EEEvSP_,"axG",@progbits,_ZN7rocprim17ROCPRIM_400000_NS6detail17trampoline_kernelINS0_14default_configENS1_27upper_bound_config_selectorIxiEEZNS1_14transform_implILb0ES3_S5_N6thrust23THRUST_200600_302600_NS6detail15normal_iteratorINS8_10device_ptrIxEEEENSA_INSB_IiEEEEZNS1_13binary_searchIS3_S5_SD_SD_SF_NS1_21upper_bound_search_opENS9_16wrapped_functionINS0_4lessIvEEbEEEE10hipError_tPvRmT1_T2_T3_mmT4_T5_P12ihipStream_tbEUlRKxE_EESM_SQ_SR_mSS_SV_bEUlT_E_NS1_11comp_targetILNS1_3genE0ELNS1_11target_archE4294967295ELNS1_3gpuE0ELNS1_3repE0EEENS1_30default_config_static_selectorELNS0_4arch9wavefront6targetE1EEEvSP_,comdat
	.protected	_ZN7rocprim17ROCPRIM_400000_NS6detail17trampoline_kernelINS0_14default_configENS1_27upper_bound_config_selectorIxiEEZNS1_14transform_implILb0ES3_S5_N6thrust23THRUST_200600_302600_NS6detail15normal_iteratorINS8_10device_ptrIxEEEENSA_INSB_IiEEEEZNS1_13binary_searchIS3_S5_SD_SD_SF_NS1_21upper_bound_search_opENS9_16wrapped_functionINS0_4lessIvEEbEEEE10hipError_tPvRmT1_T2_T3_mmT4_T5_P12ihipStream_tbEUlRKxE_EESM_SQ_SR_mSS_SV_bEUlT_E_NS1_11comp_targetILNS1_3genE0ELNS1_11target_archE4294967295ELNS1_3gpuE0ELNS1_3repE0EEENS1_30default_config_static_selectorELNS0_4arch9wavefront6targetE1EEEvSP_ ; -- Begin function _ZN7rocprim17ROCPRIM_400000_NS6detail17trampoline_kernelINS0_14default_configENS1_27upper_bound_config_selectorIxiEEZNS1_14transform_implILb0ES3_S5_N6thrust23THRUST_200600_302600_NS6detail15normal_iteratorINS8_10device_ptrIxEEEENSA_INSB_IiEEEEZNS1_13binary_searchIS3_S5_SD_SD_SF_NS1_21upper_bound_search_opENS9_16wrapped_functionINS0_4lessIvEEbEEEE10hipError_tPvRmT1_T2_T3_mmT4_T5_P12ihipStream_tbEUlRKxE_EESM_SQ_SR_mSS_SV_bEUlT_E_NS1_11comp_targetILNS1_3genE0ELNS1_11target_archE4294967295ELNS1_3gpuE0ELNS1_3repE0EEENS1_30default_config_static_selectorELNS0_4arch9wavefront6targetE1EEEvSP_
	.globl	_ZN7rocprim17ROCPRIM_400000_NS6detail17trampoline_kernelINS0_14default_configENS1_27upper_bound_config_selectorIxiEEZNS1_14transform_implILb0ES3_S5_N6thrust23THRUST_200600_302600_NS6detail15normal_iteratorINS8_10device_ptrIxEEEENSA_INSB_IiEEEEZNS1_13binary_searchIS3_S5_SD_SD_SF_NS1_21upper_bound_search_opENS9_16wrapped_functionINS0_4lessIvEEbEEEE10hipError_tPvRmT1_T2_T3_mmT4_T5_P12ihipStream_tbEUlRKxE_EESM_SQ_SR_mSS_SV_bEUlT_E_NS1_11comp_targetILNS1_3genE0ELNS1_11target_archE4294967295ELNS1_3gpuE0ELNS1_3repE0EEENS1_30default_config_static_selectorELNS0_4arch9wavefront6targetE1EEEvSP_
	.p2align	8
	.type	_ZN7rocprim17ROCPRIM_400000_NS6detail17trampoline_kernelINS0_14default_configENS1_27upper_bound_config_selectorIxiEEZNS1_14transform_implILb0ES3_S5_N6thrust23THRUST_200600_302600_NS6detail15normal_iteratorINS8_10device_ptrIxEEEENSA_INSB_IiEEEEZNS1_13binary_searchIS3_S5_SD_SD_SF_NS1_21upper_bound_search_opENS9_16wrapped_functionINS0_4lessIvEEbEEEE10hipError_tPvRmT1_T2_T3_mmT4_T5_P12ihipStream_tbEUlRKxE_EESM_SQ_SR_mSS_SV_bEUlT_E_NS1_11comp_targetILNS1_3genE0ELNS1_11target_archE4294967295ELNS1_3gpuE0ELNS1_3repE0EEENS1_30default_config_static_selectorELNS0_4arch9wavefront6targetE1EEEvSP_,@function
_ZN7rocprim17ROCPRIM_400000_NS6detail17trampoline_kernelINS0_14default_configENS1_27upper_bound_config_selectorIxiEEZNS1_14transform_implILb0ES3_S5_N6thrust23THRUST_200600_302600_NS6detail15normal_iteratorINS8_10device_ptrIxEEEENSA_INSB_IiEEEEZNS1_13binary_searchIS3_S5_SD_SD_SF_NS1_21upper_bound_search_opENS9_16wrapped_functionINS0_4lessIvEEbEEEE10hipError_tPvRmT1_T2_T3_mmT4_T5_P12ihipStream_tbEUlRKxE_EESM_SQ_SR_mSS_SV_bEUlT_E_NS1_11comp_targetILNS1_3genE0ELNS1_11target_archE4294967295ELNS1_3gpuE0ELNS1_3repE0EEENS1_30default_config_static_selectorELNS0_4arch9wavefront6targetE1EEEvSP_: ; @_ZN7rocprim17ROCPRIM_400000_NS6detail17trampoline_kernelINS0_14default_configENS1_27upper_bound_config_selectorIxiEEZNS1_14transform_implILb0ES3_S5_N6thrust23THRUST_200600_302600_NS6detail15normal_iteratorINS8_10device_ptrIxEEEENSA_INSB_IiEEEEZNS1_13binary_searchIS3_S5_SD_SD_SF_NS1_21upper_bound_search_opENS9_16wrapped_functionINS0_4lessIvEEbEEEE10hipError_tPvRmT1_T2_T3_mmT4_T5_P12ihipStream_tbEUlRKxE_EESM_SQ_SR_mSS_SV_bEUlT_E_NS1_11comp_targetILNS1_3genE0ELNS1_11target_archE4294967295ELNS1_3gpuE0ELNS1_3repE0EEENS1_30default_config_static_selectorELNS0_4arch9wavefront6targetE1EEEvSP_
; %bb.0:
	.section	.rodata,"a",@progbits
	.p2align	6, 0x0
	.amdhsa_kernel _ZN7rocprim17ROCPRIM_400000_NS6detail17trampoline_kernelINS0_14default_configENS1_27upper_bound_config_selectorIxiEEZNS1_14transform_implILb0ES3_S5_N6thrust23THRUST_200600_302600_NS6detail15normal_iteratorINS8_10device_ptrIxEEEENSA_INSB_IiEEEEZNS1_13binary_searchIS3_S5_SD_SD_SF_NS1_21upper_bound_search_opENS9_16wrapped_functionINS0_4lessIvEEbEEEE10hipError_tPvRmT1_T2_T3_mmT4_T5_P12ihipStream_tbEUlRKxE_EESM_SQ_SR_mSS_SV_bEUlT_E_NS1_11comp_targetILNS1_3genE0ELNS1_11target_archE4294967295ELNS1_3gpuE0ELNS1_3repE0EEENS1_30default_config_static_selectorELNS0_4arch9wavefront6targetE1EEEvSP_
		.amdhsa_group_segment_fixed_size 0
		.amdhsa_private_segment_fixed_size 0
		.amdhsa_kernarg_size 56
		.amdhsa_user_sgpr_count 6
		.amdhsa_user_sgpr_private_segment_buffer 1
		.amdhsa_user_sgpr_dispatch_ptr 0
		.amdhsa_user_sgpr_queue_ptr 0
		.amdhsa_user_sgpr_kernarg_segment_ptr 1
		.amdhsa_user_sgpr_dispatch_id 0
		.amdhsa_user_sgpr_flat_scratch_init 0
		.amdhsa_user_sgpr_kernarg_preload_length 0
		.amdhsa_user_sgpr_kernarg_preload_offset 0
		.amdhsa_user_sgpr_private_segment_size 0
		.amdhsa_uses_dynamic_stack 0
		.amdhsa_system_sgpr_private_segment_wavefront_offset 0
		.amdhsa_system_sgpr_workgroup_id_x 1
		.amdhsa_system_sgpr_workgroup_id_y 0
		.amdhsa_system_sgpr_workgroup_id_z 0
		.amdhsa_system_sgpr_workgroup_info 0
		.amdhsa_system_vgpr_workitem_id 0
		.amdhsa_next_free_vgpr 1
		.amdhsa_next_free_sgpr 0
		.amdhsa_accum_offset 4
		.amdhsa_reserve_vcc 0
		.amdhsa_reserve_flat_scratch 0
		.amdhsa_float_round_mode_32 0
		.amdhsa_float_round_mode_16_64 0
		.amdhsa_float_denorm_mode_32 3
		.amdhsa_float_denorm_mode_16_64 3
		.amdhsa_dx10_clamp 1
		.amdhsa_ieee_mode 1
		.amdhsa_fp16_overflow 0
		.amdhsa_tg_split 0
		.amdhsa_exception_fp_ieee_invalid_op 0
		.amdhsa_exception_fp_denorm_src 0
		.amdhsa_exception_fp_ieee_div_zero 0
		.amdhsa_exception_fp_ieee_overflow 0
		.amdhsa_exception_fp_ieee_underflow 0
		.amdhsa_exception_fp_ieee_inexact 0
		.amdhsa_exception_int_div_zero 0
	.end_amdhsa_kernel
	.section	.text._ZN7rocprim17ROCPRIM_400000_NS6detail17trampoline_kernelINS0_14default_configENS1_27upper_bound_config_selectorIxiEEZNS1_14transform_implILb0ES3_S5_N6thrust23THRUST_200600_302600_NS6detail15normal_iteratorINS8_10device_ptrIxEEEENSA_INSB_IiEEEEZNS1_13binary_searchIS3_S5_SD_SD_SF_NS1_21upper_bound_search_opENS9_16wrapped_functionINS0_4lessIvEEbEEEE10hipError_tPvRmT1_T2_T3_mmT4_T5_P12ihipStream_tbEUlRKxE_EESM_SQ_SR_mSS_SV_bEUlT_E_NS1_11comp_targetILNS1_3genE0ELNS1_11target_archE4294967295ELNS1_3gpuE0ELNS1_3repE0EEENS1_30default_config_static_selectorELNS0_4arch9wavefront6targetE1EEEvSP_,"axG",@progbits,_ZN7rocprim17ROCPRIM_400000_NS6detail17trampoline_kernelINS0_14default_configENS1_27upper_bound_config_selectorIxiEEZNS1_14transform_implILb0ES3_S5_N6thrust23THRUST_200600_302600_NS6detail15normal_iteratorINS8_10device_ptrIxEEEENSA_INSB_IiEEEEZNS1_13binary_searchIS3_S5_SD_SD_SF_NS1_21upper_bound_search_opENS9_16wrapped_functionINS0_4lessIvEEbEEEE10hipError_tPvRmT1_T2_T3_mmT4_T5_P12ihipStream_tbEUlRKxE_EESM_SQ_SR_mSS_SV_bEUlT_E_NS1_11comp_targetILNS1_3genE0ELNS1_11target_archE4294967295ELNS1_3gpuE0ELNS1_3repE0EEENS1_30default_config_static_selectorELNS0_4arch9wavefront6targetE1EEEvSP_,comdat
.Lfunc_end375:
	.size	_ZN7rocprim17ROCPRIM_400000_NS6detail17trampoline_kernelINS0_14default_configENS1_27upper_bound_config_selectorIxiEEZNS1_14transform_implILb0ES3_S5_N6thrust23THRUST_200600_302600_NS6detail15normal_iteratorINS8_10device_ptrIxEEEENSA_INSB_IiEEEEZNS1_13binary_searchIS3_S5_SD_SD_SF_NS1_21upper_bound_search_opENS9_16wrapped_functionINS0_4lessIvEEbEEEE10hipError_tPvRmT1_T2_T3_mmT4_T5_P12ihipStream_tbEUlRKxE_EESM_SQ_SR_mSS_SV_bEUlT_E_NS1_11comp_targetILNS1_3genE0ELNS1_11target_archE4294967295ELNS1_3gpuE0ELNS1_3repE0EEENS1_30default_config_static_selectorELNS0_4arch9wavefront6targetE1EEEvSP_, .Lfunc_end375-_ZN7rocprim17ROCPRIM_400000_NS6detail17trampoline_kernelINS0_14default_configENS1_27upper_bound_config_selectorIxiEEZNS1_14transform_implILb0ES3_S5_N6thrust23THRUST_200600_302600_NS6detail15normal_iteratorINS8_10device_ptrIxEEEENSA_INSB_IiEEEEZNS1_13binary_searchIS3_S5_SD_SD_SF_NS1_21upper_bound_search_opENS9_16wrapped_functionINS0_4lessIvEEbEEEE10hipError_tPvRmT1_T2_T3_mmT4_T5_P12ihipStream_tbEUlRKxE_EESM_SQ_SR_mSS_SV_bEUlT_E_NS1_11comp_targetILNS1_3genE0ELNS1_11target_archE4294967295ELNS1_3gpuE0ELNS1_3repE0EEENS1_30default_config_static_selectorELNS0_4arch9wavefront6targetE1EEEvSP_
                                        ; -- End function
	.section	.AMDGPU.csdata,"",@progbits
; Kernel info:
; codeLenInByte = 0
; NumSgprs: 4
; NumVgprs: 0
; NumAgprs: 0
; TotalNumVgprs: 0
; ScratchSize: 0
; MemoryBound: 0
; FloatMode: 240
; IeeeMode: 1
; LDSByteSize: 0 bytes/workgroup (compile time only)
; SGPRBlocks: 0
; VGPRBlocks: 0
; NumSGPRsForWavesPerEU: 4
; NumVGPRsForWavesPerEU: 1
; AccumOffset: 4
; Occupancy: 8
; WaveLimiterHint : 0
; COMPUTE_PGM_RSRC2:SCRATCH_EN: 0
; COMPUTE_PGM_RSRC2:USER_SGPR: 6
; COMPUTE_PGM_RSRC2:TRAP_HANDLER: 0
; COMPUTE_PGM_RSRC2:TGID_X_EN: 1
; COMPUTE_PGM_RSRC2:TGID_Y_EN: 0
; COMPUTE_PGM_RSRC2:TGID_Z_EN: 0
; COMPUTE_PGM_RSRC2:TIDIG_COMP_CNT: 0
; COMPUTE_PGM_RSRC3_GFX90A:ACCUM_OFFSET: 0
; COMPUTE_PGM_RSRC3_GFX90A:TG_SPLIT: 0
	.section	.text._ZN7rocprim17ROCPRIM_400000_NS6detail17trampoline_kernelINS0_14default_configENS1_27upper_bound_config_selectorIxiEEZNS1_14transform_implILb0ES3_S5_N6thrust23THRUST_200600_302600_NS6detail15normal_iteratorINS8_10device_ptrIxEEEENSA_INSB_IiEEEEZNS1_13binary_searchIS3_S5_SD_SD_SF_NS1_21upper_bound_search_opENS9_16wrapped_functionINS0_4lessIvEEbEEEE10hipError_tPvRmT1_T2_T3_mmT4_T5_P12ihipStream_tbEUlRKxE_EESM_SQ_SR_mSS_SV_bEUlT_E_NS1_11comp_targetILNS1_3genE5ELNS1_11target_archE942ELNS1_3gpuE9ELNS1_3repE0EEENS1_30default_config_static_selectorELNS0_4arch9wavefront6targetE1EEEvSP_,"axG",@progbits,_ZN7rocprim17ROCPRIM_400000_NS6detail17trampoline_kernelINS0_14default_configENS1_27upper_bound_config_selectorIxiEEZNS1_14transform_implILb0ES3_S5_N6thrust23THRUST_200600_302600_NS6detail15normal_iteratorINS8_10device_ptrIxEEEENSA_INSB_IiEEEEZNS1_13binary_searchIS3_S5_SD_SD_SF_NS1_21upper_bound_search_opENS9_16wrapped_functionINS0_4lessIvEEbEEEE10hipError_tPvRmT1_T2_T3_mmT4_T5_P12ihipStream_tbEUlRKxE_EESM_SQ_SR_mSS_SV_bEUlT_E_NS1_11comp_targetILNS1_3genE5ELNS1_11target_archE942ELNS1_3gpuE9ELNS1_3repE0EEENS1_30default_config_static_selectorELNS0_4arch9wavefront6targetE1EEEvSP_,comdat
	.protected	_ZN7rocprim17ROCPRIM_400000_NS6detail17trampoline_kernelINS0_14default_configENS1_27upper_bound_config_selectorIxiEEZNS1_14transform_implILb0ES3_S5_N6thrust23THRUST_200600_302600_NS6detail15normal_iteratorINS8_10device_ptrIxEEEENSA_INSB_IiEEEEZNS1_13binary_searchIS3_S5_SD_SD_SF_NS1_21upper_bound_search_opENS9_16wrapped_functionINS0_4lessIvEEbEEEE10hipError_tPvRmT1_T2_T3_mmT4_T5_P12ihipStream_tbEUlRKxE_EESM_SQ_SR_mSS_SV_bEUlT_E_NS1_11comp_targetILNS1_3genE5ELNS1_11target_archE942ELNS1_3gpuE9ELNS1_3repE0EEENS1_30default_config_static_selectorELNS0_4arch9wavefront6targetE1EEEvSP_ ; -- Begin function _ZN7rocprim17ROCPRIM_400000_NS6detail17trampoline_kernelINS0_14default_configENS1_27upper_bound_config_selectorIxiEEZNS1_14transform_implILb0ES3_S5_N6thrust23THRUST_200600_302600_NS6detail15normal_iteratorINS8_10device_ptrIxEEEENSA_INSB_IiEEEEZNS1_13binary_searchIS3_S5_SD_SD_SF_NS1_21upper_bound_search_opENS9_16wrapped_functionINS0_4lessIvEEbEEEE10hipError_tPvRmT1_T2_T3_mmT4_T5_P12ihipStream_tbEUlRKxE_EESM_SQ_SR_mSS_SV_bEUlT_E_NS1_11comp_targetILNS1_3genE5ELNS1_11target_archE942ELNS1_3gpuE9ELNS1_3repE0EEENS1_30default_config_static_selectorELNS0_4arch9wavefront6targetE1EEEvSP_
	.globl	_ZN7rocprim17ROCPRIM_400000_NS6detail17trampoline_kernelINS0_14default_configENS1_27upper_bound_config_selectorIxiEEZNS1_14transform_implILb0ES3_S5_N6thrust23THRUST_200600_302600_NS6detail15normal_iteratorINS8_10device_ptrIxEEEENSA_INSB_IiEEEEZNS1_13binary_searchIS3_S5_SD_SD_SF_NS1_21upper_bound_search_opENS9_16wrapped_functionINS0_4lessIvEEbEEEE10hipError_tPvRmT1_T2_T3_mmT4_T5_P12ihipStream_tbEUlRKxE_EESM_SQ_SR_mSS_SV_bEUlT_E_NS1_11comp_targetILNS1_3genE5ELNS1_11target_archE942ELNS1_3gpuE9ELNS1_3repE0EEENS1_30default_config_static_selectorELNS0_4arch9wavefront6targetE1EEEvSP_
	.p2align	8
	.type	_ZN7rocprim17ROCPRIM_400000_NS6detail17trampoline_kernelINS0_14default_configENS1_27upper_bound_config_selectorIxiEEZNS1_14transform_implILb0ES3_S5_N6thrust23THRUST_200600_302600_NS6detail15normal_iteratorINS8_10device_ptrIxEEEENSA_INSB_IiEEEEZNS1_13binary_searchIS3_S5_SD_SD_SF_NS1_21upper_bound_search_opENS9_16wrapped_functionINS0_4lessIvEEbEEEE10hipError_tPvRmT1_T2_T3_mmT4_T5_P12ihipStream_tbEUlRKxE_EESM_SQ_SR_mSS_SV_bEUlT_E_NS1_11comp_targetILNS1_3genE5ELNS1_11target_archE942ELNS1_3gpuE9ELNS1_3repE0EEENS1_30default_config_static_selectorELNS0_4arch9wavefront6targetE1EEEvSP_,@function
_ZN7rocprim17ROCPRIM_400000_NS6detail17trampoline_kernelINS0_14default_configENS1_27upper_bound_config_selectorIxiEEZNS1_14transform_implILb0ES3_S5_N6thrust23THRUST_200600_302600_NS6detail15normal_iteratorINS8_10device_ptrIxEEEENSA_INSB_IiEEEEZNS1_13binary_searchIS3_S5_SD_SD_SF_NS1_21upper_bound_search_opENS9_16wrapped_functionINS0_4lessIvEEbEEEE10hipError_tPvRmT1_T2_T3_mmT4_T5_P12ihipStream_tbEUlRKxE_EESM_SQ_SR_mSS_SV_bEUlT_E_NS1_11comp_targetILNS1_3genE5ELNS1_11target_archE942ELNS1_3gpuE9ELNS1_3repE0EEENS1_30default_config_static_selectorELNS0_4arch9wavefront6targetE1EEEvSP_: ; @_ZN7rocprim17ROCPRIM_400000_NS6detail17trampoline_kernelINS0_14default_configENS1_27upper_bound_config_selectorIxiEEZNS1_14transform_implILb0ES3_S5_N6thrust23THRUST_200600_302600_NS6detail15normal_iteratorINS8_10device_ptrIxEEEENSA_INSB_IiEEEEZNS1_13binary_searchIS3_S5_SD_SD_SF_NS1_21upper_bound_search_opENS9_16wrapped_functionINS0_4lessIvEEbEEEE10hipError_tPvRmT1_T2_T3_mmT4_T5_P12ihipStream_tbEUlRKxE_EESM_SQ_SR_mSS_SV_bEUlT_E_NS1_11comp_targetILNS1_3genE5ELNS1_11target_archE942ELNS1_3gpuE9ELNS1_3repE0EEENS1_30default_config_static_selectorELNS0_4arch9wavefront6targetE1EEEvSP_
; %bb.0:
	.section	.rodata,"a",@progbits
	.p2align	6, 0x0
	.amdhsa_kernel _ZN7rocprim17ROCPRIM_400000_NS6detail17trampoline_kernelINS0_14default_configENS1_27upper_bound_config_selectorIxiEEZNS1_14transform_implILb0ES3_S5_N6thrust23THRUST_200600_302600_NS6detail15normal_iteratorINS8_10device_ptrIxEEEENSA_INSB_IiEEEEZNS1_13binary_searchIS3_S5_SD_SD_SF_NS1_21upper_bound_search_opENS9_16wrapped_functionINS0_4lessIvEEbEEEE10hipError_tPvRmT1_T2_T3_mmT4_T5_P12ihipStream_tbEUlRKxE_EESM_SQ_SR_mSS_SV_bEUlT_E_NS1_11comp_targetILNS1_3genE5ELNS1_11target_archE942ELNS1_3gpuE9ELNS1_3repE0EEENS1_30default_config_static_selectorELNS0_4arch9wavefront6targetE1EEEvSP_
		.amdhsa_group_segment_fixed_size 0
		.amdhsa_private_segment_fixed_size 0
		.amdhsa_kernarg_size 56
		.amdhsa_user_sgpr_count 6
		.amdhsa_user_sgpr_private_segment_buffer 1
		.amdhsa_user_sgpr_dispatch_ptr 0
		.amdhsa_user_sgpr_queue_ptr 0
		.amdhsa_user_sgpr_kernarg_segment_ptr 1
		.amdhsa_user_sgpr_dispatch_id 0
		.amdhsa_user_sgpr_flat_scratch_init 0
		.amdhsa_user_sgpr_kernarg_preload_length 0
		.amdhsa_user_sgpr_kernarg_preload_offset 0
		.amdhsa_user_sgpr_private_segment_size 0
		.amdhsa_uses_dynamic_stack 0
		.amdhsa_system_sgpr_private_segment_wavefront_offset 0
		.amdhsa_system_sgpr_workgroup_id_x 1
		.amdhsa_system_sgpr_workgroup_id_y 0
		.amdhsa_system_sgpr_workgroup_id_z 0
		.amdhsa_system_sgpr_workgroup_info 0
		.amdhsa_system_vgpr_workitem_id 0
		.amdhsa_next_free_vgpr 1
		.amdhsa_next_free_sgpr 0
		.amdhsa_accum_offset 4
		.amdhsa_reserve_vcc 0
		.amdhsa_reserve_flat_scratch 0
		.amdhsa_float_round_mode_32 0
		.amdhsa_float_round_mode_16_64 0
		.amdhsa_float_denorm_mode_32 3
		.amdhsa_float_denorm_mode_16_64 3
		.amdhsa_dx10_clamp 1
		.amdhsa_ieee_mode 1
		.amdhsa_fp16_overflow 0
		.amdhsa_tg_split 0
		.amdhsa_exception_fp_ieee_invalid_op 0
		.amdhsa_exception_fp_denorm_src 0
		.amdhsa_exception_fp_ieee_div_zero 0
		.amdhsa_exception_fp_ieee_overflow 0
		.amdhsa_exception_fp_ieee_underflow 0
		.amdhsa_exception_fp_ieee_inexact 0
		.amdhsa_exception_int_div_zero 0
	.end_amdhsa_kernel
	.section	.text._ZN7rocprim17ROCPRIM_400000_NS6detail17trampoline_kernelINS0_14default_configENS1_27upper_bound_config_selectorIxiEEZNS1_14transform_implILb0ES3_S5_N6thrust23THRUST_200600_302600_NS6detail15normal_iteratorINS8_10device_ptrIxEEEENSA_INSB_IiEEEEZNS1_13binary_searchIS3_S5_SD_SD_SF_NS1_21upper_bound_search_opENS9_16wrapped_functionINS0_4lessIvEEbEEEE10hipError_tPvRmT1_T2_T3_mmT4_T5_P12ihipStream_tbEUlRKxE_EESM_SQ_SR_mSS_SV_bEUlT_E_NS1_11comp_targetILNS1_3genE5ELNS1_11target_archE942ELNS1_3gpuE9ELNS1_3repE0EEENS1_30default_config_static_selectorELNS0_4arch9wavefront6targetE1EEEvSP_,"axG",@progbits,_ZN7rocprim17ROCPRIM_400000_NS6detail17trampoline_kernelINS0_14default_configENS1_27upper_bound_config_selectorIxiEEZNS1_14transform_implILb0ES3_S5_N6thrust23THRUST_200600_302600_NS6detail15normal_iteratorINS8_10device_ptrIxEEEENSA_INSB_IiEEEEZNS1_13binary_searchIS3_S5_SD_SD_SF_NS1_21upper_bound_search_opENS9_16wrapped_functionINS0_4lessIvEEbEEEE10hipError_tPvRmT1_T2_T3_mmT4_T5_P12ihipStream_tbEUlRKxE_EESM_SQ_SR_mSS_SV_bEUlT_E_NS1_11comp_targetILNS1_3genE5ELNS1_11target_archE942ELNS1_3gpuE9ELNS1_3repE0EEENS1_30default_config_static_selectorELNS0_4arch9wavefront6targetE1EEEvSP_,comdat
.Lfunc_end376:
	.size	_ZN7rocprim17ROCPRIM_400000_NS6detail17trampoline_kernelINS0_14default_configENS1_27upper_bound_config_selectorIxiEEZNS1_14transform_implILb0ES3_S5_N6thrust23THRUST_200600_302600_NS6detail15normal_iteratorINS8_10device_ptrIxEEEENSA_INSB_IiEEEEZNS1_13binary_searchIS3_S5_SD_SD_SF_NS1_21upper_bound_search_opENS9_16wrapped_functionINS0_4lessIvEEbEEEE10hipError_tPvRmT1_T2_T3_mmT4_T5_P12ihipStream_tbEUlRKxE_EESM_SQ_SR_mSS_SV_bEUlT_E_NS1_11comp_targetILNS1_3genE5ELNS1_11target_archE942ELNS1_3gpuE9ELNS1_3repE0EEENS1_30default_config_static_selectorELNS0_4arch9wavefront6targetE1EEEvSP_, .Lfunc_end376-_ZN7rocprim17ROCPRIM_400000_NS6detail17trampoline_kernelINS0_14default_configENS1_27upper_bound_config_selectorIxiEEZNS1_14transform_implILb0ES3_S5_N6thrust23THRUST_200600_302600_NS6detail15normal_iteratorINS8_10device_ptrIxEEEENSA_INSB_IiEEEEZNS1_13binary_searchIS3_S5_SD_SD_SF_NS1_21upper_bound_search_opENS9_16wrapped_functionINS0_4lessIvEEbEEEE10hipError_tPvRmT1_T2_T3_mmT4_T5_P12ihipStream_tbEUlRKxE_EESM_SQ_SR_mSS_SV_bEUlT_E_NS1_11comp_targetILNS1_3genE5ELNS1_11target_archE942ELNS1_3gpuE9ELNS1_3repE0EEENS1_30default_config_static_selectorELNS0_4arch9wavefront6targetE1EEEvSP_
                                        ; -- End function
	.section	.AMDGPU.csdata,"",@progbits
; Kernel info:
; codeLenInByte = 0
; NumSgprs: 4
; NumVgprs: 0
; NumAgprs: 0
; TotalNumVgprs: 0
; ScratchSize: 0
; MemoryBound: 0
; FloatMode: 240
; IeeeMode: 1
; LDSByteSize: 0 bytes/workgroup (compile time only)
; SGPRBlocks: 0
; VGPRBlocks: 0
; NumSGPRsForWavesPerEU: 4
; NumVGPRsForWavesPerEU: 1
; AccumOffset: 4
; Occupancy: 8
; WaveLimiterHint : 0
; COMPUTE_PGM_RSRC2:SCRATCH_EN: 0
; COMPUTE_PGM_RSRC2:USER_SGPR: 6
; COMPUTE_PGM_RSRC2:TRAP_HANDLER: 0
; COMPUTE_PGM_RSRC2:TGID_X_EN: 1
; COMPUTE_PGM_RSRC2:TGID_Y_EN: 0
; COMPUTE_PGM_RSRC2:TGID_Z_EN: 0
; COMPUTE_PGM_RSRC2:TIDIG_COMP_CNT: 0
; COMPUTE_PGM_RSRC3_GFX90A:ACCUM_OFFSET: 0
; COMPUTE_PGM_RSRC3_GFX90A:TG_SPLIT: 0
	.section	.text._ZN7rocprim17ROCPRIM_400000_NS6detail17trampoline_kernelINS0_14default_configENS1_27upper_bound_config_selectorIxiEEZNS1_14transform_implILb0ES3_S5_N6thrust23THRUST_200600_302600_NS6detail15normal_iteratorINS8_10device_ptrIxEEEENSA_INSB_IiEEEEZNS1_13binary_searchIS3_S5_SD_SD_SF_NS1_21upper_bound_search_opENS9_16wrapped_functionINS0_4lessIvEEbEEEE10hipError_tPvRmT1_T2_T3_mmT4_T5_P12ihipStream_tbEUlRKxE_EESM_SQ_SR_mSS_SV_bEUlT_E_NS1_11comp_targetILNS1_3genE4ELNS1_11target_archE910ELNS1_3gpuE8ELNS1_3repE0EEENS1_30default_config_static_selectorELNS0_4arch9wavefront6targetE1EEEvSP_,"axG",@progbits,_ZN7rocprim17ROCPRIM_400000_NS6detail17trampoline_kernelINS0_14default_configENS1_27upper_bound_config_selectorIxiEEZNS1_14transform_implILb0ES3_S5_N6thrust23THRUST_200600_302600_NS6detail15normal_iteratorINS8_10device_ptrIxEEEENSA_INSB_IiEEEEZNS1_13binary_searchIS3_S5_SD_SD_SF_NS1_21upper_bound_search_opENS9_16wrapped_functionINS0_4lessIvEEbEEEE10hipError_tPvRmT1_T2_T3_mmT4_T5_P12ihipStream_tbEUlRKxE_EESM_SQ_SR_mSS_SV_bEUlT_E_NS1_11comp_targetILNS1_3genE4ELNS1_11target_archE910ELNS1_3gpuE8ELNS1_3repE0EEENS1_30default_config_static_selectorELNS0_4arch9wavefront6targetE1EEEvSP_,comdat
	.protected	_ZN7rocprim17ROCPRIM_400000_NS6detail17trampoline_kernelINS0_14default_configENS1_27upper_bound_config_selectorIxiEEZNS1_14transform_implILb0ES3_S5_N6thrust23THRUST_200600_302600_NS6detail15normal_iteratorINS8_10device_ptrIxEEEENSA_INSB_IiEEEEZNS1_13binary_searchIS3_S5_SD_SD_SF_NS1_21upper_bound_search_opENS9_16wrapped_functionINS0_4lessIvEEbEEEE10hipError_tPvRmT1_T2_T3_mmT4_T5_P12ihipStream_tbEUlRKxE_EESM_SQ_SR_mSS_SV_bEUlT_E_NS1_11comp_targetILNS1_3genE4ELNS1_11target_archE910ELNS1_3gpuE8ELNS1_3repE0EEENS1_30default_config_static_selectorELNS0_4arch9wavefront6targetE1EEEvSP_ ; -- Begin function _ZN7rocprim17ROCPRIM_400000_NS6detail17trampoline_kernelINS0_14default_configENS1_27upper_bound_config_selectorIxiEEZNS1_14transform_implILb0ES3_S5_N6thrust23THRUST_200600_302600_NS6detail15normal_iteratorINS8_10device_ptrIxEEEENSA_INSB_IiEEEEZNS1_13binary_searchIS3_S5_SD_SD_SF_NS1_21upper_bound_search_opENS9_16wrapped_functionINS0_4lessIvEEbEEEE10hipError_tPvRmT1_T2_T3_mmT4_T5_P12ihipStream_tbEUlRKxE_EESM_SQ_SR_mSS_SV_bEUlT_E_NS1_11comp_targetILNS1_3genE4ELNS1_11target_archE910ELNS1_3gpuE8ELNS1_3repE0EEENS1_30default_config_static_selectorELNS0_4arch9wavefront6targetE1EEEvSP_
	.globl	_ZN7rocprim17ROCPRIM_400000_NS6detail17trampoline_kernelINS0_14default_configENS1_27upper_bound_config_selectorIxiEEZNS1_14transform_implILb0ES3_S5_N6thrust23THRUST_200600_302600_NS6detail15normal_iteratorINS8_10device_ptrIxEEEENSA_INSB_IiEEEEZNS1_13binary_searchIS3_S5_SD_SD_SF_NS1_21upper_bound_search_opENS9_16wrapped_functionINS0_4lessIvEEbEEEE10hipError_tPvRmT1_T2_T3_mmT4_T5_P12ihipStream_tbEUlRKxE_EESM_SQ_SR_mSS_SV_bEUlT_E_NS1_11comp_targetILNS1_3genE4ELNS1_11target_archE910ELNS1_3gpuE8ELNS1_3repE0EEENS1_30default_config_static_selectorELNS0_4arch9wavefront6targetE1EEEvSP_
	.p2align	8
	.type	_ZN7rocprim17ROCPRIM_400000_NS6detail17trampoline_kernelINS0_14default_configENS1_27upper_bound_config_selectorIxiEEZNS1_14transform_implILb0ES3_S5_N6thrust23THRUST_200600_302600_NS6detail15normal_iteratorINS8_10device_ptrIxEEEENSA_INSB_IiEEEEZNS1_13binary_searchIS3_S5_SD_SD_SF_NS1_21upper_bound_search_opENS9_16wrapped_functionINS0_4lessIvEEbEEEE10hipError_tPvRmT1_T2_T3_mmT4_T5_P12ihipStream_tbEUlRKxE_EESM_SQ_SR_mSS_SV_bEUlT_E_NS1_11comp_targetILNS1_3genE4ELNS1_11target_archE910ELNS1_3gpuE8ELNS1_3repE0EEENS1_30default_config_static_selectorELNS0_4arch9wavefront6targetE1EEEvSP_,@function
_ZN7rocprim17ROCPRIM_400000_NS6detail17trampoline_kernelINS0_14default_configENS1_27upper_bound_config_selectorIxiEEZNS1_14transform_implILb0ES3_S5_N6thrust23THRUST_200600_302600_NS6detail15normal_iteratorINS8_10device_ptrIxEEEENSA_INSB_IiEEEEZNS1_13binary_searchIS3_S5_SD_SD_SF_NS1_21upper_bound_search_opENS9_16wrapped_functionINS0_4lessIvEEbEEEE10hipError_tPvRmT1_T2_T3_mmT4_T5_P12ihipStream_tbEUlRKxE_EESM_SQ_SR_mSS_SV_bEUlT_E_NS1_11comp_targetILNS1_3genE4ELNS1_11target_archE910ELNS1_3gpuE8ELNS1_3repE0EEENS1_30default_config_static_selectorELNS0_4arch9wavefront6targetE1EEEvSP_: ; @_ZN7rocprim17ROCPRIM_400000_NS6detail17trampoline_kernelINS0_14default_configENS1_27upper_bound_config_selectorIxiEEZNS1_14transform_implILb0ES3_S5_N6thrust23THRUST_200600_302600_NS6detail15normal_iteratorINS8_10device_ptrIxEEEENSA_INSB_IiEEEEZNS1_13binary_searchIS3_S5_SD_SD_SF_NS1_21upper_bound_search_opENS9_16wrapped_functionINS0_4lessIvEEbEEEE10hipError_tPvRmT1_T2_T3_mmT4_T5_P12ihipStream_tbEUlRKxE_EESM_SQ_SR_mSS_SV_bEUlT_E_NS1_11comp_targetILNS1_3genE4ELNS1_11target_archE910ELNS1_3gpuE8ELNS1_3repE0EEENS1_30default_config_static_selectorELNS0_4arch9wavefront6targetE1EEEvSP_
; %bb.0:
	s_load_dwordx4 s[16:19], s[4:5], 0x0
	s_load_dwordx4 s[0:3], s[4:5], 0x18
	s_load_dwordx2 s[10:11], s[4:5], 0x28
	s_load_dword s15, s[4:5], 0x38
	s_waitcnt lgkmcnt(0)
	s_lshl_b64 s[8:9], s[18:19], 3
	s_add_u32 s7, s16, s8
	s_addc_u32 s14, s17, s9
	s_lshl_b64 s[8:9], s[18:19], 2
	s_add_u32 s12, s0, s8
	s_addc_u32 s13, s1, s9
	s_lshl_b32 s8, s6, 6
	s_add_i32 s15, s15, -1
	s_mov_b32 s9, 0
	s_cmp_lg_u32 s6, s15
	s_mov_b64 s[0:1], -1
	s_cbranch_scc0 .LBB377_6
; %bb.1:
	v_mov_b32_e32 v2, 0
	s_cmp_eq_u64 s[10:11], 0
	s_mov_b64 s[0:1], 0
	s_cbranch_scc1 .LBB377_5
; %bb.2:
	s_lshl_b64 s[16:17], s[8:9], 3
	s_add_u32 s6, s7, s16
	s_addc_u32 s15, s14, s17
	v_lshlrev_b32_e32 v1, 3, v0
	v_mov_b32_e32 v3, s15
	v_add_co_u32_e32 v2, vcc, s6, v1
	v_addc_co_u32_e32 v3, vcc, 0, v3, vcc
	flat_load_dwordx2 v[4:5], v[2:3]
	v_pk_mov_b32 v[2:3], 0, 0
	v_pk_mov_b32 v[6:7], s[10:11], s[10:11] op_sel:[0,1]
	v_mov_b32_e32 v1, s3
.LBB377_3:                              ; =>This Inner Loop Header: Depth=1
	v_sub_co_u32_e32 v8, vcc, v6, v2
	v_subb_co_u32_e32 v9, vcc, v7, v3, vcc
	v_lshrrev_b64 v[10:11], 1, v[8:9]
	v_add_co_u32_e32 v10, vcc, v10, v2
	v_lshrrev_b64 v[8:9], 6, v[8:9]
	v_addc_co_u32_e32 v11, vcc, v11, v3, vcc
	v_add_co_u32_e32 v8, vcc, v10, v8
	v_addc_co_u32_e32 v9, vcc, v11, v9, vcc
	v_lshlrev_b64 v[10:11], 3, v[8:9]
	v_add_co_u32_e32 v10, vcc, s2, v10
	v_addc_co_u32_e32 v11, vcc, v1, v11, vcc
	global_load_dwordx2 v[10:11], v[10:11], off
	v_add_co_u32_e32 v12, vcc, 1, v8
	v_addc_co_u32_e32 v13, vcc, 0, v9, vcc
	s_waitcnt vmcnt(0) lgkmcnt(0)
	v_cmp_gt_i64_e32 vcc, v[10:11], v[4:5]
	v_cndmask_b32_e32 v7, v7, v9, vcc
	v_cndmask_b32_e32 v6, v6, v8, vcc
	;; [unrolled: 1-line block ×4, first 2 shown]
	v_cmp_ge_u64_e32 vcc, v[2:3], v[6:7]
	s_or_b64 s[0:1], vcc, s[0:1]
	s_andn2_b64 exec, exec, s[0:1]
	s_cbranch_execnz .LBB377_3
; %bb.4:
	s_or_b64 exec, exec, s[0:1]
.LBB377_5:
	s_lshl_b64 s[0:1], s[8:9], 2
	s_add_u32 s0, s12, s0
	s_addc_u32 s1, s13, s1
	v_lshlrev_b32_e32 v1, 2, v0
	v_mov_b32_e32 v3, s1
	v_add_co_u32_e32 v4, vcc, s0, v1
	v_addc_co_u32_e32 v5, vcc, 0, v3, vcc
	s_mov_b64 s[0:1], 0
	flat_store_dword v[4:5], v2
.LBB377_6:
	s_and_b64 vcc, exec, s[0:1]
	s_cbranch_vccz .LBB377_11
; %bb.7:
	s_load_dword s0, s[4:5], 0x10
                                        ; implicit-def: $vgpr4_vgpr5
	s_waitcnt lgkmcnt(0)
	s_sub_i32 s0, s0, s8
	v_cmp_gt_u32_e32 vcc, s0, v0
	s_and_saveexec_b64 s[4:5], vcc
	s_cbranch_execnz .LBB377_12
; %bb.8:
	s_or_b64 exec, exec, s[4:5]
                                        ; implicit-def: $vgpr2
	s_and_saveexec_b64 s[4:5], vcc
	s_cbranch_execnz .LBB377_13
.LBB377_9:
	s_or_b64 exec, exec, s[4:5]
	s_and_saveexec_b64 s[0:1], vcc
	s_cbranch_execz .LBB377_11
.LBB377_10:
	s_lshl_b64 s[0:1], s[8:9], 2
	s_add_u32 s0, s12, s0
	s_addc_u32 s1, s13, s1
	v_lshlrev_b32_e32 v0, 2, v0
	v_mov_b32_e32 v1, s1
	v_add_co_u32_e32 v0, vcc, s0, v0
	v_addc_co_u32_e32 v1, vcc, 0, v1, vcc
	flat_store_dword v[0:1], v2
.LBB377_11:
	s_endpgm
.LBB377_12:
	s_lshl_b64 s[0:1], s[8:9], 3
	s_add_u32 s0, s7, s0
	s_addc_u32 s1, s14, s1
	v_lshlrev_b32_e32 v1, 3, v0
	v_mov_b32_e32 v3, s1
	v_add_co_u32_e64 v2, s[0:1], s0, v1
	v_addc_co_u32_e64 v3, s[0:1], 0, v3, s[0:1]
	flat_load_dwordx2 v[4:5], v[2:3]
	s_or_b64 exec, exec, s[4:5]
                                        ; implicit-def: $vgpr2
	s_and_saveexec_b64 s[4:5], vcc
	s_cbranch_execz .LBB377_9
.LBB377_13:
	s_cmp_eq_u64 s[10:11], 0
	s_mov_b64 s[6:7], 0
	s_cbranch_scc1 .LBB377_17
; %bb.14:
	v_pk_mov_b32 v[2:3], 0, 0
	v_pk_mov_b32 v[6:7], s[10:11], s[10:11] op_sel:[0,1]
	v_mov_b32_e32 v1, s3
.LBB377_15:                             ; =>This Inner Loop Header: Depth=1
	v_sub_co_u32_e64 v8, s[0:1], v6, v2
	v_subb_co_u32_e64 v9, s[0:1], v7, v3, s[0:1]
	v_lshrrev_b64 v[10:11], 1, v[8:9]
	v_add_co_u32_e64 v10, s[0:1], v10, v2
	v_lshrrev_b64 v[8:9], 6, v[8:9]
	v_addc_co_u32_e64 v11, s[0:1], v11, v3, s[0:1]
	v_add_co_u32_e64 v8, s[0:1], v10, v8
	v_addc_co_u32_e64 v9, s[0:1], v11, v9, s[0:1]
	v_lshlrev_b64 v[10:11], 3, v[8:9]
	v_add_co_u32_e64 v10, s[0:1], s2, v10
	v_addc_co_u32_e64 v11, s[0:1], v1, v11, s[0:1]
	global_load_dwordx2 v[10:11], v[10:11], off
	v_add_co_u32_e64 v12, s[0:1], 1, v8
	v_addc_co_u32_e64 v13, s[0:1], 0, v9, s[0:1]
	s_waitcnt vmcnt(0) lgkmcnt(0)
	v_cmp_gt_i64_e64 s[0:1], v[10:11], v[4:5]
	v_cndmask_b32_e64 v7, v7, v9, s[0:1]
	v_cndmask_b32_e64 v6, v6, v8, s[0:1]
	;; [unrolled: 1-line block ×4, first 2 shown]
	v_cmp_ge_u64_e64 s[0:1], v[2:3], v[6:7]
	s_or_b64 s[6:7], s[0:1], s[6:7]
	s_andn2_b64 exec, exec, s[6:7]
	s_cbranch_execnz .LBB377_15
; %bb.16:
	s_or_b64 exec, exec, s[6:7]
	s_or_b64 exec, exec, s[4:5]
	s_and_saveexec_b64 s[0:1], vcc
	s_cbranch_execnz .LBB377_10
	s_branch .LBB377_11
.LBB377_17:
	v_mov_b32_e32 v2, 0
	s_or_b64 exec, exec, s[4:5]
	s_and_saveexec_b64 s[0:1], vcc
	s_cbranch_execnz .LBB377_10
	s_branch .LBB377_11
	.section	.rodata,"a",@progbits
	.p2align	6, 0x0
	.amdhsa_kernel _ZN7rocprim17ROCPRIM_400000_NS6detail17trampoline_kernelINS0_14default_configENS1_27upper_bound_config_selectorIxiEEZNS1_14transform_implILb0ES3_S5_N6thrust23THRUST_200600_302600_NS6detail15normal_iteratorINS8_10device_ptrIxEEEENSA_INSB_IiEEEEZNS1_13binary_searchIS3_S5_SD_SD_SF_NS1_21upper_bound_search_opENS9_16wrapped_functionINS0_4lessIvEEbEEEE10hipError_tPvRmT1_T2_T3_mmT4_T5_P12ihipStream_tbEUlRKxE_EESM_SQ_SR_mSS_SV_bEUlT_E_NS1_11comp_targetILNS1_3genE4ELNS1_11target_archE910ELNS1_3gpuE8ELNS1_3repE0EEENS1_30default_config_static_selectorELNS0_4arch9wavefront6targetE1EEEvSP_
		.amdhsa_group_segment_fixed_size 0
		.amdhsa_private_segment_fixed_size 0
		.amdhsa_kernarg_size 312
		.amdhsa_user_sgpr_count 6
		.amdhsa_user_sgpr_private_segment_buffer 1
		.amdhsa_user_sgpr_dispatch_ptr 0
		.amdhsa_user_sgpr_queue_ptr 0
		.amdhsa_user_sgpr_kernarg_segment_ptr 1
		.amdhsa_user_sgpr_dispatch_id 0
		.amdhsa_user_sgpr_flat_scratch_init 0
		.amdhsa_user_sgpr_kernarg_preload_length 0
		.amdhsa_user_sgpr_kernarg_preload_offset 0
		.amdhsa_user_sgpr_private_segment_size 0
		.amdhsa_uses_dynamic_stack 0
		.amdhsa_system_sgpr_private_segment_wavefront_offset 0
		.amdhsa_system_sgpr_workgroup_id_x 1
		.amdhsa_system_sgpr_workgroup_id_y 0
		.amdhsa_system_sgpr_workgroup_id_z 0
		.amdhsa_system_sgpr_workgroup_info 0
		.amdhsa_system_vgpr_workitem_id 0
		.amdhsa_next_free_vgpr 14
		.amdhsa_next_free_sgpr 20
		.amdhsa_accum_offset 16
		.amdhsa_reserve_vcc 1
		.amdhsa_reserve_flat_scratch 0
		.amdhsa_float_round_mode_32 0
		.amdhsa_float_round_mode_16_64 0
		.amdhsa_float_denorm_mode_32 3
		.amdhsa_float_denorm_mode_16_64 3
		.amdhsa_dx10_clamp 1
		.amdhsa_ieee_mode 1
		.amdhsa_fp16_overflow 0
		.amdhsa_tg_split 0
		.amdhsa_exception_fp_ieee_invalid_op 0
		.amdhsa_exception_fp_denorm_src 0
		.amdhsa_exception_fp_ieee_div_zero 0
		.amdhsa_exception_fp_ieee_overflow 0
		.amdhsa_exception_fp_ieee_underflow 0
		.amdhsa_exception_fp_ieee_inexact 0
		.amdhsa_exception_int_div_zero 0
	.end_amdhsa_kernel
	.section	.text._ZN7rocprim17ROCPRIM_400000_NS6detail17trampoline_kernelINS0_14default_configENS1_27upper_bound_config_selectorIxiEEZNS1_14transform_implILb0ES3_S5_N6thrust23THRUST_200600_302600_NS6detail15normal_iteratorINS8_10device_ptrIxEEEENSA_INSB_IiEEEEZNS1_13binary_searchIS3_S5_SD_SD_SF_NS1_21upper_bound_search_opENS9_16wrapped_functionINS0_4lessIvEEbEEEE10hipError_tPvRmT1_T2_T3_mmT4_T5_P12ihipStream_tbEUlRKxE_EESM_SQ_SR_mSS_SV_bEUlT_E_NS1_11comp_targetILNS1_3genE4ELNS1_11target_archE910ELNS1_3gpuE8ELNS1_3repE0EEENS1_30default_config_static_selectorELNS0_4arch9wavefront6targetE1EEEvSP_,"axG",@progbits,_ZN7rocprim17ROCPRIM_400000_NS6detail17trampoline_kernelINS0_14default_configENS1_27upper_bound_config_selectorIxiEEZNS1_14transform_implILb0ES3_S5_N6thrust23THRUST_200600_302600_NS6detail15normal_iteratorINS8_10device_ptrIxEEEENSA_INSB_IiEEEEZNS1_13binary_searchIS3_S5_SD_SD_SF_NS1_21upper_bound_search_opENS9_16wrapped_functionINS0_4lessIvEEbEEEE10hipError_tPvRmT1_T2_T3_mmT4_T5_P12ihipStream_tbEUlRKxE_EESM_SQ_SR_mSS_SV_bEUlT_E_NS1_11comp_targetILNS1_3genE4ELNS1_11target_archE910ELNS1_3gpuE8ELNS1_3repE0EEENS1_30default_config_static_selectorELNS0_4arch9wavefront6targetE1EEEvSP_,comdat
.Lfunc_end377:
	.size	_ZN7rocprim17ROCPRIM_400000_NS6detail17trampoline_kernelINS0_14default_configENS1_27upper_bound_config_selectorIxiEEZNS1_14transform_implILb0ES3_S5_N6thrust23THRUST_200600_302600_NS6detail15normal_iteratorINS8_10device_ptrIxEEEENSA_INSB_IiEEEEZNS1_13binary_searchIS3_S5_SD_SD_SF_NS1_21upper_bound_search_opENS9_16wrapped_functionINS0_4lessIvEEbEEEE10hipError_tPvRmT1_T2_T3_mmT4_T5_P12ihipStream_tbEUlRKxE_EESM_SQ_SR_mSS_SV_bEUlT_E_NS1_11comp_targetILNS1_3genE4ELNS1_11target_archE910ELNS1_3gpuE8ELNS1_3repE0EEENS1_30default_config_static_selectorELNS0_4arch9wavefront6targetE1EEEvSP_, .Lfunc_end377-_ZN7rocprim17ROCPRIM_400000_NS6detail17trampoline_kernelINS0_14default_configENS1_27upper_bound_config_selectorIxiEEZNS1_14transform_implILb0ES3_S5_N6thrust23THRUST_200600_302600_NS6detail15normal_iteratorINS8_10device_ptrIxEEEENSA_INSB_IiEEEEZNS1_13binary_searchIS3_S5_SD_SD_SF_NS1_21upper_bound_search_opENS9_16wrapped_functionINS0_4lessIvEEbEEEE10hipError_tPvRmT1_T2_T3_mmT4_T5_P12ihipStream_tbEUlRKxE_EESM_SQ_SR_mSS_SV_bEUlT_E_NS1_11comp_targetILNS1_3genE4ELNS1_11target_archE910ELNS1_3gpuE8ELNS1_3repE0EEENS1_30default_config_static_selectorELNS0_4arch9wavefront6targetE1EEEvSP_
                                        ; -- End function
	.section	.AMDGPU.csdata,"",@progbits
; Kernel info:
; codeLenInByte = 716
; NumSgprs: 24
; NumVgprs: 14
; NumAgprs: 0
; TotalNumVgprs: 14
; ScratchSize: 0
; MemoryBound: 0
; FloatMode: 240
; IeeeMode: 1
; LDSByteSize: 0 bytes/workgroup (compile time only)
; SGPRBlocks: 2
; VGPRBlocks: 1
; NumSGPRsForWavesPerEU: 24
; NumVGPRsForWavesPerEU: 14
; AccumOffset: 16
; Occupancy: 8
; WaveLimiterHint : 0
; COMPUTE_PGM_RSRC2:SCRATCH_EN: 0
; COMPUTE_PGM_RSRC2:USER_SGPR: 6
; COMPUTE_PGM_RSRC2:TRAP_HANDLER: 0
; COMPUTE_PGM_RSRC2:TGID_X_EN: 1
; COMPUTE_PGM_RSRC2:TGID_Y_EN: 0
; COMPUTE_PGM_RSRC2:TGID_Z_EN: 0
; COMPUTE_PGM_RSRC2:TIDIG_COMP_CNT: 0
; COMPUTE_PGM_RSRC3_GFX90A:ACCUM_OFFSET: 3
; COMPUTE_PGM_RSRC3_GFX90A:TG_SPLIT: 0
	.section	.text._ZN7rocprim17ROCPRIM_400000_NS6detail17trampoline_kernelINS0_14default_configENS1_27upper_bound_config_selectorIxiEEZNS1_14transform_implILb0ES3_S5_N6thrust23THRUST_200600_302600_NS6detail15normal_iteratorINS8_10device_ptrIxEEEENSA_INSB_IiEEEEZNS1_13binary_searchIS3_S5_SD_SD_SF_NS1_21upper_bound_search_opENS9_16wrapped_functionINS0_4lessIvEEbEEEE10hipError_tPvRmT1_T2_T3_mmT4_T5_P12ihipStream_tbEUlRKxE_EESM_SQ_SR_mSS_SV_bEUlT_E_NS1_11comp_targetILNS1_3genE3ELNS1_11target_archE908ELNS1_3gpuE7ELNS1_3repE0EEENS1_30default_config_static_selectorELNS0_4arch9wavefront6targetE1EEEvSP_,"axG",@progbits,_ZN7rocprim17ROCPRIM_400000_NS6detail17trampoline_kernelINS0_14default_configENS1_27upper_bound_config_selectorIxiEEZNS1_14transform_implILb0ES3_S5_N6thrust23THRUST_200600_302600_NS6detail15normal_iteratorINS8_10device_ptrIxEEEENSA_INSB_IiEEEEZNS1_13binary_searchIS3_S5_SD_SD_SF_NS1_21upper_bound_search_opENS9_16wrapped_functionINS0_4lessIvEEbEEEE10hipError_tPvRmT1_T2_T3_mmT4_T5_P12ihipStream_tbEUlRKxE_EESM_SQ_SR_mSS_SV_bEUlT_E_NS1_11comp_targetILNS1_3genE3ELNS1_11target_archE908ELNS1_3gpuE7ELNS1_3repE0EEENS1_30default_config_static_selectorELNS0_4arch9wavefront6targetE1EEEvSP_,comdat
	.protected	_ZN7rocprim17ROCPRIM_400000_NS6detail17trampoline_kernelINS0_14default_configENS1_27upper_bound_config_selectorIxiEEZNS1_14transform_implILb0ES3_S5_N6thrust23THRUST_200600_302600_NS6detail15normal_iteratorINS8_10device_ptrIxEEEENSA_INSB_IiEEEEZNS1_13binary_searchIS3_S5_SD_SD_SF_NS1_21upper_bound_search_opENS9_16wrapped_functionINS0_4lessIvEEbEEEE10hipError_tPvRmT1_T2_T3_mmT4_T5_P12ihipStream_tbEUlRKxE_EESM_SQ_SR_mSS_SV_bEUlT_E_NS1_11comp_targetILNS1_3genE3ELNS1_11target_archE908ELNS1_3gpuE7ELNS1_3repE0EEENS1_30default_config_static_selectorELNS0_4arch9wavefront6targetE1EEEvSP_ ; -- Begin function _ZN7rocprim17ROCPRIM_400000_NS6detail17trampoline_kernelINS0_14default_configENS1_27upper_bound_config_selectorIxiEEZNS1_14transform_implILb0ES3_S5_N6thrust23THRUST_200600_302600_NS6detail15normal_iteratorINS8_10device_ptrIxEEEENSA_INSB_IiEEEEZNS1_13binary_searchIS3_S5_SD_SD_SF_NS1_21upper_bound_search_opENS9_16wrapped_functionINS0_4lessIvEEbEEEE10hipError_tPvRmT1_T2_T3_mmT4_T5_P12ihipStream_tbEUlRKxE_EESM_SQ_SR_mSS_SV_bEUlT_E_NS1_11comp_targetILNS1_3genE3ELNS1_11target_archE908ELNS1_3gpuE7ELNS1_3repE0EEENS1_30default_config_static_selectorELNS0_4arch9wavefront6targetE1EEEvSP_
	.globl	_ZN7rocprim17ROCPRIM_400000_NS6detail17trampoline_kernelINS0_14default_configENS1_27upper_bound_config_selectorIxiEEZNS1_14transform_implILb0ES3_S5_N6thrust23THRUST_200600_302600_NS6detail15normal_iteratorINS8_10device_ptrIxEEEENSA_INSB_IiEEEEZNS1_13binary_searchIS3_S5_SD_SD_SF_NS1_21upper_bound_search_opENS9_16wrapped_functionINS0_4lessIvEEbEEEE10hipError_tPvRmT1_T2_T3_mmT4_T5_P12ihipStream_tbEUlRKxE_EESM_SQ_SR_mSS_SV_bEUlT_E_NS1_11comp_targetILNS1_3genE3ELNS1_11target_archE908ELNS1_3gpuE7ELNS1_3repE0EEENS1_30default_config_static_selectorELNS0_4arch9wavefront6targetE1EEEvSP_
	.p2align	8
	.type	_ZN7rocprim17ROCPRIM_400000_NS6detail17trampoline_kernelINS0_14default_configENS1_27upper_bound_config_selectorIxiEEZNS1_14transform_implILb0ES3_S5_N6thrust23THRUST_200600_302600_NS6detail15normal_iteratorINS8_10device_ptrIxEEEENSA_INSB_IiEEEEZNS1_13binary_searchIS3_S5_SD_SD_SF_NS1_21upper_bound_search_opENS9_16wrapped_functionINS0_4lessIvEEbEEEE10hipError_tPvRmT1_T2_T3_mmT4_T5_P12ihipStream_tbEUlRKxE_EESM_SQ_SR_mSS_SV_bEUlT_E_NS1_11comp_targetILNS1_3genE3ELNS1_11target_archE908ELNS1_3gpuE7ELNS1_3repE0EEENS1_30default_config_static_selectorELNS0_4arch9wavefront6targetE1EEEvSP_,@function
_ZN7rocprim17ROCPRIM_400000_NS6detail17trampoline_kernelINS0_14default_configENS1_27upper_bound_config_selectorIxiEEZNS1_14transform_implILb0ES3_S5_N6thrust23THRUST_200600_302600_NS6detail15normal_iteratorINS8_10device_ptrIxEEEENSA_INSB_IiEEEEZNS1_13binary_searchIS3_S5_SD_SD_SF_NS1_21upper_bound_search_opENS9_16wrapped_functionINS0_4lessIvEEbEEEE10hipError_tPvRmT1_T2_T3_mmT4_T5_P12ihipStream_tbEUlRKxE_EESM_SQ_SR_mSS_SV_bEUlT_E_NS1_11comp_targetILNS1_3genE3ELNS1_11target_archE908ELNS1_3gpuE7ELNS1_3repE0EEENS1_30default_config_static_selectorELNS0_4arch9wavefront6targetE1EEEvSP_: ; @_ZN7rocprim17ROCPRIM_400000_NS6detail17trampoline_kernelINS0_14default_configENS1_27upper_bound_config_selectorIxiEEZNS1_14transform_implILb0ES3_S5_N6thrust23THRUST_200600_302600_NS6detail15normal_iteratorINS8_10device_ptrIxEEEENSA_INSB_IiEEEEZNS1_13binary_searchIS3_S5_SD_SD_SF_NS1_21upper_bound_search_opENS9_16wrapped_functionINS0_4lessIvEEbEEEE10hipError_tPvRmT1_T2_T3_mmT4_T5_P12ihipStream_tbEUlRKxE_EESM_SQ_SR_mSS_SV_bEUlT_E_NS1_11comp_targetILNS1_3genE3ELNS1_11target_archE908ELNS1_3gpuE7ELNS1_3repE0EEENS1_30default_config_static_selectorELNS0_4arch9wavefront6targetE1EEEvSP_
; %bb.0:
	.section	.rodata,"a",@progbits
	.p2align	6, 0x0
	.amdhsa_kernel _ZN7rocprim17ROCPRIM_400000_NS6detail17trampoline_kernelINS0_14default_configENS1_27upper_bound_config_selectorIxiEEZNS1_14transform_implILb0ES3_S5_N6thrust23THRUST_200600_302600_NS6detail15normal_iteratorINS8_10device_ptrIxEEEENSA_INSB_IiEEEEZNS1_13binary_searchIS3_S5_SD_SD_SF_NS1_21upper_bound_search_opENS9_16wrapped_functionINS0_4lessIvEEbEEEE10hipError_tPvRmT1_T2_T3_mmT4_T5_P12ihipStream_tbEUlRKxE_EESM_SQ_SR_mSS_SV_bEUlT_E_NS1_11comp_targetILNS1_3genE3ELNS1_11target_archE908ELNS1_3gpuE7ELNS1_3repE0EEENS1_30default_config_static_selectorELNS0_4arch9wavefront6targetE1EEEvSP_
		.amdhsa_group_segment_fixed_size 0
		.amdhsa_private_segment_fixed_size 0
		.amdhsa_kernarg_size 56
		.amdhsa_user_sgpr_count 6
		.amdhsa_user_sgpr_private_segment_buffer 1
		.amdhsa_user_sgpr_dispatch_ptr 0
		.amdhsa_user_sgpr_queue_ptr 0
		.amdhsa_user_sgpr_kernarg_segment_ptr 1
		.amdhsa_user_sgpr_dispatch_id 0
		.amdhsa_user_sgpr_flat_scratch_init 0
		.amdhsa_user_sgpr_kernarg_preload_length 0
		.amdhsa_user_sgpr_kernarg_preload_offset 0
		.amdhsa_user_sgpr_private_segment_size 0
		.amdhsa_uses_dynamic_stack 0
		.amdhsa_system_sgpr_private_segment_wavefront_offset 0
		.amdhsa_system_sgpr_workgroup_id_x 1
		.amdhsa_system_sgpr_workgroup_id_y 0
		.amdhsa_system_sgpr_workgroup_id_z 0
		.amdhsa_system_sgpr_workgroup_info 0
		.amdhsa_system_vgpr_workitem_id 0
		.amdhsa_next_free_vgpr 1
		.amdhsa_next_free_sgpr 0
		.amdhsa_accum_offset 4
		.amdhsa_reserve_vcc 0
		.amdhsa_reserve_flat_scratch 0
		.amdhsa_float_round_mode_32 0
		.amdhsa_float_round_mode_16_64 0
		.amdhsa_float_denorm_mode_32 3
		.amdhsa_float_denorm_mode_16_64 3
		.amdhsa_dx10_clamp 1
		.amdhsa_ieee_mode 1
		.amdhsa_fp16_overflow 0
		.amdhsa_tg_split 0
		.amdhsa_exception_fp_ieee_invalid_op 0
		.amdhsa_exception_fp_denorm_src 0
		.amdhsa_exception_fp_ieee_div_zero 0
		.amdhsa_exception_fp_ieee_overflow 0
		.amdhsa_exception_fp_ieee_underflow 0
		.amdhsa_exception_fp_ieee_inexact 0
		.amdhsa_exception_int_div_zero 0
	.end_amdhsa_kernel
	.section	.text._ZN7rocprim17ROCPRIM_400000_NS6detail17trampoline_kernelINS0_14default_configENS1_27upper_bound_config_selectorIxiEEZNS1_14transform_implILb0ES3_S5_N6thrust23THRUST_200600_302600_NS6detail15normal_iteratorINS8_10device_ptrIxEEEENSA_INSB_IiEEEEZNS1_13binary_searchIS3_S5_SD_SD_SF_NS1_21upper_bound_search_opENS9_16wrapped_functionINS0_4lessIvEEbEEEE10hipError_tPvRmT1_T2_T3_mmT4_T5_P12ihipStream_tbEUlRKxE_EESM_SQ_SR_mSS_SV_bEUlT_E_NS1_11comp_targetILNS1_3genE3ELNS1_11target_archE908ELNS1_3gpuE7ELNS1_3repE0EEENS1_30default_config_static_selectorELNS0_4arch9wavefront6targetE1EEEvSP_,"axG",@progbits,_ZN7rocprim17ROCPRIM_400000_NS6detail17trampoline_kernelINS0_14default_configENS1_27upper_bound_config_selectorIxiEEZNS1_14transform_implILb0ES3_S5_N6thrust23THRUST_200600_302600_NS6detail15normal_iteratorINS8_10device_ptrIxEEEENSA_INSB_IiEEEEZNS1_13binary_searchIS3_S5_SD_SD_SF_NS1_21upper_bound_search_opENS9_16wrapped_functionINS0_4lessIvEEbEEEE10hipError_tPvRmT1_T2_T3_mmT4_T5_P12ihipStream_tbEUlRKxE_EESM_SQ_SR_mSS_SV_bEUlT_E_NS1_11comp_targetILNS1_3genE3ELNS1_11target_archE908ELNS1_3gpuE7ELNS1_3repE0EEENS1_30default_config_static_selectorELNS0_4arch9wavefront6targetE1EEEvSP_,comdat
.Lfunc_end378:
	.size	_ZN7rocprim17ROCPRIM_400000_NS6detail17trampoline_kernelINS0_14default_configENS1_27upper_bound_config_selectorIxiEEZNS1_14transform_implILb0ES3_S5_N6thrust23THRUST_200600_302600_NS6detail15normal_iteratorINS8_10device_ptrIxEEEENSA_INSB_IiEEEEZNS1_13binary_searchIS3_S5_SD_SD_SF_NS1_21upper_bound_search_opENS9_16wrapped_functionINS0_4lessIvEEbEEEE10hipError_tPvRmT1_T2_T3_mmT4_T5_P12ihipStream_tbEUlRKxE_EESM_SQ_SR_mSS_SV_bEUlT_E_NS1_11comp_targetILNS1_3genE3ELNS1_11target_archE908ELNS1_3gpuE7ELNS1_3repE0EEENS1_30default_config_static_selectorELNS0_4arch9wavefront6targetE1EEEvSP_, .Lfunc_end378-_ZN7rocprim17ROCPRIM_400000_NS6detail17trampoline_kernelINS0_14default_configENS1_27upper_bound_config_selectorIxiEEZNS1_14transform_implILb0ES3_S5_N6thrust23THRUST_200600_302600_NS6detail15normal_iteratorINS8_10device_ptrIxEEEENSA_INSB_IiEEEEZNS1_13binary_searchIS3_S5_SD_SD_SF_NS1_21upper_bound_search_opENS9_16wrapped_functionINS0_4lessIvEEbEEEE10hipError_tPvRmT1_T2_T3_mmT4_T5_P12ihipStream_tbEUlRKxE_EESM_SQ_SR_mSS_SV_bEUlT_E_NS1_11comp_targetILNS1_3genE3ELNS1_11target_archE908ELNS1_3gpuE7ELNS1_3repE0EEENS1_30default_config_static_selectorELNS0_4arch9wavefront6targetE1EEEvSP_
                                        ; -- End function
	.section	.AMDGPU.csdata,"",@progbits
; Kernel info:
; codeLenInByte = 0
; NumSgprs: 4
; NumVgprs: 0
; NumAgprs: 0
; TotalNumVgprs: 0
; ScratchSize: 0
; MemoryBound: 0
; FloatMode: 240
; IeeeMode: 1
; LDSByteSize: 0 bytes/workgroup (compile time only)
; SGPRBlocks: 0
; VGPRBlocks: 0
; NumSGPRsForWavesPerEU: 4
; NumVGPRsForWavesPerEU: 1
; AccumOffset: 4
; Occupancy: 8
; WaveLimiterHint : 0
; COMPUTE_PGM_RSRC2:SCRATCH_EN: 0
; COMPUTE_PGM_RSRC2:USER_SGPR: 6
; COMPUTE_PGM_RSRC2:TRAP_HANDLER: 0
; COMPUTE_PGM_RSRC2:TGID_X_EN: 1
; COMPUTE_PGM_RSRC2:TGID_Y_EN: 0
; COMPUTE_PGM_RSRC2:TGID_Z_EN: 0
; COMPUTE_PGM_RSRC2:TIDIG_COMP_CNT: 0
; COMPUTE_PGM_RSRC3_GFX90A:ACCUM_OFFSET: 0
; COMPUTE_PGM_RSRC3_GFX90A:TG_SPLIT: 0
	.section	.text._ZN7rocprim17ROCPRIM_400000_NS6detail17trampoline_kernelINS0_14default_configENS1_27upper_bound_config_selectorIxiEEZNS1_14transform_implILb0ES3_S5_N6thrust23THRUST_200600_302600_NS6detail15normal_iteratorINS8_10device_ptrIxEEEENSA_INSB_IiEEEEZNS1_13binary_searchIS3_S5_SD_SD_SF_NS1_21upper_bound_search_opENS9_16wrapped_functionINS0_4lessIvEEbEEEE10hipError_tPvRmT1_T2_T3_mmT4_T5_P12ihipStream_tbEUlRKxE_EESM_SQ_SR_mSS_SV_bEUlT_E_NS1_11comp_targetILNS1_3genE2ELNS1_11target_archE906ELNS1_3gpuE6ELNS1_3repE0EEENS1_30default_config_static_selectorELNS0_4arch9wavefront6targetE1EEEvSP_,"axG",@progbits,_ZN7rocprim17ROCPRIM_400000_NS6detail17trampoline_kernelINS0_14default_configENS1_27upper_bound_config_selectorIxiEEZNS1_14transform_implILb0ES3_S5_N6thrust23THRUST_200600_302600_NS6detail15normal_iteratorINS8_10device_ptrIxEEEENSA_INSB_IiEEEEZNS1_13binary_searchIS3_S5_SD_SD_SF_NS1_21upper_bound_search_opENS9_16wrapped_functionINS0_4lessIvEEbEEEE10hipError_tPvRmT1_T2_T3_mmT4_T5_P12ihipStream_tbEUlRKxE_EESM_SQ_SR_mSS_SV_bEUlT_E_NS1_11comp_targetILNS1_3genE2ELNS1_11target_archE906ELNS1_3gpuE6ELNS1_3repE0EEENS1_30default_config_static_selectorELNS0_4arch9wavefront6targetE1EEEvSP_,comdat
	.protected	_ZN7rocprim17ROCPRIM_400000_NS6detail17trampoline_kernelINS0_14default_configENS1_27upper_bound_config_selectorIxiEEZNS1_14transform_implILb0ES3_S5_N6thrust23THRUST_200600_302600_NS6detail15normal_iteratorINS8_10device_ptrIxEEEENSA_INSB_IiEEEEZNS1_13binary_searchIS3_S5_SD_SD_SF_NS1_21upper_bound_search_opENS9_16wrapped_functionINS0_4lessIvEEbEEEE10hipError_tPvRmT1_T2_T3_mmT4_T5_P12ihipStream_tbEUlRKxE_EESM_SQ_SR_mSS_SV_bEUlT_E_NS1_11comp_targetILNS1_3genE2ELNS1_11target_archE906ELNS1_3gpuE6ELNS1_3repE0EEENS1_30default_config_static_selectorELNS0_4arch9wavefront6targetE1EEEvSP_ ; -- Begin function _ZN7rocprim17ROCPRIM_400000_NS6detail17trampoline_kernelINS0_14default_configENS1_27upper_bound_config_selectorIxiEEZNS1_14transform_implILb0ES3_S5_N6thrust23THRUST_200600_302600_NS6detail15normal_iteratorINS8_10device_ptrIxEEEENSA_INSB_IiEEEEZNS1_13binary_searchIS3_S5_SD_SD_SF_NS1_21upper_bound_search_opENS9_16wrapped_functionINS0_4lessIvEEbEEEE10hipError_tPvRmT1_T2_T3_mmT4_T5_P12ihipStream_tbEUlRKxE_EESM_SQ_SR_mSS_SV_bEUlT_E_NS1_11comp_targetILNS1_3genE2ELNS1_11target_archE906ELNS1_3gpuE6ELNS1_3repE0EEENS1_30default_config_static_selectorELNS0_4arch9wavefront6targetE1EEEvSP_
	.globl	_ZN7rocprim17ROCPRIM_400000_NS6detail17trampoline_kernelINS0_14default_configENS1_27upper_bound_config_selectorIxiEEZNS1_14transform_implILb0ES3_S5_N6thrust23THRUST_200600_302600_NS6detail15normal_iteratorINS8_10device_ptrIxEEEENSA_INSB_IiEEEEZNS1_13binary_searchIS3_S5_SD_SD_SF_NS1_21upper_bound_search_opENS9_16wrapped_functionINS0_4lessIvEEbEEEE10hipError_tPvRmT1_T2_T3_mmT4_T5_P12ihipStream_tbEUlRKxE_EESM_SQ_SR_mSS_SV_bEUlT_E_NS1_11comp_targetILNS1_3genE2ELNS1_11target_archE906ELNS1_3gpuE6ELNS1_3repE0EEENS1_30default_config_static_selectorELNS0_4arch9wavefront6targetE1EEEvSP_
	.p2align	8
	.type	_ZN7rocprim17ROCPRIM_400000_NS6detail17trampoline_kernelINS0_14default_configENS1_27upper_bound_config_selectorIxiEEZNS1_14transform_implILb0ES3_S5_N6thrust23THRUST_200600_302600_NS6detail15normal_iteratorINS8_10device_ptrIxEEEENSA_INSB_IiEEEEZNS1_13binary_searchIS3_S5_SD_SD_SF_NS1_21upper_bound_search_opENS9_16wrapped_functionINS0_4lessIvEEbEEEE10hipError_tPvRmT1_T2_T3_mmT4_T5_P12ihipStream_tbEUlRKxE_EESM_SQ_SR_mSS_SV_bEUlT_E_NS1_11comp_targetILNS1_3genE2ELNS1_11target_archE906ELNS1_3gpuE6ELNS1_3repE0EEENS1_30default_config_static_selectorELNS0_4arch9wavefront6targetE1EEEvSP_,@function
_ZN7rocprim17ROCPRIM_400000_NS6detail17trampoline_kernelINS0_14default_configENS1_27upper_bound_config_selectorIxiEEZNS1_14transform_implILb0ES3_S5_N6thrust23THRUST_200600_302600_NS6detail15normal_iteratorINS8_10device_ptrIxEEEENSA_INSB_IiEEEEZNS1_13binary_searchIS3_S5_SD_SD_SF_NS1_21upper_bound_search_opENS9_16wrapped_functionINS0_4lessIvEEbEEEE10hipError_tPvRmT1_T2_T3_mmT4_T5_P12ihipStream_tbEUlRKxE_EESM_SQ_SR_mSS_SV_bEUlT_E_NS1_11comp_targetILNS1_3genE2ELNS1_11target_archE906ELNS1_3gpuE6ELNS1_3repE0EEENS1_30default_config_static_selectorELNS0_4arch9wavefront6targetE1EEEvSP_: ; @_ZN7rocprim17ROCPRIM_400000_NS6detail17trampoline_kernelINS0_14default_configENS1_27upper_bound_config_selectorIxiEEZNS1_14transform_implILb0ES3_S5_N6thrust23THRUST_200600_302600_NS6detail15normal_iteratorINS8_10device_ptrIxEEEENSA_INSB_IiEEEEZNS1_13binary_searchIS3_S5_SD_SD_SF_NS1_21upper_bound_search_opENS9_16wrapped_functionINS0_4lessIvEEbEEEE10hipError_tPvRmT1_T2_T3_mmT4_T5_P12ihipStream_tbEUlRKxE_EESM_SQ_SR_mSS_SV_bEUlT_E_NS1_11comp_targetILNS1_3genE2ELNS1_11target_archE906ELNS1_3gpuE6ELNS1_3repE0EEENS1_30default_config_static_selectorELNS0_4arch9wavefront6targetE1EEEvSP_
; %bb.0:
	.section	.rodata,"a",@progbits
	.p2align	6, 0x0
	.amdhsa_kernel _ZN7rocprim17ROCPRIM_400000_NS6detail17trampoline_kernelINS0_14default_configENS1_27upper_bound_config_selectorIxiEEZNS1_14transform_implILb0ES3_S5_N6thrust23THRUST_200600_302600_NS6detail15normal_iteratorINS8_10device_ptrIxEEEENSA_INSB_IiEEEEZNS1_13binary_searchIS3_S5_SD_SD_SF_NS1_21upper_bound_search_opENS9_16wrapped_functionINS0_4lessIvEEbEEEE10hipError_tPvRmT1_T2_T3_mmT4_T5_P12ihipStream_tbEUlRKxE_EESM_SQ_SR_mSS_SV_bEUlT_E_NS1_11comp_targetILNS1_3genE2ELNS1_11target_archE906ELNS1_3gpuE6ELNS1_3repE0EEENS1_30default_config_static_selectorELNS0_4arch9wavefront6targetE1EEEvSP_
		.amdhsa_group_segment_fixed_size 0
		.amdhsa_private_segment_fixed_size 0
		.amdhsa_kernarg_size 56
		.amdhsa_user_sgpr_count 6
		.amdhsa_user_sgpr_private_segment_buffer 1
		.amdhsa_user_sgpr_dispatch_ptr 0
		.amdhsa_user_sgpr_queue_ptr 0
		.amdhsa_user_sgpr_kernarg_segment_ptr 1
		.amdhsa_user_sgpr_dispatch_id 0
		.amdhsa_user_sgpr_flat_scratch_init 0
		.amdhsa_user_sgpr_kernarg_preload_length 0
		.amdhsa_user_sgpr_kernarg_preload_offset 0
		.amdhsa_user_sgpr_private_segment_size 0
		.amdhsa_uses_dynamic_stack 0
		.amdhsa_system_sgpr_private_segment_wavefront_offset 0
		.amdhsa_system_sgpr_workgroup_id_x 1
		.amdhsa_system_sgpr_workgroup_id_y 0
		.amdhsa_system_sgpr_workgroup_id_z 0
		.amdhsa_system_sgpr_workgroup_info 0
		.amdhsa_system_vgpr_workitem_id 0
		.amdhsa_next_free_vgpr 1
		.amdhsa_next_free_sgpr 0
		.amdhsa_accum_offset 4
		.amdhsa_reserve_vcc 0
		.amdhsa_reserve_flat_scratch 0
		.amdhsa_float_round_mode_32 0
		.amdhsa_float_round_mode_16_64 0
		.amdhsa_float_denorm_mode_32 3
		.amdhsa_float_denorm_mode_16_64 3
		.amdhsa_dx10_clamp 1
		.amdhsa_ieee_mode 1
		.amdhsa_fp16_overflow 0
		.amdhsa_tg_split 0
		.amdhsa_exception_fp_ieee_invalid_op 0
		.amdhsa_exception_fp_denorm_src 0
		.amdhsa_exception_fp_ieee_div_zero 0
		.amdhsa_exception_fp_ieee_overflow 0
		.amdhsa_exception_fp_ieee_underflow 0
		.amdhsa_exception_fp_ieee_inexact 0
		.amdhsa_exception_int_div_zero 0
	.end_amdhsa_kernel
	.section	.text._ZN7rocprim17ROCPRIM_400000_NS6detail17trampoline_kernelINS0_14default_configENS1_27upper_bound_config_selectorIxiEEZNS1_14transform_implILb0ES3_S5_N6thrust23THRUST_200600_302600_NS6detail15normal_iteratorINS8_10device_ptrIxEEEENSA_INSB_IiEEEEZNS1_13binary_searchIS3_S5_SD_SD_SF_NS1_21upper_bound_search_opENS9_16wrapped_functionINS0_4lessIvEEbEEEE10hipError_tPvRmT1_T2_T3_mmT4_T5_P12ihipStream_tbEUlRKxE_EESM_SQ_SR_mSS_SV_bEUlT_E_NS1_11comp_targetILNS1_3genE2ELNS1_11target_archE906ELNS1_3gpuE6ELNS1_3repE0EEENS1_30default_config_static_selectorELNS0_4arch9wavefront6targetE1EEEvSP_,"axG",@progbits,_ZN7rocprim17ROCPRIM_400000_NS6detail17trampoline_kernelINS0_14default_configENS1_27upper_bound_config_selectorIxiEEZNS1_14transform_implILb0ES3_S5_N6thrust23THRUST_200600_302600_NS6detail15normal_iteratorINS8_10device_ptrIxEEEENSA_INSB_IiEEEEZNS1_13binary_searchIS3_S5_SD_SD_SF_NS1_21upper_bound_search_opENS9_16wrapped_functionINS0_4lessIvEEbEEEE10hipError_tPvRmT1_T2_T3_mmT4_T5_P12ihipStream_tbEUlRKxE_EESM_SQ_SR_mSS_SV_bEUlT_E_NS1_11comp_targetILNS1_3genE2ELNS1_11target_archE906ELNS1_3gpuE6ELNS1_3repE0EEENS1_30default_config_static_selectorELNS0_4arch9wavefront6targetE1EEEvSP_,comdat
.Lfunc_end379:
	.size	_ZN7rocprim17ROCPRIM_400000_NS6detail17trampoline_kernelINS0_14default_configENS1_27upper_bound_config_selectorIxiEEZNS1_14transform_implILb0ES3_S5_N6thrust23THRUST_200600_302600_NS6detail15normal_iteratorINS8_10device_ptrIxEEEENSA_INSB_IiEEEEZNS1_13binary_searchIS3_S5_SD_SD_SF_NS1_21upper_bound_search_opENS9_16wrapped_functionINS0_4lessIvEEbEEEE10hipError_tPvRmT1_T2_T3_mmT4_T5_P12ihipStream_tbEUlRKxE_EESM_SQ_SR_mSS_SV_bEUlT_E_NS1_11comp_targetILNS1_3genE2ELNS1_11target_archE906ELNS1_3gpuE6ELNS1_3repE0EEENS1_30default_config_static_selectorELNS0_4arch9wavefront6targetE1EEEvSP_, .Lfunc_end379-_ZN7rocprim17ROCPRIM_400000_NS6detail17trampoline_kernelINS0_14default_configENS1_27upper_bound_config_selectorIxiEEZNS1_14transform_implILb0ES3_S5_N6thrust23THRUST_200600_302600_NS6detail15normal_iteratorINS8_10device_ptrIxEEEENSA_INSB_IiEEEEZNS1_13binary_searchIS3_S5_SD_SD_SF_NS1_21upper_bound_search_opENS9_16wrapped_functionINS0_4lessIvEEbEEEE10hipError_tPvRmT1_T2_T3_mmT4_T5_P12ihipStream_tbEUlRKxE_EESM_SQ_SR_mSS_SV_bEUlT_E_NS1_11comp_targetILNS1_3genE2ELNS1_11target_archE906ELNS1_3gpuE6ELNS1_3repE0EEENS1_30default_config_static_selectorELNS0_4arch9wavefront6targetE1EEEvSP_
                                        ; -- End function
	.section	.AMDGPU.csdata,"",@progbits
; Kernel info:
; codeLenInByte = 0
; NumSgprs: 4
; NumVgprs: 0
; NumAgprs: 0
; TotalNumVgprs: 0
; ScratchSize: 0
; MemoryBound: 0
; FloatMode: 240
; IeeeMode: 1
; LDSByteSize: 0 bytes/workgroup (compile time only)
; SGPRBlocks: 0
; VGPRBlocks: 0
; NumSGPRsForWavesPerEU: 4
; NumVGPRsForWavesPerEU: 1
; AccumOffset: 4
; Occupancy: 8
; WaveLimiterHint : 0
; COMPUTE_PGM_RSRC2:SCRATCH_EN: 0
; COMPUTE_PGM_RSRC2:USER_SGPR: 6
; COMPUTE_PGM_RSRC2:TRAP_HANDLER: 0
; COMPUTE_PGM_RSRC2:TGID_X_EN: 1
; COMPUTE_PGM_RSRC2:TGID_Y_EN: 0
; COMPUTE_PGM_RSRC2:TGID_Z_EN: 0
; COMPUTE_PGM_RSRC2:TIDIG_COMP_CNT: 0
; COMPUTE_PGM_RSRC3_GFX90A:ACCUM_OFFSET: 0
; COMPUTE_PGM_RSRC3_GFX90A:TG_SPLIT: 0
	.section	.text._ZN7rocprim17ROCPRIM_400000_NS6detail17trampoline_kernelINS0_14default_configENS1_27upper_bound_config_selectorIxiEEZNS1_14transform_implILb0ES3_S5_N6thrust23THRUST_200600_302600_NS6detail15normal_iteratorINS8_10device_ptrIxEEEENSA_INSB_IiEEEEZNS1_13binary_searchIS3_S5_SD_SD_SF_NS1_21upper_bound_search_opENS9_16wrapped_functionINS0_4lessIvEEbEEEE10hipError_tPvRmT1_T2_T3_mmT4_T5_P12ihipStream_tbEUlRKxE_EESM_SQ_SR_mSS_SV_bEUlT_E_NS1_11comp_targetILNS1_3genE10ELNS1_11target_archE1201ELNS1_3gpuE5ELNS1_3repE0EEENS1_30default_config_static_selectorELNS0_4arch9wavefront6targetE1EEEvSP_,"axG",@progbits,_ZN7rocprim17ROCPRIM_400000_NS6detail17trampoline_kernelINS0_14default_configENS1_27upper_bound_config_selectorIxiEEZNS1_14transform_implILb0ES3_S5_N6thrust23THRUST_200600_302600_NS6detail15normal_iteratorINS8_10device_ptrIxEEEENSA_INSB_IiEEEEZNS1_13binary_searchIS3_S5_SD_SD_SF_NS1_21upper_bound_search_opENS9_16wrapped_functionINS0_4lessIvEEbEEEE10hipError_tPvRmT1_T2_T3_mmT4_T5_P12ihipStream_tbEUlRKxE_EESM_SQ_SR_mSS_SV_bEUlT_E_NS1_11comp_targetILNS1_3genE10ELNS1_11target_archE1201ELNS1_3gpuE5ELNS1_3repE0EEENS1_30default_config_static_selectorELNS0_4arch9wavefront6targetE1EEEvSP_,comdat
	.protected	_ZN7rocprim17ROCPRIM_400000_NS6detail17trampoline_kernelINS0_14default_configENS1_27upper_bound_config_selectorIxiEEZNS1_14transform_implILb0ES3_S5_N6thrust23THRUST_200600_302600_NS6detail15normal_iteratorINS8_10device_ptrIxEEEENSA_INSB_IiEEEEZNS1_13binary_searchIS3_S5_SD_SD_SF_NS1_21upper_bound_search_opENS9_16wrapped_functionINS0_4lessIvEEbEEEE10hipError_tPvRmT1_T2_T3_mmT4_T5_P12ihipStream_tbEUlRKxE_EESM_SQ_SR_mSS_SV_bEUlT_E_NS1_11comp_targetILNS1_3genE10ELNS1_11target_archE1201ELNS1_3gpuE5ELNS1_3repE0EEENS1_30default_config_static_selectorELNS0_4arch9wavefront6targetE1EEEvSP_ ; -- Begin function _ZN7rocprim17ROCPRIM_400000_NS6detail17trampoline_kernelINS0_14default_configENS1_27upper_bound_config_selectorIxiEEZNS1_14transform_implILb0ES3_S5_N6thrust23THRUST_200600_302600_NS6detail15normal_iteratorINS8_10device_ptrIxEEEENSA_INSB_IiEEEEZNS1_13binary_searchIS3_S5_SD_SD_SF_NS1_21upper_bound_search_opENS9_16wrapped_functionINS0_4lessIvEEbEEEE10hipError_tPvRmT1_T2_T3_mmT4_T5_P12ihipStream_tbEUlRKxE_EESM_SQ_SR_mSS_SV_bEUlT_E_NS1_11comp_targetILNS1_3genE10ELNS1_11target_archE1201ELNS1_3gpuE5ELNS1_3repE0EEENS1_30default_config_static_selectorELNS0_4arch9wavefront6targetE1EEEvSP_
	.globl	_ZN7rocprim17ROCPRIM_400000_NS6detail17trampoline_kernelINS0_14default_configENS1_27upper_bound_config_selectorIxiEEZNS1_14transform_implILb0ES3_S5_N6thrust23THRUST_200600_302600_NS6detail15normal_iteratorINS8_10device_ptrIxEEEENSA_INSB_IiEEEEZNS1_13binary_searchIS3_S5_SD_SD_SF_NS1_21upper_bound_search_opENS9_16wrapped_functionINS0_4lessIvEEbEEEE10hipError_tPvRmT1_T2_T3_mmT4_T5_P12ihipStream_tbEUlRKxE_EESM_SQ_SR_mSS_SV_bEUlT_E_NS1_11comp_targetILNS1_3genE10ELNS1_11target_archE1201ELNS1_3gpuE5ELNS1_3repE0EEENS1_30default_config_static_selectorELNS0_4arch9wavefront6targetE1EEEvSP_
	.p2align	8
	.type	_ZN7rocprim17ROCPRIM_400000_NS6detail17trampoline_kernelINS0_14default_configENS1_27upper_bound_config_selectorIxiEEZNS1_14transform_implILb0ES3_S5_N6thrust23THRUST_200600_302600_NS6detail15normal_iteratorINS8_10device_ptrIxEEEENSA_INSB_IiEEEEZNS1_13binary_searchIS3_S5_SD_SD_SF_NS1_21upper_bound_search_opENS9_16wrapped_functionINS0_4lessIvEEbEEEE10hipError_tPvRmT1_T2_T3_mmT4_T5_P12ihipStream_tbEUlRKxE_EESM_SQ_SR_mSS_SV_bEUlT_E_NS1_11comp_targetILNS1_3genE10ELNS1_11target_archE1201ELNS1_3gpuE5ELNS1_3repE0EEENS1_30default_config_static_selectorELNS0_4arch9wavefront6targetE1EEEvSP_,@function
_ZN7rocprim17ROCPRIM_400000_NS6detail17trampoline_kernelINS0_14default_configENS1_27upper_bound_config_selectorIxiEEZNS1_14transform_implILb0ES3_S5_N6thrust23THRUST_200600_302600_NS6detail15normal_iteratorINS8_10device_ptrIxEEEENSA_INSB_IiEEEEZNS1_13binary_searchIS3_S5_SD_SD_SF_NS1_21upper_bound_search_opENS9_16wrapped_functionINS0_4lessIvEEbEEEE10hipError_tPvRmT1_T2_T3_mmT4_T5_P12ihipStream_tbEUlRKxE_EESM_SQ_SR_mSS_SV_bEUlT_E_NS1_11comp_targetILNS1_3genE10ELNS1_11target_archE1201ELNS1_3gpuE5ELNS1_3repE0EEENS1_30default_config_static_selectorELNS0_4arch9wavefront6targetE1EEEvSP_: ; @_ZN7rocprim17ROCPRIM_400000_NS6detail17trampoline_kernelINS0_14default_configENS1_27upper_bound_config_selectorIxiEEZNS1_14transform_implILb0ES3_S5_N6thrust23THRUST_200600_302600_NS6detail15normal_iteratorINS8_10device_ptrIxEEEENSA_INSB_IiEEEEZNS1_13binary_searchIS3_S5_SD_SD_SF_NS1_21upper_bound_search_opENS9_16wrapped_functionINS0_4lessIvEEbEEEE10hipError_tPvRmT1_T2_T3_mmT4_T5_P12ihipStream_tbEUlRKxE_EESM_SQ_SR_mSS_SV_bEUlT_E_NS1_11comp_targetILNS1_3genE10ELNS1_11target_archE1201ELNS1_3gpuE5ELNS1_3repE0EEENS1_30default_config_static_selectorELNS0_4arch9wavefront6targetE1EEEvSP_
; %bb.0:
	.section	.rodata,"a",@progbits
	.p2align	6, 0x0
	.amdhsa_kernel _ZN7rocprim17ROCPRIM_400000_NS6detail17trampoline_kernelINS0_14default_configENS1_27upper_bound_config_selectorIxiEEZNS1_14transform_implILb0ES3_S5_N6thrust23THRUST_200600_302600_NS6detail15normal_iteratorINS8_10device_ptrIxEEEENSA_INSB_IiEEEEZNS1_13binary_searchIS3_S5_SD_SD_SF_NS1_21upper_bound_search_opENS9_16wrapped_functionINS0_4lessIvEEbEEEE10hipError_tPvRmT1_T2_T3_mmT4_T5_P12ihipStream_tbEUlRKxE_EESM_SQ_SR_mSS_SV_bEUlT_E_NS1_11comp_targetILNS1_3genE10ELNS1_11target_archE1201ELNS1_3gpuE5ELNS1_3repE0EEENS1_30default_config_static_selectorELNS0_4arch9wavefront6targetE1EEEvSP_
		.amdhsa_group_segment_fixed_size 0
		.amdhsa_private_segment_fixed_size 0
		.amdhsa_kernarg_size 56
		.amdhsa_user_sgpr_count 6
		.amdhsa_user_sgpr_private_segment_buffer 1
		.amdhsa_user_sgpr_dispatch_ptr 0
		.amdhsa_user_sgpr_queue_ptr 0
		.amdhsa_user_sgpr_kernarg_segment_ptr 1
		.amdhsa_user_sgpr_dispatch_id 0
		.amdhsa_user_sgpr_flat_scratch_init 0
		.amdhsa_user_sgpr_kernarg_preload_length 0
		.amdhsa_user_sgpr_kernarg_preload_offset 0
		.amdhsa_user_sgpr_private_segment_size 0
		.amdhsa_uses_dynamic_stack 0
		.amdhsa_system_sgpr_private_segment_wavefront_offset 0
		.amdhsa_system_sgpr_workgroup_id_x 1
		.amdhsa_system_sgpr_workgroup_id_y 0
		.amdhsa_system_sgpr_workgroup_id_z 0
		.amdhsa_system_sgpr_workgroup_info 0
		.amdhsa_system_vgpr_workitem_id 0
		.amdhsa_next_free_vgpr 1
		.amdhsa_next_free_sgpr 0
		.amdhsa_accum_offset 4
		.amdhsa_reserve_vcc 0
		.amdhsa_reserve_flat_scratch 0
		.amdhsa_float_round_mode_32 0
		.amdhsa_float_round_mode_16_64 0
		.amdhsa_float_denorm_mode_32 3
		.amdhsa_float_denorm_mode_16_64 3
		.amdhsa_dx10_clamp 1
		.amdhsa_ieee_mode 1
		.amdhsa_fp16_overflow 0
		.amdhsa_tg_split 0
		.amdhsa_exception_fp_ieee_invalid_op 0
		.amdhsa_exception_fp_denorm_src 0
		.amdhsa_exception_fp_ieee_div_zero 0
		.amdhsa_exception_fp_ieee_overflow 0
		.amdhsa_exception_fp_ieee_underflow 0
		.amdhsa_exception_fp_ieee_inexact 0
		.amdhsa_exception_int_div_zero 0
	.end_amdhsa_kernel
	.section	.text._ZN7rocprim17ROCPRIM_400000_NS6detail17trampoline_kernelINS0_14default_configENS1_27upper_bound_config_selectorIxiEEZNS1_14transform_implILb0ES3_S5_N6thrust23THRUST_200600_302600_NS6detail15normal_iteratorINS8_10device_ptrIxEEEENSA_INSB_IiEEEEZNS1_13binary_searchIS3_S5_SD_SD_SF_NS1_21upper_bound_search_opENS9_16wrapped_functionINS0_4lessIvEEbEEEE10hipError_tPvRmT1_T2_T3_mmT4_T5_P12ihipStream_tbEUlRKxE_EESM_SQ_SR_mSS_SV_bEUlT_E_NS1_11comp_targetILNS1_3genE10ELNS1_11target_archE1201ELNS1_3gpuE5ELNS1_3repE0EEENS1_30default_config_static_selectorELNS0_4arch9wavefront6targetE1EEEvSP_,"axG",@progbits,_ZN7rocprim17ROCPRIM_400000_NS6detail17trampoline_kernelINS0_14default_configENS1_27upper_bound_config_selectorIxiEEZNS1_14transform_implILb0ES3_S5_N6thrust23THRUST_200600_302600_NS6detail15normal_iteratorINS8_10device_ptrIxEEEENSA_INSB_IiEEEEZNS1_13binary_searchIS3_S5_SD_SD_SF_NS1_21upper_bound_search_opENS9_16wrapped_functionINS0_4lessIvEEbEEEE10hipError_tPvRmT1_T2_T3_mmT4_T5_P12ihipStream_tbEUlRKxE_EESM_SQ_SR_mSS_SV_bEUlT_E_NS1_11comp_targetILNS1_3genE10ELNS1_11target_archE1201ELNS1_3gpuE5ELNS1_3repE0EEENS1_30default_config_static_selectorELNS0_4arch9wavefront6targetE1EEEvSP_,comdat
.Lfunc_end380:
	.size	_ZN7rocprim17ROCPRIM_400000_NS6detail17trampoline_kernelINS0_14default_configENS1_27upper_bound_config_selectorIxiEEZNS1_14transform_implILb0ES3_S5_N6thrust23THRUST_200600_302600_NS6detail15normal_iteratorINS8_10device_ptrIxEEEENSA_INSB_IiEEEEZNS1_13binary_searchIS3_S5_SD_SD_SF_NS1_21upper_bound_search_opENS9_16wrapped_functionINS0_4lessIvEEbEEEE10hipError_tPvRmT1_T2_T3_mmT4_T5_P12ihipStream_tbEUlRKxE_EESM_SQ_SR_mSS_SV_bEUlT_E_NS1_11comp_targetILNS1_3genE10ELNS1_11target_archE1201ELNS1_3gpuE5ELNS1_3repE0EEENS1_30default_config_static_selectorELNS0_4arch9wavefront6targetE1EEEvSP_, .Lfunc_end380-_ZN7rocprim17ROCPRIM_400000_NS6detail17trampoline_kernelINS0_14default_configENS1_27upper_bound_config_selectorIxiEEZNS1_14transform_implILb0ES3_S5_N6thrust23THRUST_200600_302600_NS6detail15normal_iteratorINS8_10device_ptrIxEEEENSA_INSB_IiEEEEZNS1_13binary_searchIS3_S5_SD_SD_SF_NS1_21upper_bound_search_opENS9_16wrapped_functionINS0_4lessIvEEbEEEE10hipError_tPvRmT1_T2_T3_mmT4_T5_P12ihipStream_tbEUlRKxE_EESM_SQ_SR_mSS_SV_bEUlT_E_NS1_11comp_targetILNS1_3genE10ELNS1_11target_archE1201ELNS1_3gpuE5ELNS1_3repE0EEENS1_30default_config_static_selectorELNS0_4arch9wavefront6targetE1EEEvSP_
                                        ; -- End function
	.section	.AMDGPU.csdata,"",@progbits
; Kernel info:
; codeLenInByte = 0
; NumSgprs: 4
; NumVgprs: 0
; NumAgprs: 0
; TotalNumVgprs: 0
; ScratchSize: 0
; MemoryBound: 0
; FloatMode: 240
; IeeeMode: 1
; LDSByteSize: 0 bytes/workgroup (compile time only)
; SGPRBlocks: 0
; VGPRBlocks: 0
; NumSGPRsForWavesPerEU: 4
; NumVGPRsForWavesPerEU: 1
; AccumOffset: 4
; Occupancy: 8
; WaveLimiterHint : 0
; COMPUTE_PGM_RSRC2:SCRATCH_EN: 0
; COMPUTE_PGM_RSRC2:USER_SGPR: 6
; COMPUTE_PGM_RSRC2:TRAP_HANDLER: 0
; COMPUTE_PGM_RSRC2:TGID_X_EN: 1
; COMPUTE_PGM_RSRC2:TGID_Y_EN: 0
; COMPUTE_PGM_RSRC2:TGID_Z_EN: 0
; COMPUTE_PGM_RSRC2:TIDIG_COMP_CNT: 0
; COMPUTE_PGM_RSRC3_GFX90A:ACCUM_OFFSET: 0
; COMPUTE_PGM_RSRC3_GFX90A:TG_SPLIT: 0
	.section	.text._ZN7rocprim17ROCPRIM_400000_NS6detail17trampoline_kernelINS0_14default_configENS1_27upper_bound_config_selectorIxiEEZNS1_14transform_implILb0ES3_S5_N6thrust23THRUST_200600_302600_NS6detail15normal_iteratorINS8_10device_ptrIxEEEENSA_INSB_IiEEEEZNS1_13binary_searchIS3_S5_SD_SD_SF_NS1_21upper_bound_search_opENS9_16wrapped_functionINS0_4lessIvEEbEEEE10hipError_tPvRmT1_T2_T3_mmT4_T5_P12ihipStream_tbEUlRKxE_EESM_SQ_SR_mSS_SV_bEUlT_E_NS1_11comp_targetILNS1_3genE10ELNS1_11target_archE1200ELNS1_3gpuE4ELNS1_3repE0EEENS1_30default_config_static_selectorELNS0_4arch9wavefront6targetE1EEEvSP_,"axG",@progbits,_ZN7rocprim17ROCPRIM_400000_NS6detail17trampoline_kernelINS0_14default_configENS1_27upper_bound_config_selectorIxiEEZNS1_14transform_implILb0ES3_S5_N6thrust23THRUST_200600_302600_NS6detail15normal_iteratorINS8_10device_ptrIxEEEENSA_INSB_IiEEEEZNS1_13binary_searchIS3_S5_SD_SD_SF_NS1_21upper_bound_search_opENS9_16wrapped_functionINS0_4lessIvEEbEEEE10hipError_tPvRmT1_T2_T3_mmT4_T5_P12ihipStream_tbEUlRKxE_EESM_SQ_SR_mSS_SV_bEUlT_E_NS1_11comp_targetILNS1_3genE10ELNS1_11target_archE1200ELNS1_3gpuE4ELNS1_3repE0EEENS1_30default_config_static_selectorELNS0_4arch9wavefront6targetE1EEEvSP_,comdat
	.protected	_ZN7rocprim17ROCPRIM_400000_NS6detail17trampoline_kernelINS0_14default_configENS1_27upper_bound_config_selectorIxiEEZNS1_14transform_implILb0ES3_S5_N6thrust23THRUST_200600_302600_NS6detail15normal_iteratorINS8_10device_ptrIxEEEENSA_INSB_IiEEEEZNS1_13binary_searchIS3_S5_SD_SD_SF_NS1_21upper_bound_search_opENS9_16wrapped_functionINS0_4lessIvEEbEEEE10hipError_tPvRmT1_T2_T3_mmT4_T5_P12ihipStream_tbEUlRKxE_EESM_SQ_SR_mSS_SV_bEUlT_E_NS1_11comp_targetILNS1_3genE10ELNS1_11target_archE1200ELNS1_3gpuE4ELNS1_3repE0EEENS1_30default_config_static_selectorELNS0_4arch9wavefront6targetE1EEEvSP_ ; -- Begin function _ZN7rocprim17ROCPRIM_400000_NS6detail17trampoline_kernelINS0_14default_configENS1_27upper_bound_config_selectorIxiEEZNS1_14transform_implILb0ES3_S5_N6thrust23THRUST_200600_302600_NS6detail15normal_iteratorINS8_10device_ptrIxEEEENSA_INSB_IiEEEEZNS1_13binary_searchIS3_S5_SD_SD_SF_NS1_21upper_bound_search_opENS9_16wrapped_functionINS0_4lessIvEEbEEEE10hipError_tPvRmT1_T2_T3_mmT4_T5_P12ihipStream_tbEUlRKxE_EESM_SQ_SR_mSS_SV_bEUlT_E_NS1_11comp_targetILNS1_3genE10ELNS1_11target_archE1200ELNS1_3gpuE4ELNS1_3repE0EEENS1_30default_config_static_selectorELNS0_4arch9wavefront6targetE1EEEvSP_
	.globl	_ZN7rocprim17ROCPRIM_400000_NS6detail17trampoline_kernelINS0_14default_configENS1_27upper_bound_config_selectorIxiEEZNS1_14transform_implILb0ES3_S5_N6thrust23THRUST_200600_302600_NS6detail15normal_iteratorINS8_10device_ptrIxEEEENSA_INSB_IiEEEEZNS1_13binary_searchIS3_S5_SD_SD_SF_NS1_21upper_bound_search_opENS9_16wrapped_functionINS0_4lessIvEEbEEEE10hipError_tPvRmT1_T2_T3_mmT4_T5_P12ihipStream_tbEUlRKxE_EESM_SQ_SR_mSS_SV_bEUlT_E_NS1_11comp_targetILNS1_3genE10ELNS1_11target_archE1200ELNS1_3gpuE4ELNS1_3repE0EEENS1_30default_config_static_selectorELNS0_4arch9wavefront6targetE1EEEvSP_
	.p2align	8
	.type	_ZN7rocprim17ROCPRIM_400000_NS6detail17trampoline_kernelINS0_14default_configENS1_27upper_bound_config_selectorIxiEEZNS1_14transform_implILb0ES3_S5_N6thrust23THRUST_200600_302600_NS6detail15normal_iteratorINS8_10device_ptrIxEEEENSA_INSB_IiEEEEZNS1_13binary_searchIS3_S5_SD_SD_SF_NS1_21upper_bound_search_opENS9_16wrapped_functionINS0_4lessIvEEbEEEE10hipError_tPvRmT1_T2_T3_mmT4_T5_P12ihipStream_tbEUlRKxE_EESM_SQ_SR_mSS_SV_bEUlT_E_NS1_11comp_targetILNS1_3genE10ELNS1_11target_archE1200ELNS1_3gpuE4ELNS1_3repE0EEENS1_30default_config_static_selectorELNS0_4arch9wavefront6targetE1EEEvSP_,@function
_ZN7rocprim17ROCPRIM_400000_NS6detail17trampoline_kernelINS0_14default_configENS1_27upper_bound_config_selectorIxiEEZNS1_14transform_implILb0ES3_S5_N6thrust23THRUST_200600_302600_NS6detail15normal_iteratorINS8_10device_ptrIxEEEENSA_INSB_IiEEEEZNS1_13binary_searchIS3_S5_SD_SD_SF_NS1_21upper_bound_search_opENS9_16wrapped_functionINS0_4lessIvEEbEEEE10hipError_tPvRmT1_T2_T3_mmT4_T5_P12ihipStream_tbEUlRKxE_EESM_SQ_SR_mSS_SV_bEUlT_E_NS1_11comp_targetILNS1_3genE10ELNS1_11target_archE1200ELNS1_3gpuE4ELNS1_3repE0EEENS1_30default_config_static_selectorELNS0_4arch9wavefront6targetE1EEEvSP_: ; @_ZN7rocprim17ROCPRIM_400000_NS6detail17trampoline_kernelINS0_14default_configENS1_27upper_bound_config_selectorIxiEEZNS1_14transform_implILb0ES3_S5_N6thrust23THRUST_200600_302600_NS6detail15normal_iteratorINS8_10device_ptrIxEEEENSA_INSB_IiEEEEZNS1_13binary_searchIS3_S5_SD_SD_SF_NS1_21upper_bound_search_opENS9_16wrapped_functionINS0_4lessIvEEbEEEE10hipError_tPvRmT1_T2_T3_mmT4_T5_P12ihipStream_tbEUlRKxE_EESM_SQ_SR_mSS_SV_bEUlT_E_NS1_11comp_targetILNS1_3genE10ELNS1_11target_archE1200ELNS1_3gpuE4ELNS1_3repE0EEENS1_30default_config_static_selectorELNS0_4arch9wavefront6targetE1EEEvSP_
; %bb.0:
	.section	.rodata,"a",@progbits
	.p2align	6, 0x0
	.amdhsa_kernel _ZN7rocprim17ROCPRIM_400000_NS6detail17trampoline_kernelINS0_14default_configENS1_27upper_bound_config_selectorIxiEEZNS1_14transform_implILb0ES3_S5_N6thrust23THRUST_200600_302600_NS6detail15normal_iteratorINS8_10device_ptrIxEEEENSA_INSB_IiEEEEZNS1_13binary_searchIS3_S5_SD_SD_SF_NS1_21upper_bound_search_opENS9_16wrapped_functionINS0_4lessIvEEbEEEE10hipError_tPvRmT1_T2_T3_mmT4_T5_P12ihipStream_tbEUlRKxE_EESM_SQ_SR_mSS_SV_bEUlT_E_NS1_11comp_targetILNS1_3genE10ELNS1_11target_archE1200ELNS1_3gpuE4ELNS1_3repE0EEENS1_30default_config_static_selectorELNS0_4arch9wavefront6targetE1EEEvSP_
		.amdhsa_group_segment_fixed_size 0
		.amdhsa_private_segment_fixed_size 0
		.amdhsa_kernarg_size 56
		.amdhsa_user_sgpr_count 6
		.amdhsa_user_sgpr_private_segment_buffer 1
		.amdhsa_user_sgpr_dispatch_ptr 0
		.amdhsa_user_sgpr_queue_ptr 0
		.amdhsa_user_sgpr_kernarg_segment_ptr 1
		.amdhsa_user_sgpr_dispatch_id 0
		.amdhsa_user_sgpr_flat_scratch_init 0
		.amdhsa_user_sgpr_kernarg_preload_length 0
		.amdhsa_user_sgpr_kernarg_preload_offset 0
		.amdhsa_user_sgpr_private_segment_size 0
		.amdhsa_uses_dynamic_stack 0
		.amdhsa_system_sgpr_private_segment_wavefront_offset 0
		.amdhsa_system_sgpr_workgroup_id_x 1
		.amdhsa_system_sgpr_workgroup_id_y 0
		.amdhsa_system_sgpr_workgroup_id_z 0
		.amdhsa_system_sgpr_workgroup_info 0
		.amdhsa_system_vgpr_workitem_id 0
		.amdhsa_next_free_vgpr 1
		.amdhsa_next_free_sgpr 0
		.amdhsa_accum_offset 4
		.amdhsa_reserve_vcc 0
		.amdhsa_reserve_flat_scratch 0
		.amdhsa_float_round_mode_32 0
		.amdhsa_float_round_mode_16_64 0
		.amdhsa_float_denorm_mode_32 3
		.amdhsa_float_denorm_mode_16_64 3
		.amdhsa_dx10_clamp 1
		.amdhsa_ieee_mode 1
		.amdhsa_fp16_overflow 0
		.amdhsa_tg_split 0
		.amdhsa_exception_fp_ieee_invalid_op 0
		.amdhsa_exception_fp_denorm_src 0
		.amdhsa_exception_fp_ieee_div_zero 0
		.amdhsa_exception_fp_ieee_overflow 0
		.amdhsa_exception_fp_ieee_underflow 0
		.amdhsa_exception_fp_ieee_inexact 0
		.amdhsa_exception_int_div_zero 0
	.end_amdhsa_kernel
	.section	.text._ZN7rocprim17ROCPRIM_400000_NS6detail17trampoline_kernelINS0_14default_configENS1_27upper_bound_config_selectorIxiEEZNS1_14transform_implILb0ES3_S5_N6thrust23THRUST_200600_302600_NS6detail15normal_iteratorINS8_10device_ptrIxEEEENSA_INSB_IiEEEEZNS1_13binary_searchIS3_S5_SD_SD_SF_NS1_21upper_bound_search_opENS9_16wrapped_functionINS0_4lessIvEEbEEEE10hipError_tPvRmT1_T2_T3_mmT4_T5_P12ihipStream_tbEUlRKxE_EESM_SQ_SR_mSS_SV_bEUlT_E_NS1_11comp_targetILNS1_3genE10ELNS1_11target_archE1200ELNS1_3gpuE4ELNS1_3repE0EEENS1_30default_config_static_selectorELNS0_4arch9wavefront6targetE1EEEvSP_,"axG",@progbits,_ZN7rocprim17ROCPRIM_400000_NS6detail17trampoline_kernelINS0_14default_configENS1_27upper_bound_config_selectorIxiEEZNS1_14transform_implILb0ES3_S5_N6thrust23THRUST_200600_302600_NS6detail15normal_iteratorINS8_10device_ptrIxEEEENSA_INSB_IiEEEEZNS1_13binary_searchIS3_S5_SD_SD_SF_NS1_21upper_bound_search_opENS9_16wrapped_functionINS0_4lessIvEEbEEEE10hipError_tPvRmT1_T2_T3_mmT4_T5_P12ihipStream_tbEUlRKxE_EESM_SQ_SR_mSS_SV_bEUlT_E_NS1_11comp_targetILNS1_3genE10ELNS1_11target_archE1200ELNS1_3gpuE4ELNS1_3repE0EEENS1_30default_config_static_selectorELNS0_4arch9wavefront6targetE1EEEvSP_,comdat
.Lfunc_end381:
	.size	_ZN7rocprim17ROCPRIM_400000_NS6detail17trampoline_kernelINS0_14default_configENS1_27upper_bound_config_selectorIxiEEZNS1_14transform_implILb0ES3_S5_N6thrust23THRUST_200600_302600_NS6detail15normal_iteratorINS8_10device_ptrIxEEEENSA_INSB_IiEEEEZNS1_13binary_searchIS3_S5_SD_SD_SF_NS1_21upper_bound_search_opENS9_16wrapped_functionINS0_4lessIvEEbEEEE10hipError_tPvRmT1_T2_T3_mmT4_T5_P12ihipStream_tbEUlRKxE_EESM_SQ_SR_mSS_SV_bEUlT_E_NS1_11comp_targetILNS1_3genE10ELNS1_11target_archE1200ELNS1_3gpuE4ELNS1_3repE0EEENS1_30default_config_static_selectorELNS0_4arch9wavefront6targetE1EEEvSP_, .Lfunc_end381-_ZN7rocprim17ROCPRIM_400000_NS6detail17trampoline_kernelINS0_14default_configENS1_27upper_bound_config_selectorIxiEEZNS1_14transform_implILb0ES3_S5_N6thrust23THRUST_200600_302600_NS6detail15normal_iteratorINS8_10device_ptrIxEEEENSA_INSB_IiEEEEZNS1_13binary_searchIS3_S5_SD_SD_SF_NS1_21upper_bound_search_opENS9_16wrapped_functionINS0_4lessIvEEbEEEE10hipError_tPvRmT1_T2_T3_mmT4_T5_P12ihipStream_tbEUlRKxE_EESM_SQ_SR_mSS_SV_bEUlT_E_NS1_11comp_targetILNS1_3genE10ELNS1_11target_archE1200ELNS1_3gpuE4ELNS1_3repE0EEENS1_30default_config_static_selectorELNS0_4arch9wavefront6targetE1EEEvSP_
                                        ; -- End function
	.section	.AMDGPU.csdata,"",@progbits
; Kernel info:
; codeLenInByte = 0
; NumSgprs: 4
; NumVgprs: 0
; NumAgprs: 0
; TotalNumVgprs: 0
; ScratchSize: 0
; MemoryBound: 0
; FloatMode: 240
; IeeeMode: 1
; LDSByteSize: 0 bytes/workgroup (compile time only)
; SGPRBlocks: 0
; VGPRBlocks: 0
; NumSGPRsForWavesPerEU: 4
; NumVGPRsForWavesPerEU: 1
; AccumOffset: 4
; Occupancy: 8
; WaveLimiterHint : 0
; COMPUTE_PGM_RSRC2:SCRATCH_EN: 0
; COMPUTE_PGM_RSRC2:USER_SGPR: 6
; COMPUTE_PGM_RSRC2:TRAP_HANDLER: 0
; COMPUTE_PGM_RSRC2:TGID_X_EN: 1
; COMPUTE_PGM_RSRC2:TGID_Y_EN: 0
; COMPUTE_PGM_RSRC2:TGID_Z_EN: 0
; COMPUTE_PGM_RSRC2:TIDIG_COMP_CNT: 0
; COMPUTE_PGM_RSRC3_GFX90A:ACCUM_OFFSET: 0
; COMPUTE_PGM_RSRC3_GFX90A:TG_SPLIT: 0
	.section	.text._ZN7rocprim17ROCPRIM_400000_NS6detail17trampoline_kernelINS0_14default_configENS1_27upper_bound_config_selectorIxiEEZNS1_14transform_implILb0ES3_S5_N6thrust23THRUST_200600_302600_NS6detail15normal_iteratorINS8_10device_ptrIxEEEENSA_INSB_IiEEEEZNS1_13binary_searchIS3_S5_SD_SD_SF_NS1_21upper_bound_search_opENS9_16wrapped_functionINS0_4lessIvEEbEEEE10hipError_tPvRmT1_T2_T3_mmT4_T5_P12ihipStream_tbEUlRKxE_EESM_SQ_SR_mSS_SV_bEUlT_E_NS1_11comp_targetILNS1_3genE9ELNS1_11target_archE1100ELNS1_3gpuE3ELNS1_3repE0EEENS1_30default_config_static_selectorELNS0_4arch9wavefront6targetE1EEEvSP_,"axG",@progbits,_ZN7rocprim17ROCPRIM_400000_NS6detail17trampoline_kernelINS0_14default_configENS1_27upper_bound_config_selectorIxiEEZNS1_14transform_implILb0ES3_S5_N6thrust23THRUST_200600_302600_NS6detail15normal_iteratorINS8_10device_ptrIxEEEENSA_INSB_IiEEEEZNS1_13binary_searchIS3_S5_SD_SD_SF_NS1_21upper_bound_search_opENS9_16wrapped_functionINS0_4lessIvEEbEEEE10hipError_tPvRmT1_T2_T3_mmT4_T5_P12ihipStream_tbEUlRKxE_EESM_SQ_SR_mSS_SV_bEUlT_E_NS1_11comp_targetILNS1_3genE9ELNS1_11target_archE1100ELNS1_3gpuE3ELNS1_3repE0EEENS1_30default_config_static_selectorELNS0_4arch9wavefront6targetE1EEEvSP_,comdat
	.protected	_ZN7rocprim17ROCPRIM_400000_NS6detail17trampoline_kernelINS0_14default_configENS1_27upper_bound_config_selectorIxiEEZNS1_14transform_implILb0ES3_S5_N6thrust23THRUST_200600_302600_NS6detail15normal_iteratorINS8_10device_ptrIxEEEENSA_INSB_IiEEEEZNS1_13binary_searchIS3_S5_SD_SD_SF_NS1_21upper_bound_search_opENS9_16wrapped_functionINS0_4lessIvEEbEEEE10hipError_tPvRmT1_T2_T3_mmT4_T5_P12ihipStream_tbEUlRKxE_EESM_SQ_SR_mSS_SV_bEUlT_E_NS1_11comp_targetILNS1_3genE9ELNS1_11target_archE1100ELNS1_3gpuE3ELNS1_3repE0EEENS1_30default_config_static_selectorELNS0_4arch9wavefront6targetE1EEEvSP_ ; -- Begin function _ZN7rocprim17ROCPRIM_400000_NS6detail17trampoline_kernelINS0_14default_configENS1_27upper_bound_config_selectorIxiEEZNS1_14transform_implILb0ES3_S5_N6thrust23THRUST_200600_302600_NS6detail15normal_iteratorINS8_10device_ptrIxEEEENSA_INSB_IiEEEEZNS1_13binary_searchIS3_S5_SD_SD_SF_NS1_21upper_bound_search_opENS9_16wrapped_functionINS0_4lessIvEEbEEEE10hipError_tPvRmT1_T2_T3_mmT4_T5_P12ihipStream_tbEUlRKxE_EESM_SQ_SR_mSS_SV_bEUlT_E_NS1_11comp_targetILNS1_3genE9ELNS1_11target_archE1100ELNS1_3gpuE3ELNS1_3repE0EEENS1_30default_config_static_selectorELNS0_4arch9wavefront6targetE1EEEvSP_
	.globl	_ZN7rocprim17ROCPRIM_400000_NS6detail17trampoline_kernelINS0_14default_configENS1_27upper_bound_config_selectorIxiEEZNS1_14transform_implILb0ES3_S5_N6thrust23THRUST_200600_302600_NS6detail15normal_iteratorINS8_10device_ptrIxEEEENSA_INSB_IiEEEEZNS1_13binary_searchIS3_S5_SD_SD_SF_NS1_21upper_bound_search_opENS9_16wrapped_functionINS0_4lessIvEEbEEEE10hipError_tPvRmT1_T2_T3_mmT4_T5_P12ihipStream_tbEUlRKxE_EESM_SQ_SR_mSS_SV_bEUlT_E_NS1_11comp_targetILNS1_3genE9ELNS1_11target_archE1100ELNS1_3gpuE3ELNS1_3repE0EEENS1_30default_config_static_selectorELNS0_4arch9wavefront6targetE1EEEvSP_
	.p2align	8
	.type	_ZN7rocprim17ROCPRIM_400000_NS6detail17trampoline_kernelINS0_14default_configENS1_27upper_bound_config_selectorIxiEEZNS1_14transform_implILb0ES3_S5_N6thrust23THRUST_200600_302600_NS6detail15normal_iteratorINS8_10device_ptrIxEEEENSA_INSB_IiEEEEZNS1_13binary_searchIS3_S5_SD_SD_SF_NS1_21upper_bound_search_opENS9_16wrapped_functionINS0_4lessIvEEbEEEE10hipError_tPvRmT1_T2_T3_mmT4_T5_P12ihipStream_tbEUlRKxE_EESM_SQ_SR_mSS_SV_bEUlT_E_NS1_11comp_targetILNS1_3genE9ELNS1_11target_archE1100ELNS1_3gpuE3ELNS1_3repE0EEENS1_30default_config_static_selectorELNS0_4arch9wavefront6targetE1EEEvSP_,@function
_ZN7rocprim17ROCPRIM_400000_NS6detail17trampoline_kernelINS0_14default_configENS1_27upper_bound_config_selectorIxiEEZNS1_14transform_implILb0ES3_S5_N6thrust23THRUST_200600_302600_NS6detail15normal_iteratorINS8_10device_ptrIxEEEENSA_INSB_IiEEEEZNS1_13binary_searchIS3_S5_SD_SD_SF_NS1_21upper_bound_search_opENS9_16wrapped_functionINS0_4lessIvEEbEEEE10hipError_tPvRmT1_T2_T3_mmT4_T5_P12ihipStream_tbEUlRKxE_EESM_SQ_SR_mSS_SV_bEUlT_E_NS1_11comp_targetILNS1_3genE9ELNS1_11target_archE1100ELNS1_3gpuE3ELNS1_3repE0EEENS1_30default_config_static_selectorELNS0_4arch9wavefront6targetE1EEEvSP_: ; @_ZN7rocprim17ROCPRIM_400000_NS6detail17trampoline_kernelINS0_14default_configENS1_27upper_bound_config_selectorIxiEEZNS1_14transform_implILb0ES3_S5_N6thrust23THRUST_200600_302600_NS6detail15normal_iteratorINS8_10device_ptrIxEEEENSA_INSB_IiEEEEZNS1_13binary_searchIS3_S5_SD_SD_SF_NS1_21upper_bound_search_opENS9_16wrapped_functionINS0_4lessIvEEbEEEE10hipError_tPvRmT1_T2_T3_mmT4_T5_P12ihipStream_tbEUlRKxE_EESM_SQ_SR_mSS_SV_bEUlT_E_NS1_11comp_targetILNS1_3genE9ELNS1_11target_archE1100ELNS1_3gpuE3ELNS1_3repE0EEENS1_30default_config_static_selectorELNS0_4arch9wavefront6targetE1EEEvSP_
; %bb.0:
	.section	.rodata,"a",@progbits
	.p2align	6, 0x0
	.amdhsa_kernel _ZN7rocprim17ROCPRIM_400000_NS6detail17trampoline_kernelINS0_14default_configENS1_27upper_bound_config_selectorIxiEEZNS1_14transform_implILb0ES3_S5_N6thrust23THRUST_200600_302600_NS6detail15normal_iteratorINS8_10device_ptrIxEEEENSA_INSB_IiEEEEZNS1_13binary_searchIS3_S5_SD_SD_SF_NS1_21upper_bound_search_opENS9_16wrapped_functionINS0_4lessIvEEbEEEE10hipError_tPvRmT1_T2_T3_mmT4_T5_P12ihipStream_tbEUlRKxE_EESM_SQ_SR_mSS_SV_bEUlT_E_NS1_11comp_targetILNS1_3genE9ELNS1_11target_archE1100ELNS1_3gpuE3ELNS1_3repE0EEENS1_30default_config_static_selectorELNS0_4arch9wavefront6targetE1EEEvSP_
		.amdhsa_group_segment_fixed_size 0
		.amdhsa_private_segment_fixed_size 0
		.amdhsa_kernarg_size 56
		.amdhsa_user_sgpr_count 6
		.amdhsa_user_sgpr_private_segment_buffer 1
		.amdhsa_user_sgpr_dispatch_ptr 0
		.amdhsa_user_sgpr_queue_ptr 0
		.amdhsa_user_sgpr_kernarg_segment_ptr 1
		.amdhsa_user_sgpr_dispatch_id 0
		.amdhsa_user_sgpr_flat_scratch_init 0
		.amdhsa_user_sgpr_kernarg_preload_length 0
		.amdhsa_user_sgpr_kernarg_preload_offset 0
		.amdhsa_user_sgpr_private_segment_size 0
		.amdhsa_uses_dynamic_stack 0
		.amdhsa_system_sgpr_private_segment_wavefront_offset 0
		.amdhsa_system_sgpr_workgroup_id_x 1
		.amdhsa_system_sgpr_workgroup_id_y 0
		.amdhsa_system_sgpr_workgroup_id_z 0
		.amdhsa_system_sgpr_workgroup_info 0
		.amdhsa_system_vgpr_workitem_id 0
		.amdhsa_next_free_vgpr 1
		.amdhsa_next_free_sgpr 0
		.amdhsa_accum_offset 4
		.amdhsa_reserve_vcc 0
		.amdhsa_reserve_flat_scratch 0
		.amdhsa_float_round_mode_32 0
		.amdhsa_float_round_mode_16_64 0
		.amdhsa_float_denorm_mode_32 3
		.amdhsa_float_denorm_mode_16_64 3
		.amdhsa_dx10_clamp 1
		.amdhsa_ieee_mode 1
		.amdhsa_fp16_overflow 0
		.amdhsa_tg_split 0
		.amdhsa_exception_fp_ieee_invalid_op 0
		.amdhsa_exception_fp_denorm_src 0
		.amdhsa_exception_fp_ieee_div_zero 0
		.amdhsa_exception_fp_ieee_overflow 0
		.amdhsa_exception_fp_ieee_underflow 0
		.amdhsa_exception_fp_ieee_inexact 0
		.amdhsa_exception_int_div_zero 0
	.end_amdhsa_kernel
	.section	.text._ZN7rocprim17ROCPRIM_400000_NS6detail17trampoline_kernelINS0_14default_configENS1_27upper_bound_config_selectorIxiEEZNS1_14transform_implILb0ES3_S5_N6thrust23THRUST_200600_302600_NS6detail15normal_iteratorINS8_10device_ptrIxEEEENSA_INSB_IiEEEEZNS1_13binary_searchIS3_S5_SD_SD_SF_NS1_21upper_bound_search_opENS9_16wrapped_functionINS0_4lessIvEEbEEEE10hipError_tPvRmT1_T2_T3_mmT4_T5_P12ihipStream_tbEUlRKxE_EESM_SQ_SR_mSS_SV_bEUlT_E_NS1_11comp_targetILNS1_3genE9ELNS1_11target_archE1100ELNS1_3gpuE3ELNS1_3repE0EEENS1_30default_config_static_selectorELNS0_4arch9wavefront6targetE1EEEvSP_,"axG",@progbits,_ZN7rocprim17ROCPRIM_400000_NS6detail17trampoline_kernelINS0_14default_configENS1_27upper_bound_config_selectorIxiEEZNS1_14transform_implILb0ES3_S5_N6thrust23THRUST_200600_302600_NS6detail15normal_iteratorINS8_10device_ptrIxEEEENSA_INSB_IiEEEEZNS1_13binary_searchIS3_S5_SD_SD_SF_NS1_21upper_bound_search_opENS9_16wrapped_functionINS0_4lessIvEEbEEEE10hipError_tPvRmT1_T2_T3_mmT4_T5_P12ihipStream_tbEUlRKxE_EESM_SQ_SR_mSS_SV_bEUlT_E_NS1_11comp_targetILNS1_3genE9ELNS1_11target_archE1100ELNS1_3gpuE3ELNS1_3repE0EEENS1_30default_config_static_selectorELNS0_4arch9wavefront6targetE1EEEvSP_,comdat
.Lfunc_end382:
	.size	_ZN7rocprim17ROCPRIM_400000_NS6detail17trampoline_kernelINS0_14default_configENS1_27upper_bound_config_selectorIxiEEZNS1_14transform_implILb0ES3_S5_N6thrust23THRUST_200600_302600_NS6detail15normal_iteratorINS8_10device_ptrIxEEEENSA_INSB_IiEEEEZNS1_13binary_searchIS3_S5_SD_SD_SF_NS1_21upper_bound_search_opENS9_16wrapped_functionINS0_4lessIvEEbEEEE10hipError_tPvRmT1_T2_T3_mmT4_T5_P12ihipStream_tbEUlRKxE_EESM_SQ_SR_mSS_SV_bEUlT_E_NS1_11comp_targetILNS1_3genE9ELNS1_11target_archE1100ELNS1_3gpuE3ELNS1_3repE0EEENS1_30default_config_static_selectorELNS0_4arch9wavefront6targetE1EEEvSP_, .Lfunc_end382-_ZN7rocprim17ROCPRIM_400000_NS6detail17trampoline_kernelINS0_14default_configENS1_27upper_bound_config_selectorIxiEEZNS1_14transform_implILb0ES3_S5_N6thrust23THRUST_200600_302600_NS6detail15normal_iteratorINS8_10device_ptrIxEEEENSA_INSB_IiEEEEZNS1_13binary_searchIS3_S5_SD_SD_SF_NS1_21upper_bound_search_opENS9_16wrapped_functionINS0_4lessIvEEbEEEE10hipError_tPvRmT1_T2_T3_mmT4_T5_P12ihipStream_tbEUlRKxE_EESM_SQ_SR_mSS_SV_bEUlT_E_NS1_11comp_targetILNS1_3genE9ELNS1_11target_archE1100ELNS1_3gpuE3ELNS1_3repE0EEENS1_30default_config_static_selectorELNS0_4arch9wavefront6targetE1EEEvSP_
                                        ; -- End function
	.section	.AMDGPU.csdata,"",@progbits
; Kernel info:
; codeLenInByte = 0
; NumSgprs: 4
; NumVgprs: 0
; NumAgprs: 0
; TotalNumVgprs: 0
; ScratchSize: 0
; MemoryBound: 0
; FloatMode: 240
; IeeeMode: 1
; LDSByteSize: 0 bytes/workgroup (compile time only)
; SGPRBlocks: 0
; VGPRBlocks: 0
; NumSGPRsForWavesPerEU: 4
; NumVGPRsForWavesPerEU: 1
; AccumOffset: 4
; Occupancy: 8
; WaveLimiterHint : 0
; COMPUTE_PGM_RSRC2:SCRATCH_EN: 0
; COMPUTE_PGM_RSRC2:USER_SGPR: 6
; COMPUTE_PGM_RSRC2:TRAP_HANDLER: 0
; COMPUTE_PGM_RSRC2:TGID_X_EN: 1
; COMPUTE_PGM_RSRC2:TGID_Y_EN: 0
; COMPUTE_PGM_RSRC2:TGID_Z_EN: 0
; COMPUTE_PGM_RSRC2:TIDIG_COMP_CNT: 0
; COMPUTE_PGM_RSRC3_GFX90A:ACCUM_OFFSET: 0
; COMPUTE_PGM_RSRC3_GFX90A:TG_SPLIT: 0
	.section	.text._ZN7rocprim17ROCPRIM_400000_NS6detail17trampoline_kernelINS0_14default_configENS1_27upper_bound_config_selectorIxiEEZNS1_14transform_implILb0ES3_S5_N6thrust23THRUST_200600_302600_NS6detail15normal_iteratorINS8_10device_ptrIxEEEENSA_INSB_IiEEEEZNS1_13binary_searchIS3_S5_SD_SD_SF_NS1_21upper_bound_search_opENS9_16wrapped_functionINS0_4lessIvEEbEEEE10hipError_tPvRmT1_T2_T3_mmT4_T5_P12ihipStream_tbEUlRKxE_EESM_SQ_SR_mSS_SV_bEUlT_E_NS1_11comp_targetILNS1_3genE8ELNS1_11target_archE1030ELNS1_3gpuE2ELNS1_3repE0EEENS1_30default_config_static_selectorELNS0_4arch9wavefront6targetE1EEEvSP_,"axG",@progbits,_ZN7rocprim17ROCPRIM_400000_NS6detail17trampoline_kernelINS0_14default_configENS1_27upper_bound_config_selectorIxiEEZNS1_14transform_implILb0ES3_S5_N6thrust23THRUST_200600_302600_NS6detail15normal_iteratorINS8_10device_ptrIxEEEENSA_INSB_IiEEEEZNS1_13binary_searchIS3_S5_SD_SD_SF_NS1_21upper_bound_search_opENS9_16wrapped_functionINS0_4lessIvEEbEEEE10hipError_tPvRmT1_T2_T3_mmT4_T5_P12ihipStream_tbEUlRKxE_EESM_SQ_SR_mSS_SV_bEUlT_E_NS1_11comp_targetILNS1_3genE8ELNS1_11target_archE1030ELNS1_3gpuE2ELNS1_3repE0EEENS1_30default_config_static_selectorELNS0_4arch9wavefront6targetE1EEEvSP_,comdat
	.protected	_ZN7rocprim17ROCPRIM_400000_NS6detail17trampoline_kernelINS0_14default_configENS1_27upper_bound_config_selectorIxiEEZNS1_14transform_implILb0ES3_S5_N6thrust23THRUST_200600_302600_NS6detail15normal_iteratorINS8_10device_ptrIxEEEENSA_INSB_IiEEEEZNS1_13binary_searchIS3_S5_SD_SD_SF_NS1_21upper_bound_search_opENS9_16wrapped_functionINS0_4lessIvEEbEEEE10hipError_tPvRmT1_T2_T3_mmT4_T5_P12ihipStream_tbEUlRKxE_EESM_SQ_SR_mSS_SV_bEUlT_E_NS1_11comp_targetILNS1_3genE8ELNS1_11target_archE1030ELNS1_3gpuE2ELNS1_3repE0EEENS1_30default_config_static_selectorELNS0_4arch9wavefront6targetE1EEEvSP_ ; -- Begin function _ZN7rocprim17ROCPRIM_400000_NS6detail17trampoline_kernelINS0_14default_configENS1_27upper_bound_config_selectorIxiEEZNS1_14transform_implILb0ES3_S5_N6thrust23THRUST_200600_302600_NS6detail15normal_iteratorINS8_10device_ptrIxEEEENSA_INSB_IiEEEEZNS1_13binary_searchIS3_S5_SD_SD_SF_NS1_21upper_bound_search_opENS9_16wrapped_functionINS0_4lessIvEEbEEEE10hipError_tPvRmT1_T2_T3_mmT4_T5_P12ihipStream_tbEUlRKxE_EESM_SQ_SR_mSS_SV_bEUlT_E_NS1_11comp_targetILNS1_3genE8ELNS1_11target_archE1030ELNS1_3gpuE2ELNS1_3repE0EEENS1_30default_config_static_selectorELNS0_4arch9wavefront6targetE1EEEvSP_
	.globl	_ZN7rocprim17ROCPRIM_400000_NS6detail17trampoline_kernelINS0_14default_configENS1_27upper_bound_config_selectorIxiEEZNS1_14transform_implILb0ES3_S5_N6thrust23THRUST_200600_302600_NS6detail15normal_iteratorINS8_10device_ptrIxEEEENSA_INSB_IiEEEEZNS1_13binary_searchIS3_S5_SD_SD_SF_NS1_21upper_bound_search_opENS9_16wrapped_functionINS0_4lessIvEEbEEEE10hipError_tPvRmT1_T2_T3_mmT4_T5_P12ihipStream_tbEUlRKxE_EESM_SQ_SR_mSS_SV_bEUlT_E_NS1_11comp_targetILNS1_3genE8ELNS1_11target_archE1030ELNS1_3gpuE2ELNS1_3repE0EEENS1_30default_config_static_selectorELNS0_4arch9wavefront6targetE1EEEvSP_
	.p2align	8
	.type	_ZN7rocprim17ROCPRIM_400000_NS6detail17trampoline_kernelINS0_14default_configENS1_27upper_bound_config_selectorIxiEEZNS1_14transform_implILb0ES3_S5_N6thrust23THRUST_200600_302600_NS6detail15normal_iteratorINS8_10device_ptrIxEEEENSA_INSB_IiEEEEZNS1_13binary_searchIS3_S5_SD_SD_SF_NS1_21upper_bound_search_opENS9_16wrapped_functionINS0_4lessIvEEbEEEE10hipError_tPvRmT1_T2_T3_mmT4_T5_P12ihipStream_tbEUlRKxE_EESM_SQ_SR_mSS_SV_bEUlT_E_NS1_11comp_targetILNS1_3genE8ELNS1_11target_archE1030ELNS1_3gpuE2ELNS1_3repE0EEENS1_30default_config_static_selectorELNS0_4arch9wavefront6targetE1EEEvSP_,@function
_ZN7rocprim17ROCPRIM_400000_NS6detail17trampoline_kernelINS0_14default_configENS1_27upper_bound_config_selectorIxiEEZNS1_14transform_implILb0ES3_S5_N6thrust23THRUST_200600_302600_NS6detail15normal_iteratorINS8_10device_ptrIxEEEENSA_INSB_IiEEEEZNS1_13binary_searchIS3_S5_SD_SD_SF_NS1_21upper_bound_search_opENS9_16wrapped_functionINS0_4lessIvEEbEEEE10hipError_tPvRmT1_T2_T3_mmT4_T5_P12ihipStream_tbEUlRKxE_EESM_SQ_SR_mSS_SV_bEUlT_E_NS1_11comp_targetILNS1_3genE8ELNS1_11target_archE1030ELNS1_3gpuE2ELNS1_3repE0EEENS1_30default_config_static_selectorELNS0_4arch9wavefront6targetE1EEEvSP_: ; @_ZN7rocprim17ROCPRIM_400000_NS6detail17trampoline_kernelINS0_14default_configENS1_27upper_bound_config_selectorIxiEEZNS1_14transform_implILb0ES3_S5_N6thrust23THRUST_200600_302600_NS6detail15normal_iteratorINS8_10device_ptrIxEEEENSA_INSB_IiEEEEZNS1_13binary_searchIS3_S5_SD_SD_SF_NS1_21upper_bound_search_opENS9_16wrapped_functionINS0_4lessIvEEbEEEE10hipError_tPvRmT1_T2_T3_mmT4_T5_P12ihipStream_tbEUlRKxE_EESM_SQ_SR_mSS_SV_bEUlT_E_NS1_11comp_targetILNS1_3genE8ELNS1_11target_archE1030ELNS1_3gpuE2ELNS1_3repE0EEENS1_30default_config_static_selectorELNS0_4arch9wavefront6targetE1EEEvSP_
; %bb.0:
	.section	.rodata,"a",@progbits
	.p2align	6, 0x0
	.amdhsa_kernel _ZN7rocprim17ROCPRIM_400000_NS6detail17trampoline_kernelINS0_14default_configENS1_27upper_bound_config_selectorIxiEEZNS1_14transform_implILb0ES3_S5_N6thrust23THRUST_200600_302600_NS6detail15normal_iteratorINS8_10device_ptrIxEEEENSA_INSB_IiEEEEZNS1_13binary_searchIS3_S5_SD_SD_SF_NS1_21upper_bound_search_opENS9_16wrapped_functionINS0_4lessIvEEbEEEE10hipError_tPvRmT1_T2_T3_mmT4_T5_P12ihipStream_tbEUlRKxE_EESM_SQ_SR_mSS_SV_bEUlT_E_NS1_11comp_targetILNS1_3genE8ELNS1_11target_archE1030ELNS1_3gpuE2ELNS1_3repE0EEENS1_30default_config_static_selectorELNS0_4arch9wavefront6targetE1EEEvSP_
		.amdhsa_group_segment_fixed_size 0
		.amdhsa_private_segment_fixed_size 0
		.amdhsa_kernarg_size 56
		.amdhsa_user_sgpr_count 6
		.amdhsa_user_sgpr_private_segment_buffer 1
		.amdhsa_user_sgpr_dispatch_ptr 0
		.amdhsa_user_sgpr_queue_ptr 0
		.amdhsa_user_sgpr_kernarg_segment_ptr 1
		.amdhsa_user_sgpr_dispatch_id 0
		.amdhsa_user_sgpr_flat_scratch_init 0
		.amdhsa_user_sgpr_kernarg_preload_length 0
		.amdhsa_user_sgpr_kernarg_preload_offset 0
		.amdhsa_user_sgpr_private_segment_size 0
		.amdhsa_uses_dynamic_stack 0
		.amdhsa_system_sgpr_private_segment_wavefront_offset 0
		.amdhsa_system_sgpr_workgroup_id_x 1
		.amdhsa_system_sgpr_workgroup_id_y 0
		.amdhsa_system_sgpr_workgroup_id_z 0
		.amdhsa_system_sgpr_workgroup_info 0
		.amdhsa_system_vgpr_workitem_id 0
		.amdhsa_next_free_vgpr 1
		.amdhsa_next_free_sgpr 0
		.amdhsa_accum_offset 4
		.amdhsa_reserve_vcc 0
		.amdhsa_reserve_flat_scratch 0
		.amdhsa_float_round_mode_32 0
		.amdhsa_float_round_mode_16_64 0
		.amdhsa_float_denorm_mode_32 3
		.amdhsa_float_denorm_mode_16_64 3
		.amdhsa_dx10_clamp 1
		.amdhsa_ieee_mode 1
		.amdhsa_fp16_overflow 0
		.amdhsa_tg_split 0
		.amdhsa_exception_fp_ieee_invalid_op 0
		.amdhsa_exception_fp_denorm_src 0
		.amdhsa_exception_fp_ieee_div_zero 0
		.amdhsa_exception_fp_ieee_overflow 0
		.amdhsa_exception_fp_ieee_underflow 0
		.amdhsa_exception_fp_ieee_inexact 0
		.amdhsa_exception_int_div_zero 0
	.end_amdhsa_kernel
	.section	.text._ZN7rocprim17ROCPRIM_400000_NS6detail17trampoline_kernelINS0_14default_configENS1_27upper_bound_config_selectorIxiEEZNS1_14transform_implILb0ES3_S5_N6thrust23THRUST_200600_302600_NS6detail15normal_iteratorINS8_10device_ptrIxEEEENSA_INSB_IiEEEEZNS1_13binary_searchIS3_S5_SD_SD_SF_NS1_21upper_bound_search_opENS9_16wrapped_functionINS0_4lessIvEEbEEEE10hipError_tPvRmT1_T2_T3_mmT4_T5_P12ihipStream_tbEUlRKxE_EESM_SQ_SR_mSS_SV_bEUlT_E_NS1_11comp_targetILNS1_3genE8ELNS1_11target_archE1030ELNS1_3gpuE2ELNS1_3repE0EEENS1_30default_config_static_selectorELNS0_4arch9wavefront6targetE1EEEvSP_,"axG",@progbits,_ZN7rocprim17ROCPRIM_400000_NS6detail17trampoline_kernelINS0_14default_configENS1_27upper_bound_config_selectorIxiEEZNS1_14transform_implILb0ES3_S5_N6thrust23THRUST_200600_302600_NS6detail15normal_iteratorINS8_10device_ptrIxEEEENSA_INSB_IiEEEEZNS1_13binary_searchIS3_S5_SD_SD_SF_NS1_21upper_bound_search_opENS9_16wrapped_functionINS0_4lessIvEEbEEEE10hipError_tPvRmT1_T2_T3_mmT4_T5_P12ihipStream_tbEUlRKxE_EESM_SQ_SR_mSS_SV_bEUlT_E_NS1_11comp_targetILNS1_3genE8ELNS1_11target_archE1030ELNS1_3gpuE2ELNS1_3repE0EEENS1_30default_config_static_selectorELNS0_4arch9wavefront6targetE1EEEvSP_,comdat
.Lfunc_end383:
	.size	_ZN7rocprim17ROCPRIM_400000_NS6detail17trampoline_kernelINS0_14default_configENS1_27upper_bound_config_selectorIxiEEZNS1_14transform_implILb0ES3_S5_N6thrust23THRUST_200600_302600_NS6detail15normal_iteratorINS8_10device_ptrIxEEEENSA_INSB_IiEEEEZNS1_13binary_searchIS3_S5_SD_SD_SF_NS1_21upper_bound_search_opENS9_16wrapped_functionINS0_4lessIvEEbEEEE10hipError_tPvRmT1_T2_T3_mmT4_T5_P12ihipStream_tbEUlRKxE_EESM_SQ_SR_mSS_SV_bEUlT_E_NS1_11comp_targetILNS1_3genE8ELNS1_11target_archE1030ELNS1_3gpuE2ELNS1_3repE0EEENS1_30default_config_static_selectorELNS0_4arch9wavefront6targetE1EEEvSP_, .Lfunc_end383-_ZN7rocprim17ROCPRIM_400000_NS6detail17trampoline_kernelINS0_14default_configENS1_27upper_bound_config_selectorIxiEEZNS1_14transform_implILb0ES3_S5_N6thrust23THRUST_200600_302600_NS6detail15normal_iteratorINS8_10device_ptrIxEEEENSA_INSB_IiEEEEZNS1_13binary_searchIS3_S5_SD_SD_SF_NS1_21upper_bound_search_opENS9_16wrapped_functionINS0_4lessIvEEbEEEE10hipError_tPvRmT1_T2_T3_mmT4_T5_P12ihipStream_tbEUlRKxE_EESM_SQ_SR_mSS_SV_bEUlT_E_NS1_11comp_targetILNS1_3genE8ELNS1_11target_archE1030ELNS1_3gpuE2ELNS1_3repE0EEENS1_30default_config_static_selectorELNS0_4arch9wavefront6targetE1EEEvSP_
                                        ; -- End function
	.section	.AMDGPU.csdata,"",@progbits
; Kernel info:
; codeLenInByte = 0
; NumSgprs: 4
; NumVgprs: 0
; NumAgprs: 0
; TotalNumVgprs: 0
; ScratchSize: 0
; MemoryBound: 0
; FloatMode: 240
; IeeeMode: 1
; LDSByteSize: 0 bytes/workgroup (compile time only)
; SGPRBlocks: 0
; VGPRBlocks: 0
; NumSGPRsForWavesPerEU: 4
; NumVGPRsForWavesPerEU: 1
; AccumOffset: 4
; Occupancy: 8
; WaveLimiterHint : 0
; COMPUTE_PGM_RSRC2:SCRATCH_EN: 0
; COMPUTE_PGM_RSRC2:USER_SGPR: 6
; COMPUTE_PGM_RSRC2:TRAP_HANDLER: 0
; COMPUTE_PGM_RSRC2:TGID_X_EN: 1
; COMPUTE_PGM_RSRC2:TGID_Y_EN: 0
; COMPUTE_PGM_RSRC2:TGID_Z_EN: 0
; COMPUTE_PGM_RSRC2:TIDIG_COMP_CNT: 0
; COMPUTE_PGM_RSRC3_GFX90A:ACCUM_OFFSET: 0
; COMPUTE_PGM_RSRC3_GFX90A:TG_SPLIT: 0
	.section	.text._ZN7rocprim17ROCPRIM_400000_NS6detail17trampoline_kernelINS0_14default_configENS1_27upper_bound_config_selectorIiiEEZNS1_14transform_implILb0ES3_S5_N6thrust23THRUST_200600_302600_NS6detail15normal_iteratorINS8_10device_ptrIiEEEESD_ZNS1_13binary_searchIS3_S5_SD_SD_SD_NS1_21upper_bound_search_opENS9_16wrapped_functionINS0_4lessIvEEbEEEE10hipError_tPvRmT1_T2_T3_mmT4_T5_P12ihipStream_tbEUlRKiE_EESK_SO_SP_mSQ_ST_bEUlT_E_NS1_11comp_targetILNS1_3genE0ELNS1_11target_archE4294967295ELNS1_3gpuE0ELNS1_3repE0EEENS1_30default_config_static_selectorELNS0_4arch9wavefront6targetE1EEEvSN_,"axG",@progbits,_ZN7rocprim17ROCPRIM_400000_NS6detail17trampoline_kernelINS0_14default_configENS1_27upper_bound_config_selectorIiiEEZNS1_14transform_implILb0ES3_S5_N6thrust23THRUST_200600_302600_NS6detail15normal_iteratorINS8_10device_ptrIiEEEESD_ZNS1_13binary_searchIS3_S5_SD_SD_SD_NS1_21upper_bound_search_opENS9_16wrapped_functionINS0_4lessIvEEbEEEE10hipError_tPvRmT1_T2_T3_mmT4_T5_P12ihipStream_tbEUlRKiE_EESK_SO_SP_mSQ_ST_bEUlT_E_NS1_11comp_targetILNS1_3genE0ELNS1_11target_archE4294967295ELNS1_3gpuE0ELNS1_3repE0EEENS1_30default_config_static_selectorELNS0_4arch9wavefront6targetE1EEEvSN_,comdat
	.protected	_ZN7rocprim17ROCPRIM_400000_NS6detail17trampoline_kernelINS0_14default_configENS1_27upper_bound_config_selectorIiiEEZNS1_14transform_implILb0ES3_S5_N6thrust23THRUST_200600_302600_NS6detail15normal_iteratorINS8_10device_ptrIiEEEESD_ZNS1_13binary_searchIS3_S5_SD_SD_SD_NS1_21upper_bound_search_opENS9_16wrapped_functionINS0_4lessIvEEbEEEE10hipError_tPvRmT1_T2_T3_mmT4_T5_P12ihipStream_tbEUlRKiE_EESK_SO_SP_mSQ_ST_bEUlT_E_NS1_11comp_targetILNS1_3genE0ELNS1_11target_archE4294967295ELNS1_3gpuE0ELNS1_3repE0EEENS1_30default_config_static_selectorELNS0_4arch9wavefront6targetE1EEEvSN_ ; -- Begin function _ZN7rocprim17ROCPRIM_400000_NS6detail17trampoline_kernelINS0_14default_configENS1_27upper_bound_config_selectorIiiEEZNS1_14transform_implILb0ES3_S5_N6thrust23THRUST_200600_302600_NS6detail15normal_iteratorINS8_10device_ptrIiEEEESD_ZNS1_13binary_searchIS3_S5_SD_SD_SD_NS1_21upper_bound_search_opENS9_16wrapped_functionINS0_4lessIvEEbEEEE10hipError_tPvRmT1_T2_T3_mmT4_T5_P12ihipStream_tbEUlRKiE_EESK_SO_SP_mSQ_ST_bEUlT_E_NS1_11comp_targetILNS1_3genE0ELNS1_11target_archE4294967295ELNS1_3gpuE0ELNS1_3repE0EEENS1_30default_config_static_selectorELNS0_4arch9wavefront6targetE1EEEvSN_
	.globl	_ZN7rocprim17ROCPRIM_400000_NS6detail17trampoline_kernelINS0_14default_configENS1_27upper_bound_config_selectorIiiEEZNS1_14transform_implILb0ES3_S5_N6thrust23THRUST_200600_302600_NS6detail15normal_iteratorINS8_10device_ptrIiEEEESD_ZNS1_13binary_searchIS3_S5_SD_SD_SD_NS1_21upper_bound_search_opENS9_16wrapped_functionINS0_4lessIvEEbEEEE10hipError_tPvRmT1_T2_T3_mmT4_T5_P12ihipStream_tbEUlRKiE_EESK_SO_SP_mSQ_ST_bEUlT_E_NS1_11comp_targetILNS1_3genE0ELNS1_11target_archE4294967295ELNS1_3gpuE0ELNS1_3repE0EEENS1_30default_config_static_selectorELNS0_4arch9wavefront6targetE1EEEvSN_
	.p2align	8
	.type	_ZN7rocprim17ROCPRIM_400000_NS6detail17trampoline_kernelINS0_14default_configENS1_27upper_bound_config_selectorIiiEEZNS1_14transform_implILb0ES3_S5_N6thrust23THRUST_200600_302600_NS6detail15normal_iteratorINS8_10device_ptrIiEEEESD_ZNS1_13binary_searchIS3_S5_SD_SD_SD_NS1_21upper_bound_search_opENS9_16wrapped_functionINS0_4lessIvEEbEEEE10hipError_tPvRmT1_T2_T3_mmT4_T5_P12ihipStream_tbEUlRKiE_EESK_SO_SP_mSQ_ST_bEUlT_E_NS1_11comp_targetILNS1_3genE0ELNS1_11target_archE4294967295ELNS1_3gpuE0ELNS1_3repE0EEENS1_30default_config_static_selectorELNS0_4arch9wavefront6targetE1EEEvSN_,@function
_ZN7rocprim17ROCPRIM_400000_NS6detail17trampoline_kernelINS0_14default_configENS1_27upper_bound_config_selectorIiiEEZNS1_14transform_implILb0ES3_S5_N6thrust23THRUST_200600_302600_NS6detail15normal_iteratorINS8_10device_ptrIiEEEESD_ZNS1_13binary_searchIS3_S5_SD_SD_SD_NS1_21upper_bound_search_opENS9_16wrapped_functionINS0_4lessIvEEbEEEE10hipError_tPvRmT1_T2_T3_mmT4_T5_P12ihipStream_tbEUlRKiE_EESK_SO_SP_mSQ_ST_bEUlT_E_NS1_11comp_targetILNS1_3genE0ELNS1_11target_archE4294967295ELNS1_3gpuE0ELNS1_3repE0EEENS1_30default_config_static_selectorELNS0_4arch9wavefront6targetE1EEEvSN_: ; @_ZN7rocprim17ROCPRIM_400000_NS6detail17trampoline_kernelINS0_14default_configENS1_27upper_bound_config_selectorIiiEEZNS1_14transform_implILb0ES3_S5_N6thrust23THRUST_200600_302600_NS6detail15normal_iteratorINS8_10device_ptrIiEEEESD_ZNS1_13binary_searchIS3_S5_SD_SD_SD_NS1_21upper_bound_search_opENS9_16wrapped_functionINS0_4lessIvEEbEEEE10hipError_tPvRmT1_T2_T3_mmT4_T5_P12ihipStream_tbEUlRKiE_EESK_SO_SP_mSQ_ST_bEUlT_E_NS1_11comp_targetILNS1_3genE0ELNS1_11target_archE4294967295ELNS1_3gpuE0ELNS1_3repE0EEENS1_30default_config_static_selectorELNS0_4arch9wavefront6targetE1EEEvSN_
; %bb.0:
	.section	.rodata,"a",@progbits
	.p2align	6, 0x0
	.amdhsa_kernel _ZN7rocprim17ROCPRIM_400000_NS6detail17trampoline_kernelINS0_14default_configENS1_27upper_bound_config_selectorIiiEEZNS1_14transform_implILb0ES3_S5_N6thrust23THRUST_200600_302600_NS6detail15normal_iteratorINS8_10device_ptrIiEEEESD_ZNS1_13binary_searchIS3_S5_SD_SD_SD_NS1_21upper_bound_search_opENS9_16wrapped_functionINS0_4lessIvEEbEEEE10hipError_tPvRmT1_T2_T3_mmT4_T5_P12ihipStream_tbEUlRKiE_EESK_SO_SP_mSQ_ST_bEUlT_E_NS1_11comp_targetILNS1_3genE0ELNS1_11target_archE4294967295ELNS1_3gpuE0ELNS1_3repE0EEENS1_30default_config_static_selectorELNS0_4arch9wavefront6targetE1EEEvSN_
		.amdhsa_group_segment_fixed_size 0
		.amdhsa_private_segment_fixed_size 0
		.amdhsa_kernarg_size 56
		.amdhsa_user_sgpr_count 6
		.amdhsa_user_sgpr_private_segment_buffer 1
		.amdhsa_user_sgpr_dispatch_ptr 0
		.amdhsa_user_sgpr_queue_ptr 0
		.amdhsa_user_sgpr_kernarg_segment_ptr 1
		.amdhsa_user_sgpr_dispatch_id 0
		.amdhsa_user_sgpr_flat_scratch_init 0
		.amdhsa_user_sgpr_kernarg_preload_length 0
		.amdhsa_user_sgpr_kernarg_preload_offset 0
		.amdhsa_user_sgpr_private_segment_size 0
		.amdhsa_uses_dynamic_stack 0
		.amdhsa_system_sgpr_private_segment_wavefront_offset 0
		.amdhsa_system_sgpr_workgroup_id_x 1
		.amdhsa_system_sgpr_workgroup_id_y 0
		.amdhsa_system_sgpr_workgroup_id_z 0
		.amdhsa_system_sgpr_workgroup_info 0
		.amdhsa_system_vgpr_workitem_id 0
		.amdhsa_next_free_vgpr 1
		.amdhsa_next_free_sgpr 0
		.amdhsa_accum_offset 4
		.amdhsa_reserve_vcc 0
		.amdhsa_reserve_flat_scratch 0
		.amdhsa_float_round_mode_32 0
		.amdhsa_float_round_mode_16_64 0
		.amdhsa_float_denorm_mode_32 3
		.amdhsa_float_denorm_mode_16_64 3
		.amdhsa_dx10_clamp 1
		.amdhsa_ieee_mode 1
		.amdhsa_fp16_overflow 0
		.amdhsa_tg_split 0
		.amdhsa_exception_fp_ieee_invalid_op 0
		.amdhsa_exception_fp_denorm_src 0
		.amdhsa_exception_fp_ieee_div_zero 0
		.amdhsa_exception_fp_ieee_overflow 0
		.amdhsa_exception_fp_ieee_underflow 0
		.amdhsa_exception_fp_ieee_inexact 0
		.amdhsa_exception_int_div_zero 0
	.end_amdhsa_kernel
	.section	.text._ZN7rocprim17ROCPRIM_400000_NS6detail17trampoline_kernelINS0_14default_configENS1_27upper_bound_config_selectorIiiEEZNS1_14transform_implILb0ES3_S5_N6thrust23THRUST_200600_302600_NS6detail15normal_iteratorINS8_10device_ptrIiEEEESD_ZNS1_13binary_searchIS3_S5_SD_SD_SD_NS1_21upper_bound_search_opENS9_16wrapped_functionINS0_4lessIvEEbEEEE10hipError_tPvRmT1_T2_T3_mmT4_T5_P12ihipStream_tbEUlRKiE_EESK_SO_SP_mSQ_ST_bEUlT_E_NS1_11comp_targetILNS1_3genE0ELNS1_11target_archE4294967295ELNS1_3gpuE0ELNS1_3repE0EEENS1_30default_config_static_selectorELNS0_4arch9wavefront6targetE1EEEvSN_,"axG",@progbits,_ZN7rocprim17ROCPRIM_400000_NS6detail17trampoline_kernelINS0_14default_configENS1_27upper_bound_config_selectorIiiEEZNS1_14transform_implILb0ES3_S5_N6thrust23THRUST_200600_302600_NS6detail15normal_iteratorINS8_10device_ptrIiEEEESD_ZNS1_13binary_searchIS3_S5_SD_SD_SD_NS1_21upper_bound_search_opENS9_16wrapped_functionINS0_4lessIvEEbEEEE10hipError_tPvRmT1_T2_T3_mmT4_T5_P12ihipStream_tbEUlRKiE_EESK_SO_SP_mSQ_ST_bEUlT_E_NS1_11comp_targetILNS1_3genE0ELNS1_11target_archE4294967295ELNS1_3gpuE0ELNS1_3repE0EEENS1_30default_config_static_selectorELNS0_4arch9wavefront6targetE1EEEvSN_,comdat
.Lfunc_end384:
	.size	_ZN7rocprim17ROCPRIM_400000_NS6detail17trampoline_kernelINS0_14default_configENS1_27upper_bound_config_selectorIiiEEZNS1_14transform_implILb0ES3_S5_N6thrust23THRUST_200600_302600_NS6detail15normal_iteratorINS8_10device_ptrIiEEEESD_ZNS1_13binary_searchIS3_S5_SD_SD_SD_NS1_21upper_bound_search_opENS9_16wrapped_functionINS0_4lessIvEEbEEEE10hipError_tPvRmT1_T2_T3_mmT4_T5_P12ihipStream_tbEUlRKiE_EESK_SO_SP_mSQ_ST_bEUlT_E_NS1_11comp_targetILNS1_3genE0ELNS1_11target_archE4294967295ELNS1_3gpuE0ELNS1_3repE0EEENS1_30default_config_static_selectorELNS0_4arch9wavefront6targetE1EEEvSN_, .Lfunc_end384-_ZN7rocprim17ROCPRIM_400000_NS6detail17trampoline_kernelINS0_14default_configENS1_27upper_bound_config_selectorIiiEEZNS1_14transform_implILb0ES3_S5_N6thrust23THRUST_200600_302600_NS6detail15normal_iteratorINS8_10device_ptrIiEEEESD_ZNS1_13binary_searchIS3_S5_SD_SD_SD_NS1_21upper_bound_search_opENS9_16wrapped_functionINS0_4lessIvEEbEEEE10hipError_tPvRmT1_T2_T3_mmT4_T5_P12ihipStream_tbEUlRKiE_EESK_SO_SP_mSQ_ST_bEUlT_E_NS1_11comp_targetILNS1_3genE0ELNS1_11target_archE4294967295ELNS1_3gpuE0ELNS1_3repE0EEENS1_30default_config_static_selectorELNS0_4arch9wavefront6targetE1EEEvSN_
                                        ; -- End function
	.section	.AMDGPU.csdata,"",@progbits
; Kernel info:
; codeLenInByte = 0
; NumSgprs: 4
; NumVgprs: 0
; NumAgprs: 0
; TotalNumVgprs: 0
; ScratchSize: 0
; MemoryBound: 0
; FloatMode: 240
; IeeeMode: 1
; LDSByteSize: 0 bytes/workgroup (compile time only)
; SGPRBlocks: 0
; VGPRBlocks: 0
; NumSGPRsForWavesPerEU: 4
; NumVGPRsForWavesPerEU: 1
; AccumOffset: 4
; Occupancy: 8
; WaveLimiterHint : 0
; COMPUTE_PGM_RSRC2:SCRATCH_EN: 0
; COMPUTE_PGM_RSRC2:USER_SGPR: 6
; COMPUTE_PGM_RSRC2:TRAP_HANDLER: 0
; COMPUTE_PGM_RSRC2:TGID_X_EN: 1
; COMPUTE_PGM_RSRC2:TGID_Y_EN: 0
; COMPUTE_PGM_RSRC2:TGID_Z_EN: 0
; COMPUTE_PGM_RSRC2:TIDIG_COMP_CNT: 0
; COMPUTE_PGM_RSRC3_GFX90A:ACCUM_OFFSET: 0
; COMPUTE_PGM_RSRC3_GFX90A:TG_SPLIT: 0
	.section	.text._ZN7rocprim17ROCPRIM_400000_NS6detail17trampoline_kernelINS0_14default_configENS1_27upper_bound_config_selectorIiiEEZNS1_14transform_implILb0ES3_S5_N6thrust23THRUST_200600_302600_NS6detail15normal_iteratorINS8_10device_ptrIiEEEESD_ZNS1_13binary_searchIS3_S5_SD_SD_SD_NS1_21upper_bound_search_opENS9_16wrapped_functionINS0_4lessIvEEbEEEE10hipError_tPvRmT1_T2_T3_mmT4_T5_P12ihipStream_tbEUlRKiE_EESK_SO_SP_mSQ_ST_bEUlT_E_NS1_11comp_targetILNS1_3genE5ELNS1_11target_archE942ELNS1_3gpuE9ELNS1_3repE0EEENS1_30default_config_static_selectorELNS0_4arch9wavefront6targetE1EEEvSN_,"axG",@progbits,_ZN7rocprim17ROCPRIM_400000_NS6detail17trampoline_kernelINS0_14default_configENS1_27upper_bound_config_selectorIiiEEZNS1_14transform_implILb0ES3_S5_N6thrust23THRUST_200600_302600_NS6detail15normal_iteratorINS8_10device_ptrIiEEEESD_ZNS1_13binary_searchIS3_S5_SD_SD_SD_NS1_21upper_bound_search_opENS9_16wrapped_functionINS0_4lessIvEEbEEEE10hipError_tPvRmT1_T2_T3_mmT4_T5_P12ihipStream_tbEUlRKiE_EESK_SO_SP_mSQ_ST_bEUlT_E_NS1_11comp_targetILNS1_3genE5ELNS1_11target_archE942ELNS1_3gpuE9ELNS1_3repE0EEENS1_30default_config_static_selectorELNS0_4arch9wavefront6targetE1EEEvSN_,comdat
	.protected	_ZN7rocprim17ROCPRIM_400000_NS6detail17trampoline_kernelINS0_14default_configENS1_27upper_bound_config_selectorIiiEEZNS1_14transform_implILb0ES3_S5_N6thrust23THRUST_200600_302600_NS6detail15normal_iteratorINS8_10device_ptrIiEEEESD_ZNS1_13binary_searchIS3_S5_SD_SD_SD_NS1_21upper_bound_search_opENS9_16wrapped_functionINS0_4lessIvEEbEEEE10hipError_tPvRmT1_T2_T3_mmT4_T5_P12ihipStream_tbEUlRKiE_EESK_SO_SP_mSQ_ST_bEUlT_E_NS1_11comp_targetILNS1_3genE5ELNS1_11target_archE942ELNS1_3gpuE9ELNS1_3repE0EEENS1_30default_config_static_selectorELNS0_4arch9wavefront6targetE1EEEvSN_ ; -- Begin function _ZN7rocprim17ROCPRIM_400000_NS6detail17trampoline_kernelINS0_14default_configENS1_27upper_bound_config_selectorIiiEEZNS1_14transform_implILb0ES3_S5_N6thrust23THRUST_200600_302600_NS6detail15normal_iteratorINS8_10device_ptrIiEEEESD_ZNS1_13binary_searchIS3_S5_SD_SD_SD_NS1_21upper_bound_search_opENS9_16wrapped_functionINS0_4lessIvEEbEEEE10hipError_tPvRmT1_T2_T3_mmT4_T5_P12ihipStream_tbEUlRKiE_EESK_SO_SP_mSQ_ST_bEUlT_E_NS1_11comp_targetILNS1_3genE5ELNS1_11target_archE942ELNS1_3gpuE9ELNS1_3repE0EEENS1_30default_config_static_selectorELNS0_4arch9wavefront6targetE1EEEvSN_
	.globl	_ZN7rocprim17ROCPRIM_400000_NS6detail17trampoline_kernelINS0_14default_configENS1_27upper_bound_config_selectorIiiEEZNS1_14transform_implILb0ES3_S5_N6thrust23THRUST_200600_302600_NS6detail15normal_iteratorINS8_10device_ptrIiEEEESD_ZNS1_13binary_searchIS3_S5_SD_SD_SD_NS1_21upper_bound_search_opENS9_16wrapped_functionINS0_4lessIvEEbEEEE10hipError_tPvRmT1_T2_T3_mmT4_T5_P12ihipStream_tbEUlRKiE_EESK_SO_SP_mSQ_ST_bEUlT_E_NS1_11comp_targetILNS1_3genE5ELNS1_11target_archE942ELNS1_3gpuE9ELNS1_3repE0EEENS1_30default_config_static_selectorELNS0_4arch9wavefront6targetE1EEEvSN_
	.p2align	8
	.type	_ZN7rocprim17ROCPRIM_400000_NS6detail17trampoline_kernelINS0_14default_configENS1_27upper_bound_config_selectorIiiEEZNS1_14transform_implILb0ES3_S5_N6thrust23THRUST_200600_302600_NS6detail15normal_iteratorINS8_10device_ptrIiEEEESD_ZNS1_13binary_searchIS3_S5_SD_SD_SD_NS1_21upper_bound_search_opENS9_16wrapped_functionINS0_4lessIvEEbEEEE10hipError_tPvRmT1_T2_T3_mmT4_T5_P12ihipStream_tbEUlRKiE_EESK_SO_SP_mSQ_ST_bEUlT_E_NS1_11comp_targetILNS1_3genE5ELNS1_11target_archE942ELNS1_3gpuE9ELNS1_3repE0EEENS1_30default_config_static_selectorELNS0_4arch9wavefront6targetE1EEEvSN_,@function
_ZN7rocprim17ROCPRIM_400000_NS6detail17trampoline_kernelINS0_14default_configENS1_27upper_bound_config_selectorIiiEEZNS1_14transform_implILb0ES3_S5_N6thrust23THRUST_200600_302600_NS6detail15normal_iteratorINS8_10device_ptrIiEEEESD_ZNS1_13binary_searchIS3_S5_SD_SD_SD_NS1_21upper_bound_search_opENS9_16wrapped_functionINS0_4lessIvEEbEEEE10hipError_tPvRmT1_T2_T3_mmT4_T5_P12ihipStream_tbEUlRKiE_EESK_SO_SP_mSQ_ST_bEUlT_E_NS1_11comp_targetILNS1_3genE5ELNS1_11target_archE942ELNS1_3gpuE9ELNS1_3repE0EEENS1_30default_config_static_selectorELNS0_4arch9wavefront6targetE1EEEvSN_: ; @_ZN7rocprim17ROCPRIM_400000_NS6detail17trampoline_kernelINS0_14default_configENS1_27upper_bound_config_selectorIiiEEZNS1_14transform_implILb0ES3_S5_N6thrust23THRUST_200600_302600_NS6detail15normal_iteratorINS8_10device_ptrIiEEEESD_ZNS1_13binary_searchIS3_S5_SD_SD_SD_NS1_21upper_bound_search_opENS9_16wrapped_functionINS0_4lessIvEEbEEEE10hipError_tPvRmT1_T2_T3_mmT4_T5_P12ihipStream_tbEUlRKiE_EESK_SO_SP_mSQ_ST_bEUlT_E_NS1_11comp_targetILNS1_3genE5ELNS1_11target_archE942ELNS1_3gpuE9ELNS1_3repE0EEENS1_30default_config_static_selectorELNS0_4arch9wavefront6targetE1EEEvSN_
; %bb.0:
	.section	.rodata,"a",@progbits
	.p2align	6, 0x0
	.amdhsa_kernel _ZN7rocprim17ROCPRIM_400000_NS6detail17trampoline_kernelINS0_14default_configENS1_27upper_bound_config_selectorIiiEEZNS1_14transform_implILb0ES3_S5_N6thrust23THRUST_200600_302600_NS6detail15normal_iteratorINS8_10device_ptrIiEEEESD_ZNS1_13binary_searchIS3_S5_SD_SD_SD_NS1_21upper_bound_search_opENS9_16wrapped_functionINS0_4lessIvEEbEEEE10hipError_tPvRmT1_T2_T3_mmT4_T5_P12ihipStream_tbEUlRKiE_EESK_SO_SP_mSQ_ST_bEUlT_E_NS1_11comp_targetILNS1_3genE5ELNS1_11target_archE942ELNS1_3gpuE9ELNS1_3repE0EEENS1_30default_config_static_selectorELNS0_4arch9wavefront6targetE1EEEvSN_
		.amdhsa_group_segment_fixed_size 0
		.amdhsa_private_segment_fixed_size 0
		.amdhsa_kernarg_size 56
		.amdhsa_user_sgpr_count 6
		.amdhsa_user_sgpr_private_segment_buffer 1
		.amdhsa_user_sgpr_dispatch_ptr 0
		.amdhsa_user_sgpr_queue_ptr 0
		.amdhsa_user_sgpr_kernarg_segment_ptr 1
		.amdhsa_user_sgpr_dispatch_id 0
		.amdhsa_user_sgpr_flat_scratch_init 0
		.amdhsa_user_sgpr_kernarg_preload_length 0
		.amdhsa_user_sgpr_kernarg_preload_offset 0
		.amdhsa_user_sgpr_private_segment_size 0
		.amdhsa_uses_dynamic_stack 0
		.amdhsa_system_sgpr_private_segment_wavefront_offset 0
		.amdhsa_system_sgpr_workgroup_id_x 1
		.amdhsa_system_sgpr_workgroup_id_y 0
		.amdhsa_system_sgpr_workgroup_id_z 0
		.amdhsa_system_sgpr_workgroup_info 0
		.amdhsa_system_vgpr_workitem_id 0
		.amdhsa_next_free_vgpr 1
		.amdhsa_next_free_sgpr 0
		.amdhsa_accum_offset 4
		.amdhsa_reserve_vcc 0
		.amdhsa_reserve_flat_scratch 0
		.amdhsa_float_round_mode_32 0
		.amdhsa_float_round_mode_16_64 0
		.amdhsa_float_denorm_mode_32 3
		.amdhsa_float_denorm_mode_16_64 3
		.amdhsa_dx10_clamp 1
		.amdhsa_ieee_mode 1
		.amdhsa_fp16_overflow 0
		.amdhsa_tg_split 0
		.amdhsa_exception_fp_ieee_invalid_op 0
		.amdhsa_exception_fp_denorm_src 0
		.amdhsa_exception_fp_ieee_div_zero 0
		.amdhsa_exception_fp_ieee_overflow 0
		.amdhsa_exception_fp_ieee_underflow 0
		.amdhsa_exception_fp_ieee_inexact 0
		.amdhsa_exception_int_div_zero 0
	.end_amdhsa_kernel
	.section	.text._ZN7rocprim17ROCPRIM_400000_NS6detail17trampoline_kernelINS0_14default_configENS1_27upper_bound_config_selectorIiiEEZNS1_14transform_implILb0ES3_S5_N6thrust23THRUST_200600_302600_NS6detail15normal_iteratorINS8_10device_ptrIiEEEESD_ZNS1_13binary_searchIS3_S5_SD_SD_SD_NS1_21upper_bound_search_opENS9_16wrapped_functionINS0_4lessIvEEbEEEE10hipError_tPvRmT1_T2_T3_mmT4_T5_P12ihipStream_tbEUlRKiE_EESK_SO_SP_mSQ_ST_bEUlT_E_NS1_11comp_targetILNS1_3genE5ELNS1_11target_archE942ELNS1_3gpuE9ELNS1_3repE0EEENS1_30default_config_static_selectorELNS0_4arch9wavefront6targetE1EEEvSN_,"axG",@progbits,_ZN7rocprim17ROCPRIM_400000_NS6detail17trampoline_kernelINS0_14default_configENS1_27upper_bound_config_selectorIiiEEZNS1_14transform_implILb0ES3_S5_N6thrust23THRUST_200600_302600_NS6detail15normal_iteratorINS8_10device_ptrIiEEEESD_ZNS1_13binary_searchIS3_S5_SD_SD_SD_NS1_21upper_bound_search_opENS9_16wrapped_functionINS0_4lessIvEEbEEEE10hipError_tPvRmT1_T2_T3_mmT4_T5_P12ihipStream_tbEUlRKiE_EESK_SO_SP_mSQ_ST_bEUlT_E_NS1_11comp_targetILNS1_3genE5ELNS1_11target_archE942ELNS1_3gpuE9ELNS1_3repE0EEENS1_30default_config_static_selectorELNS0_4arch9wavefront6targetE1EEEvSN_,comdat
.Lfunc_end385:
	.size	_ZN7rocprim17ROCPRIM_400000_NS6detail17trampoline_kernelINS0_14default_configENS1_27upper_bound_config_selectorIiiEEZNS1_14transform_implILb0ES3_S5_N6thrust23THRUST_200600_302600_NS6detail15normal_iteratorINS8_10device_ptrIiEEEESD_ZNS1_13binary_searchIS3_S5_SD_SD_SD_NS1_21upper_bound_search_opENS9_16wrapped_functionINS0_4lessIvEEbEEEE10hipError_tPvRmT1_T2_T3_mmT4_T5_P12ihipStream_tbEUlRKiE_EESK_SO_SP_mSQ_ST_bEUlT_E_NS1_11comp_targetILNS1_3genE5ELNS1_11target_archE942ELNS1_3gpuE9ELNS1_3repE0EEENS1_30default_config_static_selectorELNS0_4arch9wavefront6targetE1EEEvSN_, .Lfunc_end385-_ZN7rocprim17ROCPRIM_400000_NS6detail17trampoline_kernelINS0_14default_configENS1_27upper_bound_config_selectorIiiEEZNS1_14transform_implILb0ES3_S5_N6thrust23THRUST_200600_302600_NS6detail15normal_iteratorINS8_10device_ptrIiEEEESD_ZNS1_13binary_searchIS3_S5_SD_SD_SD_NS1_21upper_bound_search_opENS9_16wrapped_functionINS0_4lessIvEEbEEEE10hipError_tPvRmT1_T2_T3_mmT4_T5_P12ihipStream_tbEUlRKiE_EESK_SO_SP_mSQ_ST_bEUlT_E_NS1_11comp_targetILNS1_3genE5ELNS1_11target_archE942ELNS1_3gpuE9ELNS1_3repE0EEENS1_30default_config_static_selectorELNS0_4arch9wavefront6targetE1EEEvSN_
                                        ; -- End function
	.section	.AMDGPU.csdata,"",@progbits
; Kernel info:
; codeLenInByte = 0
; NumSgprs: 4
; NumVgprs: 0
; NumAgprs: 0
; TotalNumVgprs: 0
; ScratchSize: 0
; MemoryBound: 0
; FloatMode: 240
; IeeeMode: 1
; LDSByteSize: 0 bytes/workgroup (compile time only)
; SGPRBlocks: 0
; VGPRBlocks: 0
; NumSGPRsForWavesPerEU: 4
; NumVGPRsForWavesPerEU: 1
; AccumOffset: 4
; Occupancy: 8
; WaveLimiterHint : 0
; COMPUTE_PGM_RSRC2:SCRATCH_EN: 0
; COMPUTE_PGM_RSRC2:USER_SGPR: 6
; COMPUTE_PGM_RSRC2:TRAP_HANDLER: 0
; COMPUTE_PGM_RSRC2:TGID_X_EN: 1
; COMPUTE_PGM_RSRC2:TGID_Y_EN: 0
; COMPUTE_PGM_RSRC2:TGID_Z_EN: 0
; COMPUTE_PGM_RSRC2:TIDIG_COMP_CNT: 0
; COMPUTE_PGM_RSRC3_GFX90A:ACCUM_OFFSET: 0
; COMPUTE_PGM_RSRC3_GFX90A:TG_SPLIT: 0
	.section	.text._ZN7rocprim17ROCPRIM_400000_NS6detail17trampoline_kernelINS0_14default_configENS1_27upper_bound_config_selectorIiiEEZNS1_14transform_implILb0ES3_S5_N6thrust23THRUST_200600_302600_NS6detail15normal_iteratorINS8_10device_ptrIiEEEESD_ZNS1_13binary_searchIS3_S5_SD_SD_SD_NS1_21upper_bound_search_opENS9_16wrapped_functionINS0_4lessIvEEbEEEE10hipError_tPvRmT1_T2_T3_mmT4_T5_P12ihipStream_tbEUlRKiE_EESK_SO_SP_mSQ_ST_bEUlT_E_NS1_11comp_targetILNS1_3genE4ELNS1_11target_archE910ELNS1_3gpuE8ELNS1_3repE0EEENS1_30default_config_static_selectorELNS0_4arch9wavefront6targetE1EEEvSN_,"axG",@progbits,_ZN7rocprim17ROCPRIM_400000_NS6detail17trampoline_kernelINS0_14default_configENS1_27upper_bound_config_selectorIiiEEZNS1_14transform_implILb0ES3_S5_N6thrust23THRUST_200600_302600_NS6detail15normal_iteratorINS8_10device_ptrIiEEEESD_ZNS1_13binary_searchIS3_S5_SD_SD_SD_NS1_21upper_bound_search_opENS9_16wrapped_functionINS0_4lessIvEEbEEEE10hipError_tPvRmT1_T2_T3_mmT4_T5_P12ihipStream_tbEUlRKiE_EESK_SO_SP_mSQ_ST_bEUlT_E_NS1_11comp_targetILNS1_3genE4ELNS1_11target_archE910ELNS1_3gpuE8ELNS1_3repE0EEENS1_30default_config_static_selectorELNS0_4arch9wavefront6targetE1EEEvSN_,comdat
	.protected	_ZN7rocprim17ROCPRIM_400000_NS6detail17trampoline_kernelINS0_14default_configENS1_27upper_bound_config_selectorIiiEEZNS1_14transform_implILb0ES3_S5_N6thrust23THRUST_200600_302600_NS6detail15normal_iteratorINS8_10device_ptrIiEEEESD_ZNS1_13binary_searchIS3_S5_SD_SD_SD_NS1_21upper_bound_search_opENS9_16wrapped_functionINS0_4lessIvEEbEEEE10hipError_tPvRmT1_T2_T3_mmT4_T5_P12ihipStream_tbEUlRKiE_EESK_SO_SP_mSQ_ST_bEUlT_E_NS1_11comp_targetILNS1_3genE4ELNS1_11target_archE910ELNS1_3gpuE8ELNS1_3repE0EEENS1_30default_config_static_selectorELNS0_4arch9wavefront6targetE1EEEvSN_ ; -- Begin function _ZN7rocprim17ROCPRIM_400000_NS6detail17trampoline_kernelINS0_14default_configENS1_27upper_bound_config_selectorIiiEEZNS1_14transform_implILb0ES3_S5_N6thrust23THRUST_200600_302600_NS6detail15normal_iteratorINS8_10device_ptrIiEEEESD_ZNS1_13binary_searchIS3_S5_SD_SD_SD_NS1_21upper_bound_search_opENS9_16wrapped_functionINS0_4lessIvEEbEEEE10hipError_tPvRmT1_T2_T3_mmT4_T5_P12ihipStream_tbEUlRKiE_EESK_SO_SP_mSQ_ST_bEUlT_E_NS1_11comp_targetILNS1_3genE4ELNS1_11target_archE910ELNS1_3gpuE8ELNS1_3repE0EEENS1_30default_config_static_selectorELNS0_4arch9wavefront6targetE1EEEvSN_
	.globl	_ZN7rocprim17ROCPRIM_400000_NS6detail17trampoline_kernelINS0_14default_configENS1_27upper_bound_config_selectorIiiEEZNS1_14transform_implILb0ES3_S5_N6thrust23THRUST_200600_302600_NS6detail15normal_iteratorINS8_10device_ptrIiEEEESD_ZNS1_13binary_searchIS3_S5_SD_SD_SD_NS1_21upper_bound_search_opENS9_16wrapped_functionINS0_4lessIvEEbEEEE10hipError_tPvRmT1_T2_T3_mmT4_T5_P12ihipStream_tbEUlRKiE_EESK_SO_SP_mSQ_ST_bEUlT_E_NS1_11comp_targetILNS1_3genE4ELNS1_11target_archE910ELNS1_3gpuE8ELNS1_3repE0EEENS1_30default_config_static_selectorELNS0_4arch9wavefront6targetE1EEEvSN_
	.p2align	8
	.type	_ZN7rocprim17ROCPRIM_400000_NS6detail17trampoline_kernelINS0_14default_configENS1_27upper_bound_config_selectorIiiEEZNS1_14transform_implILb0ES3_S5_N6thrust23THRUST_200600_302600_NS6detail15normal_iteratorINS8_10device_ptrIiEEEESD_ZNS1_13binary_searchIS3_S5_SD_SD_SD_NS1_21upper_bound_search_opENS9_16wrapped_functionINS0_4lessIvEEbEEEE10hipError_tPvRmT1_T2_T3_mmT4_T5_P12ihipStream_tbEUlRKiE_EESK_SO_SP_mSQ_ST_bEUlT_E_NS1_11comp_targetILNS1_3genE4ELNS1_11target_archE910ELNS1_3gpuE8ELNS1_3repE0EEENS1_30default_config_static_selectorELNS0_4arch9wavefront6targetE1EEEvSN_,@function
_ZN7rocprim17ROCPRIM_400000_NS6detail17trampoline_kernelINS0_14default_configENS1_27upper_bound_config_selectorIiiEEZNS1_14transform_implILb0ES3_S5_N6thrust23THRUST_200600_302600_NS6detail15normal_iteratorINS8_10device_ptrIiEEEESD_ZNS1_13binary_searchIS3_S5_SD_SD_SD_NS1_21upper_bound_search_opENS9_16wrapped_functionINS0_4lessIvEEbEEEE10hipError_tPvRmT1_T2_T3_mmT4_T5_P12ihipStream_tbEUlRKiE_EESK_SO_SP_mSQ_ST_bEUlT_E_NS1_11comp_targetILNS1_3genE4ELNS1_11target_archE910ELNS1_3gpuE8ELNS1_3repE0EEENS1_30default_config_static_selectorELNS0_4arch9wavefront6targetE1EEEvSN_: ; @_ZN7rocprim17ROCPRIM_400000_NS6detail17trampoline_kernelINS0_14default_configENS1_27upper_bound_config_selectorIiiEEZNS1_14transform_implILb0ES3_S5_N6thrust23THRUST_200600_302600_NS6detail15normal_iteratorINS8_10device_ptrIiEEEESD_ZNS1_13binary_searchIS3_S5_SD_SD_SD_NS1_21upper_bound_search_opENS9_16wrapped_functionINS0_4lessIvEEbEEEE10hipError_tPvRmT1_T2_T3_mmT4_T5_P12ihipStream_tbEUlRKiE_EESK_SO_SP_mSQ_ST_bEUlT_E_NS1_11comp_targetILNS1_3genE4ELNS1_11target_archE910ELNS1_3gpuE8ELNS1_3repE0EEENS1_30default_config_static_selectorELNS0_4arch9wavefront6targetE1EEEvSN_
; %bb.0:
	s_load_dwordx4 s[12:15], s[4:5], 0x0
	s_load_dwordx4 s[0:3], s[4:5], 0x18
	s_load_dwordx2 s[10:11], s[4:5], 0x28
	s_load_dword s16, s[4:5], 0x38
	s_waitcnt lgkmcnt(0)
	s_lshl_b64 s[8:9], s[14:15], 2
	s_add_u32 s7, s12, s8
	s_addc_u32 s14, s13, s9
	s_add_u32 s12, s0, s8
	s_addc_u32 s13, s1, s9
	s_lshl_b32 s8, s6, 8
	s_add_i32 s16, s16, -1
	s_mov_b32 s9, 0
	s_cmp_lg_u32 s6, s16
	s_mov_b64 s[0:1], -1
	s_cbranch_scc0 .LBB386_6
; %bb.1:
	v_mov_b32_e32 v2, 0
	s_cmp_eq_u64 s[10:11], 0
	s_mov_b64 s[0:1], 0
	s_cbranch_scc1 .LBB386_5
; %bb.2:
	s_lshl_b64 s[16:17], s[8:9], 2
	s_add_u32 s6, s7, s16
	s_addc_u32 s15, s14, s17
	v_lshlrev_b32_e32 v1, 2, v0
	v_mov_b32_e32 v3, s15
	v_add_co_u32_e32 v2, vcc, s6, v1
	v_addc_co_u32_e32 v3, vcc, 0, v3, vcc
	flat_load_dword v1, v[2:3]
	v_pk_mov_b32 v[2:3], 0, 0
	v_pk_mov_b32 v[4:5], s[10:11], s[10:11] op_sel:[0,1]
	v_mov_b32_e32 v6, s3
.LBB386_3:                              ; =>This Inner Loop Header: Depth=1
	v_sub_co_u32_e32 v8, vcc, v4, v2
	v_subb_co_u32_e32 v9, vcc, v5, v3, vcc
	v_lshrrev_b64 v[10:11], 1, v[8:9]
	v_add_co_u32_e32 v7, vcc, v10, v2
	v_lshrrev_b64 v[8:9], 6, v[8:9]
	v_addc_co_u32_e32 v10, vcc, v11, v3, vcc
	v_add_co_u32_e32 v8, vcc, v7, v8
	v_addc_co_u32_e32 v9, vcc, v10, v9, vcc
	v_lshlrev_b64 v[10:11], 2, v[8:9]
	v_add_co_u32_e32 v10, vcc, s2, v10
	v_addc_co_u32_e32 v11, vcc, v6, v11, vcc
	global_load_dword v7, v[10:11], off
	v_add_co_u32_e32 v10, vcc, 1, v8
	v_addc_co_u32_e32 v11, vcc, 0, v9, vcc
	s_waitcnt vmcnt(0) lgkmcnt(0)
	v_cmp_gt_i32_e32 vcc, v7, v1
	v_cndmask_b32_e32 v5, v5, v9, vcc
	v_cndmask_b32_e32 v4, v4, v8, vcc
	v_cndmask_b32_e32 v3, v11, v3, vcc
	v_cndmask_b32_e32 v2, v10, v2, vcc
	v_cmp_ge_u64_e32 vcc, v[2:3], v[4:5]
	s_or_b64 s[0:1], vcc, s[0:1]
	s_andn2_b64 exec, exec, s[0:1]
	s_cbranch_execnz .LBB386_3
; %bb.4:
	s_or_b64 exec, exec, s[0:1]
.LBB386_5:
	s_lshl_b64 s[0:1], s[8:9], 2
	s_add_u32 s0, s12, s0
	s_addc_u32 s1, s13, s1
	v_lshlrev_b32_e32 v1, 2, v0
	v_mov_b32_e32 v3, s1
	v_add_co_u32_e32 v4, vcc, s0, v1
	v_addc_co_u32_e32 v5, vcc, 0, v3, vcc
	s_mov_b64 s[0:1], 0
	flat_store_dword v[4:5], v2
.LBB386_6:
	s_and_b64 vcc, exec, s[0:1]
	s_cbranch_vccz .LBB386_11
; %bb.7:
	s_load_dword s0, s[4:5], 0x10
                                        ; implicit-def: $vgpr1
	s_waitcnt lgkmcnt(0)
	s_sub_i32 s0, s0, s8
	v_cmp_gt_u32_e32 vcc, s0, v0
	s_and_saveexec_b64 s[4:5], vcc
	s_cbranch_execnz .LBB386_12
; %bb.8:
	s_or_b64 exec, exec, s[4:5]
                                        ; implicit-def: $vgpr2
	s_and_saveexec_b64 s[4:5], vcc
	s_cbranch_execnz .LBB386_13
.LBB386_9:
	s_or_b64 exec, exec, s[4:5]
	s_and_saveexec_b64 s[0:1], vcc
	s_cbranch_execz .LBB386_11
.LBB386_10:
	s_lshl_b64 s[0:1], s[8:9], 2
	s_add_u32 s0, s12, s0
	s_addc_u32 s1, s13, s1
	v_lshlrev_b32_e32 v0, 2, v0
	s_waitcnt vmcnt(0) lgkmcnt(0)
	v_mov_b32_e32 v1, s1
	v_add_co_u32_e32 v0, vcc, s0, v0
	v_addc_co_u32_e32 v1, vcc, 0, v1, vcc
	flat_store_dword v[0:1], v2
.LBB386_11:
	s_endpgm
.LBB386_12:
	s_lshl_b64 s[0:1], s[8:9], 2
	s_add_u32 s0, s7, s0
	s_addc_u32 s1, s14, s1
	v_lshlrev_b32_e32 v1, 2, v0
	v_mov_b32_e32 v3, s1
	v_add_co_u32_e64 v2, s[0:1], s0, v1
	v_addc_co_u32_e64 v3, s[0:1], 0, v3, s[0:1]
	flat_load_dword v1, v[2:3]
	s_or_b64 exec, exec, s[4:5]
                                        ; implicit-def: $vgpr2
	s_and_saveexec_b64 s[4:5], vcc
	s_cbranch_execz .LBB386_9
.LBB386_13:
	s_cmp_eq_u64 s[10:11], 0
	s_mov_b64 s[6:7], 0
	s_cbranch_scc1 .LBB386_17
; %bb.14:
	v_pk_mov_b32 v[2:3], 0, 0
	v_pk_mov_b32 v[4:5], s[10:11], s[10:11] op_sel:[0,1]
	v_mov_b32_e32 v6, s3
.LBB386_15:                             ; =>This Inner Loop Header: Depth=1
	v_sub_co_u32_e64 v8, s[0:1], v4, v2
	v_subb_co_u32_e64 v9, s[0:1], v5, v3, s[0:1]
	v_lshrrev_b64 v[10:11], 1, v[8:9]
	v_add_co_u32_e64 v7, s[0:1], v10, v2
	v_lshrrev_b64 v[8:9], 6, v[8:9]
	v_addc_co_u32_e64 v10, s[0:1], v11, v3, s[0:1]
	v_add_co_u32_e64 v8, s[0:1], v7, v8
	v_addc_co_u32_e64 v9, s[0:1], v10, v9, s[0:1]
	v_lshlrev_b64 v[10:11], 2, v[8:9]
	v_add_co_u32_e64 v10, s[0:1], s2, v10
	v_addc_co_u32_e64 v11, s[0:1], v6, v11, s[0:1]
	global_load_dword v7, v[10:11], off
	v_add_co_u32_e64 v10, s[0:1], 1, v8
	v_addc_co_u32_e64 v11, s[0:1], 0, v9, s[0:1]
	s_waitcnt vmcnt(0) lgkmcnt(0)
	v_cmp_gt_i32_e64 s[0:1], v7, v1
	v_cndmask_b32_e64 v5, v5, v9, s[0:1]
	v_cndmask_b32_e64 v4, v4, v8, s[0:1]
	;; [unrolled: 1-line block ×4, first 2 shown]
	v_cmp_ge_u64_e64 s[0:1], v[2:3], v[4:5]
	s_or_b64 s[6:7], s[0:1], s[6:7]
	s_andn2_b64 exec, exec, s[6:7]
	s_cbranch_execnz .LBB386_15
; %bb.16:
	s_or_b64 exec, exec, s[6:7]
	s_or_b64 exec, exec, s[4:5]
	s_and_saveexec_b64 s[0:1], vcc
	s_cbranch_execnz .LBB386_10
	s_branch .LBB386_11
.LBB386_17:
	v_mov_b32_e32 v2, 0
	s_or_b64 exec, exec, s[4:5]
	s_and_saveexec_b64 s[0:1], vcc
	s_cbranch_execnz .LBB386_10
	s_branch .LBB386_11
	.section	.rodata,"a",@progbits
	.p2align	6, 0x0
	.amdhsa_kernel _ZN7rocprim17ROCPRIM_400000_NS6detail17trampoline_kernelINS0_14default_configENS1_27upper_bound_config_selectorIiiEEZNS1_14transform_implILb0ES3_S5_N6thrust23THRUST_200600_302600_NS6detail15normal_iteratorINS8_10device_ptrIiEEEESD_ZNS1_13binary_searchIS3_S5_SD_SD_SD_NS1_21upper_bound_search_opENS9_16wrapped_functionINS0_4lessIvEEbEEEE10hipError_tPvRmT1_T2_T3_mmT4_T5_P12ihipStream_tbEUlRKiE_EESK_SO_SP_mSQ_ST_bEUlT_E_NS1_11comp_targetILNS1_3genE4ELNS1_11target_archE910ELNS1_3gpuE8ELNS1_3repE0EEENS1_30default_config_static_selectorELNS0_4arch9wavefront6targetE1EEEvSN_
		.amdhsa_group_segment_fixed_size 0
		.amdhsa_private_segment_fixed_size 0
		.amdhsa_kernarg_size 312
		.amdhsa_user_sgpr_count 6
		.amdhsa_user_sgpr_private_segment_buffer 1
		.amdhsa_user_sgpr_dispatch_ptr 0
		.amdhsa_user_sgpr_queue_ptr 0
		.amdhsa_user_sgpr_kernarg_segment_ptr 1
		.amdhsa_user_sgpr_dispatch_id 0
		.amdhsa_user_sgpr_flat_scratch_init 0
		.amdhsa_user_sgpr_kernarg_preload_length 0
		.amdhsa_user_sgpr_kernarg_preload_offset 0
		.amdhsa_user_sgpr_private_segment_size 0
		.amdhsa_uses_dynamic_stack 0
		.amdhsa_system_sgpr_private_segment_wavefront_offset 0
		.amdhsa_system_sgpr_workgroup_id_x 1
		.amdhsa_system_sgpr_workgroup_id_y 0
		.amdhsa_system_sgpr_workgroup_id_z 0
		.amdhsa_system_sgpr_workgroup_info 0
		.amdhsa_system_vgpr_workitem_id 0
		.amdhsa_next_free_vgpr 12
		.amdhsa_next_free_sgpr 18
		.amdhsa_accum_offset 12
		.amdhsa_reserve_vcc 1
		.amdhsa_reserve_flat_scratch 0
		.amdhsa_float_round_mode_32 0
		.amdhsa_float_round_mode_16_64 0
		.amdhsa_float_denorm_mode_32 3
		.amdhsa_float_denorm_mode_16_64 3
		.amdhsa_dx10_clamp 1
		.amdhsa_ieee_mode 1
		.amdhsa_fp16_overflow 0
		.amdhsa_tg_split 0
		.amdhsa_exception_fp_ieee_invalid_op 0
		.amdhsa_exception_fp_denorm_src 0
		.amdhsa_exception_fp_ieee_div_zero 0
		.amdhsa_exception_fp_ieee_overflow 0
		.amdhsa_exception_fp_ieee_underflow 0
		.amdhsa_exception_fp_ieee_inexact 0
		.amdhsa_exception_int_div_zero 0
	.end_amdhsa_kernel
	.section	.text._ZN7rocprim17ROCPRIM_400000_NS6detail17trampoline_kernelINS0_14default_configENS1_27upper_bound_config_selectorIiiEEZNS1_14transform_implILb0ES3_S5_N6thrust23THRUST_200600_302600_NS6detail15normal_iteratorINS8_10device_ptrIiEEEESD_ZNS1_13binary_searchIS3_S5_SD_SD_SD_NS1_21upper_bound_search_opENS9_16wrapped_functionINS0_4lessIvEEbEEEE10hipError_tPvRmT1_T2_T3_mmT4_T5_P12ihipStream_tbEUlRKiE_EESK_SO_SP_mSQ_ST_bEUlT_E_NS1_11comp_targetILNS1_3genE4ELNS1_11target_archE910ELNS1_3gpuE8ELNS1_3repE0EEENS1_30default_config_static_selectorELNS0_4arch9wavefront6targetE1EEEvSN_,"axG",@progbits,_ZN7rocprim17ROCPRIM_400000_NS6detail17trampoline_kernelINS0_14default_configENS1_27upper_bound_config_selectorIiiEEZNS1_14transform_implILb0ES3_S5_N6thrust23THRUST_200600_302600_NS6detail15normal_iteratorINS8_10device_ptrIiEEEESD_ZNS1_13binary_searchIS3_S5_SD_SD_SD_NS1_21upper_bound_search_opENS9_16wrapped_functionINS0_4lessIvEEbEEEE10hipError_tPvRmT1_T2_T3_mmT4_T5_P12ihipStream_tbEUlRKiE_EESK_SO_SP_mSQ_ST_bEUlT_E_NS1_11comp_targetILNS1_3genE4ELNS1_11target_archE910ELNS1_3gpuE8ELNS1_3repE0EEENS1_30default_config_static_selectorELNS0_4arch9wavefront6targetE1EEEvSN_,comdat
.Lfunc_end386:
	.size	_ZN7rocprim17ROCPRIM_400000_NS6detail17trampoline_kernelINS0_14default_configENS1_27upper_bound_config_selectorIiiEEZNS1_14transform_implILb0ES3_S5_N6thrust23THRUST_200600_302600_NS6detail15normal_iteratorINS8_10device_ptrIiEEEESD_ZNS1_13binary_searchIS3_S5_SD_SD_SD_NS1_21upper_bound_search_opENS9_16wrapped_functionINS0_4lessIvEEbEEEE10hipError_tPvRmT1_T2_T3_mmT4_T5_P12ihipStream_tbEUlRKiE_EESK_SO_SP_mSQ_ST_bEUlT_E_NS1_11comp_targetILNS1_3genE4ELNS1_11target_archE910ELNS1_3gpuE8ELNS1_3repE0EEENS1_30default_config_static_selectorELNS0_4arch9wavefront6targetE1EEEvSN_, .Lfunc_end386-_ZN7rocprim17ROCPRIM_400000_NS6detail17trampoline_kernelINS0_14default_configENS1_27upper_bound_config_selectorIiiEEZNS1_14transform_implILb0ES3_S5_N6thrust23THRUST_200600_302600_NS6detail15normal_iteratorINS8_10device_ptrIiEEEESD_ZNS1_13binary_searchIS3_S5_SD_SD_SD_NS1_21upper_bound_search_opENS9_16wrapped_functionINS0_4lessIvEEbEEEE10hipError_tPvRmT1_T2_T3_mmT4_T5_P12ihipStream_tbEUlRKiE_EESK_SO_SP_mSQ_ST_bEUlT_E_NS1_11comp_targetILNS1_3genE4ELNS1_11target_archE910ELNS1_3gpuE8ELNS1_3repE0EEENS1_30default_config_static_selectorELNS0_4arch9wavefront6targetE1EEEvSN_
                                        ; -- End function
	.section	.AMDGPU.csdata,"",@progbits
; Kernel info:
; codeLenInByte = 716
; NumSgprs: 22
; NumVgprs: 12
; NumAgprs: 0
; TotalNumVgprs: 12
; ScratchSize: 0
; MemoryBound: 0
; FloatMode: 240
; IeeeMode: 1
; LDSByteSize: 0 bytes/workgroup (compile time only)
; SGPRBlocks: 2
; VGPRBlocks: 1
; NumSGPRsForWavesPerEU: 22
; NumVGPRsForWavesPerEU: 12
; AccumOffset: 12
; Occupancy: 8
; WaveLimiterHint : 0
; COMPUTE_PGM_RSRC2:SCRATCH_EN: 0
; COMPUTE_PGM_RSRC2:USER_SGPR: 6
; COMPUTE_PGM_RSRC2:TRAP_HANDLER: 0
; COMPUTE_PGM_RSRC2:TGID_X_EN: 1
; COMPUTE_PGM_RSRC2:TGID_Y_EN: 0
; COMPUTE_PGM_RSRC2:TGID_Z_EN: 0
; COMPUTE_PGM_RSRC2:TIDIG_COMP_CNT: 0
; COMPUTE_PGM_RSRC3_GFX90A:ACCUM_OFFSET: 2
; COMPUTE_PGM_RSRC3_GFX90A:TG_SPLIT: 0
	.section	.text._ZN7rocprim17ROCPRIM_400000_NS6detail17trampoline_kernelINS0_14default_configENS1_27upper_bound_config_selectorIiiEEZNS1_14transform_implILb0ES3_S5_N6thrust23THRUST_200600_302600_NS6detail15normal_iteratorINS8_10device_ptrIiEEEESD_ZNS1_13binary_searchIS3_S5_SD_SD_SD_NS1_21upper_bound_search_opENS9_16wrapped_functionINS0_4lessIvEEbEEEE10hipError_tPvRmT1_T2_T3_mmT4_T5_P12ihipStream_tbEUlRKiE_EESK_SO_SP_mSQ_ST_bEUlT_E_NS1_11comp_targetILNS1_3genE3ELNS1_11target_archE908ELNS1_3gpuE7ELNS1_3repE0EEENS1_30default_config_static_selectorELNS0_4arch9wavefront6targetE1EEEvSN_,"axG",@progbits,_ZN7rocprim17ROCPRIM_400000_NS6detail17trampoline_kernelINS0_14default_configENS1_27upper_bound_config_selectorIiiEEZNS1_14transform_implILb0ES3_S5_N6thrust23THRUST_200600_302600_NS6detail15normal_iteratorINS8_10device_ptrIiEEEESD_ZNS1_13binary_searchIS3_S5_SD_SD_SD_NS1_21upper_bound_search_opENS9_16wrapped_functionINS0_4lessIvEEbEEEE10hipError_tPvRmT1_T2_T3_mmT4_T5_P12ihipStream_tbEUlRKiE_EESK_SO_SP_mSQ_ST_bEUlT_E_NS1_11comp_targetILNS1_3genE3ELNS1_11target_archE908ELNS1_3gpuE7ELNS1_3repE0EEENS1_30default_config_static_selectorELNS0_4arch9wavefront6targetE1EEEvSN_,comdat
	.protected	_ZN7rocprim17ROCPRIM_400000_NS6detail17trampoline_kernelINS0_14default_configENS1_27upper_bound_config_selectorIiiEEZNS1_14transform_implILb0ES3_S5_N6thrust23THRUST_200600_302600_NS6detail15normal_iteratorINS8_10device_ptrIiEEEESD_ZNS1_13binary_searchIS3_S5_SD_SD_SD_NS1_21upper_bound_search_opENS9_16wrapped_functionINS0_4lessIvEEbEEEE10hipError_tPvRmT1_T2_T3_mmT4_T5_P12ihipStream_tbEUlRKiE_EESK_SO_SP_mSQ_ST_bEUlT_E_NS1_11comp_targetILNS1_3genE3ELNS1_11target_archE908ELNS1_3gpuE7ELNS1_3repE0EEENS1_30default_config_static_selectorELNS0_4arch9wavefront6targetE1EEEvSN_ ; -- Begin function _ZN7rocprim17ROCPRIM_400000_NS6detail17trampoline_kernelINS0_14default_configENS1_27upper_bound_config_selectorIiiEEZNS1_14transform_implILb0ES3_S5_N6thrust23THRUST_200600_302600_NS6detail15normal_iteratorINS8_10device_ptrIiEEEESD_ZNS1_13binary_searchIS3_S5_SD_SD_SD_NS1_21upper_bound_search_opENS9_16wrapped_functionINS0_4lessIvEEbEEEE10hipError_tPvRmT1_T2_T3_mmT4_T5_P12ihipStream_tbEUlRKiE_EESK_SO_SP_mSQ_ST_bEUlT_E_NS1_11comp_targetILNS1_3genE3ELNS1_11target_archE908ELNS1_3gpuE7ELNS1_3repE0EEENS1_30default_config_static_selectorELNS0_4arch9wavefront6targetE1EEEvSN_
	.globl	_ZN7rocprim17ROCPRIM_400000_NS6detail17trampoline_kernelINS0_14default_configENS1_27upper_bound_config_selectorIiiEEZNS1_14transform_implILb0ES3_S5_N6thrust23THRUST_200600_302600_NS6detail15normal_iteratorINS8_10device_ptrIiEEEESD_ZNS1_13binary_searchIS3_S5_SD_SD_SD_NS1_21upper_bound_search_opENS9_16wrapped_functionINS0_4lessIvEEbEEEE10hipError_tPvRmT1_T2_T3_mmT4_T5_P12ihipStream_tbEUlRKiE_EESK_SO_SP_mSQ_ST_bEUlT_E_NS1_11comp_targetILNS1_3genE3ELNS1_11target_archE908ELNS1_3gpuE7ELNS1_3repE0EEENS1_30default_config_static_selectorELNS0_4arch9wavefront6targetE1EEEvSN_
	.p2align	8
	.type	_ZN7rocprim17ROCPRIM_400000_NS6detail17trampoline_kernelINS0_14default_configENS1_27upper_bound_config_selectorIiiEEZNS1_14transform_implILb0ES3_S5_N6thrust23THRUST_200600_302600_NS6detail15normal_iteratorINS8_10device_ptrIiEEEESD_ZNS1_13binary_searchIS3_S5_SD_SD_SD_NS1_21upper_bound_search_opENS9_16wrapped_functionINS0_4lessIvEEbEEEE10hipError_tPvRmT1_T2_T3_mmT4_T5_P12ihipStream_tbEUlRKiE_EESK_SO_SP_mSQ_ST_bEUlT_E_NS1_11comp_targetILNS1_3genE3ELNS1_11target_archE908ELNS1_3gpuE7ELNS1_3repE0EEENS1_30default_config_static_selectorELNS0_4arch9wavefront6targetE1EEEvSN_,@function
_ZN7rocprim17ROCPRIM_400000_NS6detail17trampoline_kernelINS0_14default_configENS1_27upper_bound_config_selectorIiiEEZNS1_14transform_implILb0ES3_S5_N6thrust23THRUST_200600_302600_NS6detail15normal_iteratorINS8_10device_ptrIiEEEESD_ZNS1_13binary_searchIS3_S5_SD_SD_SD_NS1_21upper_bound_search_opENS9_16wrapped_functionINS0_4lessIvEEbEEEE10hipError_tPvRmT1_T2_T3_mmT4_T5_P12ihipStream_tbEUlRKiE_EESK_SO_SP_mSQ_ST_bEUlT_E_NS1_11comp_targetILNS1_3genE3ELNS1_11target_archE908ELNS1_3gpuE7ELNS1_3repE0EEENS1_30default_config_static_selectorELNS0_4arch9wavefront6targetE1EEEvSN_: ; @_ZN7rocprim17ROCPRIM_400000_NS6detail17trampoline_kernelINS0_14default_configENS1_27upper_bound_config_selectorIiiEEZNS1_14transform_implILb0ES3_S5_N6thrust23THRUST_200600_302600_NS6detail15normal_iteratorINS8_10device_ptrIiEEEESD_ZNS1_13binary_searchIS3_S5_SD_SD_SD_NS1_21upper_bound_search_opENS9_16wrapped_functionINS0_4lessIvEEbEEEE10hipError_tPvRmT1_T2_T3_mmT4_T5_P12ihipStream_tbEUlRKiE_EESK_SO_SP_mSQ_ST_bEUlT_E_NS1_11comp_targetILNS1_3genE3ELNS1_11target_archE908ELNS1_3gpuE7ELNS1_3repE0EEENS1_30default_config_static_selectorELNS0_4arch9wavefront6targetE1EEEvSN_
; %bb.0:
	.section	.rodata,"a",@progbits
	.p2align	6, 0x0
	.amdhsa_kernel _ZN7rocprim17ROCPRIM_400000_NS6detail17trampoline_kernelINS0_14default_configENS1_27upper_bound_config_selectorIiiEEZNS1_14transform_implILb0ES3_S5_N6thrust23THRUST_200600_302600_NS6detail15normal_iteratorINS8_10device_ptrIiEEEESD_ZNS1_13binary_searchIS3_S5_SD_SD_SD_NS1_21upper_bound_search_opENS9_16wrapped_functionINS0_4lessIvEEbEEEE10hipError_tPvRmT1_T2_T3_mmT4_T5_P12ihipStream_tbEUlRKiE_EESK_SO_SP_mSQ_ST_bEUlT_E_NS1_11comp_targetILNS1_3genE3ELNS1_11target_archE908ELNS1_3gpuE7ELNS1_3repE0EEENS1_30default_config_static_selectorELNS0_4arch9wavefront6targetE1EEEvSN_
		.amdhsa_group_segment_fixed_size 0
		.amdhsa_private_segment_fixed_size 0
		.amdhsa_kernarg_size 56
		.amdhsa_user_sgpr_count 6
		.amdhsa_user_sgpr_private_segment_buffer 1
		.amdhsa_user_sgpr_dispatch_ptr 0
		.amdhsa_user_sgpr_queue_ptr 0
		.amdhsa_user_sgpr_kernarg_segment_ptr 1
		.amdhsa_user_sgpr_dispatch_id 0
		.amdhsa_user_sgpr_flat_scratch_init 0
		.amdhsa_user_sgpr_kernarg_preload_length 0
		.amdhsa_user_sgpr_kernarg_preload_offset 0
		.amdhsa_user_sgpr_private_segment_size 0
		.amdhsa_uses_dynamic_stack 0
		.amdhsa_system_sgpr_private_segment_wavefront_offset 0
		.amdhsa_system_sgpr_workgroup_id_x 1
		.amdhsa_system_sgpr_workgroup_id_y 0
		.amdhsa_system_sgpr_workgroup_id_z 0
		.amdhsa_system_sgpr_workgroup_info 0
		.amdhsa_system_vgpr_workitem_id 0
		.amdhsa_next_free_vgpr 1
		.amdhsa_next_free_sgpr 0
		.amdhsa_accum_offset 4
		.amdhsa_reserve_vcc 0
		.amdhsa_reserve_flat_scratch 0
		.amdhsa_float_round_mode_32 0
		.amdhsa_float_round_mode_16_64 0
		.amdhsa_float_denorm_mode_32 3
		.amdhsa_float_denorm_mode_16_64 3
		.amdhsa_dx10_clamp 1
		.amdhsa_ieee_mode 1
		.amdhsa_fp16_overflow 0
		.amdhsa_tg_split 0
		.amdhsa_exception_fp_ieee_invalid_op 0
		.amdhsa_exception_fp_denorm_src 0
		.amdhsa_exception_fp_ieee_div_zero 0
		.amdhsa_exception_fp_ieee_overflow 0
		.amdhsa_exception_fp_ieee_underflow 0
		.amdhsa_exception_fp_ieee_inexact 0
		.amdhsa_exception_int_div_zero 0
	.end_amdhsa_kernel
	.section	.text._ZN7rocprim17ROCPRIM_400000_NS6detail17trampoline_kernelINS0_14default_configENS1_27upper_bound_config_selectorIiiEEZNS1_14transform_implILb0ES3_S5_N6thrust23THRUST_200600_302600_NS6detail15normal_iteratorINS8_10device_ptrIiEEEESD_ZNS1_13binary_searchIS3_S5_SD_SD_SD_NS1_21upper_bound_search_opENS9_16wrapped_functionINS0_4lessIvEEbEEEE10hipError_tPvRmT1_T2_T3_mmT4_T5_P12ihipStream_tbEUlRKiE_EESK_SO_SP_mSQ_ST_bEUlT_E_NS1_11comp_targetILNS1_3genE3ELNS1_11target_archE908ELNS1_3gpuE7ELNS1_3repE0EEENS1_30default_config_static_selectorELNS0_4arch9wavefront6targetE1EEEvSN_,"axG",@progbits,_ZN7rocprim17ROCPRIM_400000_NS6detail17trampoline_kernelINS0_14default_configENS1_27upper_bound_config_selectorIiiEEZNS1_14transform_implILb0ES3_S5_N6thrust23THRUST_200600_302600_NS6detail15normal_iteratorINS8_10device_ptrIiEEEESD_ZNS1_13binary_searchIS3_S5_SD_SD_SD_NS1_21upper_bound_search_opENS9_16wrapped_functionINS0_4lessIvEEbEEEE10hipError_tPvRmT1_T2_T3_mmT4_T5_P12ihipStream_tbEUlRKiE_EESK_SO_SP_mSQ_ST_bEUlT_E_NS1_11comp_targetILNS1_3genE3ELNS1_11target_archE908ELNS1_3gpuE7ELNS1_3repE0EEENS1_30default_config_static_selectorELNS0_4arch9wavefront6targetE1EEEvSN_,comdat
.Lfunc_end387:
	.size	_ZN7rocprim17ROCPRIM_400000_NS6detail17trampoline_kernelINS0_14default_configENS1_27upper_bound_config_selectorIiiEEZNS1_14transform_implILb0ES3_S5_N6thrust23THRUST_200600_302600_NS6detail15normal_iteratorINS8_10device_ptrIiEEEESD_ZNS1_13binary_searchIS3_S5_SD_SD_SD_NS1_21upper_bound_search_opENS9_16wrapped_functionINS0_4lessIvEEbEEEE10hipError_tPvRmT1_T2_T3_mmT4_T5_P12ihipStream_tbEUlRKiE_EESK_SO_SP_mSQ_ST_bEUlT_E_NS1_11comp_targetILNS1_3genE3ELNS1_11target_archE908ELNS1_3gpuE7ELNS1_3repE0EEENS1_30default_config_static_selectorELNS0_4arch9wavefront6targetE1EEEvSN_, .Lfunc_end387-_ZN7rocprim17ROCPRIM_400000_NS6detail17trampoline_kernelINS0_14default_configENS1_27upper_bound_config_selectorIiiEEZNS1_14transform_implILb0ES3_S5_N6thrust23THRUST_200600_302600_NS6detail15normal_iteratorINS8_10device_ptrIiEEEESD_ZNS1_13binary_searchIS3_S5_SD_SD_SD_NS1_21upper_bound_search_opENS9_16wrapped_functionINS0_4lessIvEEbEEEE10hipError_tPvRmT1_T2_T3_mmT4_T5_P12ihipStream_tbEUlRKiE_EESK_SO_SP_mSQ_ST_bEUlT_E_NS1_11comp_targetILNS1_3genE3ELNS1_11target_archE908ELNS1_3gpuE7ELNS1_3repE0EEENS1_30default_config_static_selectorELNS0_4arch9wavefront6targetE1EEEvSN_
                                        ; -- End function
	.section	.AMDGPU.csdata,"",@progbits
; Kernel info:
; codeLenInByte = 0
; NumSgprs: 4
; NumVgprs: 0
; NumAgprs: 0
; TotalNumVgprs: 0
; ScratchSize: 0
; MemoryBound: 0
; FloatMode: 240
; IeeeMode: 1
; LDSByteSize: 0 bytes/workgroup (compile time only)
; SGPRBlocks: 0
; VGPRBlocks: 0
; NumSGPRsForWavesPerEU: 4
; NumVGPRsForWavesPerEU: 1
; AccumOffset: 4
; Occupancy: 8
; WaveLimiterHint : 0
; COMPUTE_PGM_RSRC2:SCRATCH_EN: 0
; COMPUTE_PGM_RSRC2:USER_SGPR: 6
; COMPUTE_PGM_RSRC2:TRAP_HANDLER: 0
; COMPUTE_PGM_RSRC2:TGID_X_EN: 1
; COMPUTE_PGM_RSRC2:TGID_Y_EN: 0
; COMPUTE_PGM_RSRC2:TGID_Z_EN: 0
; COMPUTE_PGM_RSRC2:TIDIG_COMP_CNT: 0
; COMPUTE_PGM_RSRC3_GFX90A:ACCUM_OFFSET: 0
; COMPUTE_PGM_RSRC3_GFX90A:TG_SPLIT: 0
	.section	.text._ZN7rocprim17ROCPRIM_400000_NS6detail17trampoline_kernelINS0_14default_configENS1_27upper_bound_config_selectorIiiEEZNS1_14transform_implILb0ES3_S5_N6thrust23THRUST_200600_302600_NS6detail15normal_iteratorINS8_10device_ptrIiEEEESD_ZNS1_13binary_searchIS3_S5_SD_SD_SD_NS1_21upper_bound_search_opENS9_16wrapped_functionINS0_4lessIvEEbEEEE10hipError_tPvRmT1_T2_T3_mmT4_T5_P12ihipStream_tbEUlRKiE_EESK_SO_SP_mSQ_ST_bEUlT_E_NS1_11comp_targetILNS1_3genE2ELNS1_11target_archE906ELNS1_3gpuE6ELNS1_3repE0EEENS1_30default_config_static_selectorELNS0_4arch9wavefront6targetE1EEEvSN_,"axG",@progbits,_ZN7rocprim17ROCPRIM_400000_NS6detail17trampoline_kernelINS0_14default_configENS1_27upper_bound_config_selectorIiiEEZNS1_14transform_implILb0ES3_S5_N6thrust23THRUST_200600_302600_NS6detail15normal_iteratorINS8_10device_ptrIiEEEESD_ZNS1_13binary_searchIS3_S5_SD_SD_SD_NS1_21upper_bound_search_opENS9_16wrapped_functionINS0_4lessIvEEbEEEE10hipError_tPvRmT1_T2_T3_mmT4_T5_P12ihipStream_tbEUlRKiE_EESK_SO_SP_mSQ_ST_bEUlT_E_NS1_11comp_targetILNS1_3genE2ELNS1_11target_archE906ELNS1_3gpuE6ELNS1_3repE0EEENS1_30default_config_static_selectorELNS0_4arch9wavefront6targetE1EEEvSN_,comdat
	.protected	_ZN7rocprim17ROCPRIM_400000_NS6detail17trampoline_kernelINS0_14default_configENS1_27upper_bound_config_selectorIiiEEZNS1_14transform_implILb0ES3_S5_N6thrust23THRUST_200600_302600_NS6detail15normal_iteratorINS8_10device_ptrIiEEEESD_ZNS1_13binary_searchIS3_S5_SD_SD_SD_NS1_21upper_bound_search_opENS9_16wrapped_functionINS0_4lessIvEEbEEEE10hipError_tPvRmT1_T2_T3_mmT4_T5_P12ihipStream_tbEUlRKiE_EESK_SO_SP_mSQ_ST_bEUlT_E_NS1_11comp_targetILNS1_3genE2ELNS1_11target_archE906ELNS1_3gpuE6ELNS1_3repE0EEENS1_30default_config_static_selectorELNS0_4arch9wavefront6targetE1EEEvSN_ ; -- Begin function _ZN7rocprim17ROCPRIM_400000_NS6detail17trampoline_kernelINS0_14default_configENS1_27upper_bound_config_selectorIiiEEZNS1_14transform_implILb0ES3_S5_N6thrust23THRUST_200600_302600_NS6detail15normal_iteratorINS8_10device_ptrIiEEEESD_ZNS1_13binary_searchIS3_S5_SD_SD_SD_NS1_21upper_bound_search_opENS9_16wrapped_functionINS0_4lessIvEEbEEEE10hipError_tPvRmT1_T2_T3_mmT4_T5_P12ihipStream_tbEUlRKiE_EESK_SO_SP_mSQ_ST_bEUlT_E_NS1_11comp_targetILNS1_3genE2ELNS1_11target_archE906ELNS1_3gpuE6ELNS1_3repE0EEENS1_30default_config_static_selectorELNS0_4arch9wavefront6targetE1EEEvSN_
	.globl	_ZN7rocprim17ROCPRIM_400000_NS6detail17trampoline_kernelINS0_14default_configENS1_27upper_bound_config_selectorIiiEEZNS1_14transform_implILb0ES3_S5_N6thrust23THRUST_200600_302600_NS6detail15normal_iteratorINS8_10device_ptrIiEEEESD_ZNS1_13binary_searchIS3_S5_SD_SD_SD_NS1_21upper_bound_search_opENS9_16wrapped_functionINS0_4lessIvEEbEEEE10hipError_tPvRmT1_T2_T3_mmT4_T5_P12ihipStream_tbEUlRKiE_EESK_SO_SP_mSQ_ST_bEUlT_E_NS1_11comp_targetILNS1_3genE2ELNS1_11target_archE906ELNS1_3gpuE6ELNS1_3repE0EEENS1_30default_config_static_selectorELNS0_4arch9wavefront6targetE1EEEvSN_
	.p2align	8
	.type	_ZN7rocprim17ROCPRIM_400000_NS6detail17trampoline_kernelINS0_14default_configENS1_27upper_bound_config_selectorIiiEEZNS1_14transform_implILb0ES3_S5_N6thrust23THRUST_200600_302600_NS6detail15normal_iteratorINS8_10device_ptrIiEEEESD_ZNS1_13binary_searchIS3_S5_SD_SD_SD_NS1_21upper_bound_search_opENS9_16wrapped_functionINS0_4lessIvEEbEEEE10hipError_tPvRmT1_T2_T3_mmT4_T5_P12ihipStream_tbEUlRKiE_EESK_SO_SP_mSQ_ST_bEUlT_E_NS1_11comp_targetILNS1_3genE2ELNS1_11target_archE906ELNS1_3gpuE6ELNS1_3repE0EEENS1_30default_config_static_selectorELNS0_4arch9wavefront6targetE1EEEvSN_,@function
_ZN7rocprim17ROCPRIM_400000_NS6detail17trampoline_kernelINS0_14default_configENS1_27upper_bound_config_selectorIiiEEZNS1_14transform_implILb0ES3_S5_N6thrust23THRUST_200600_302600_NS6detail15normal_iteratorINS8_10device_ptrIiEEEESD_ZNS1_13binary_searchIS3_S5_SD_SD_SD_NS1_21upper_bound_search_opENS9_16wrapped_functionINS0_4lessIvEEbEEEE10hipError_tPvRmT1_T2_T3_mmT4_T5_P12ihipStream_tbEUlRKiE_EESK_SO_SP_mSQ_ST_bEUlT_E_NS1_11comp_targetILNS1_3genE2ELNS1_11target_archE906ELNS1_3gpuE6ELNS1_3repE0EEENS1_30default_config_static_selectorELNS0_4arch9wavefront6targetE1EEEvSN_: ; @_ZN7rocprim17ROCPRIM_400000_NS6detail17trampoline_kernelINS0_14default_configENS1_27upper_bound_config_selectorIiiEEZNS1_14transform_implILb0ES3_S5_N6thrust23THRUST_200600_302600_NS6detail15normal_iteratorINS8_10device_ptrIiEEEESD_ZNS1_13binary_searchIS3_S5_SD_SD_SD_NS1_21upper_bound_search_opENS9_16wrapped_functionINS0_4lessIvEEbEEEE10hipError_tPvRmT1_T2_T3_mmT4_T5_P12ihipStream_tbEUlRKiE_EESK_SO_SP_mSQ_ST_bEUlT_E_NS1_11comp_targetILNS1_3genE2ELNS1_11target_archE906ELNS1_3gpuE6ELNS1_3repE0EEENS1_30default_config_static_selectorELNS0_4arch9wavefront6targetE1EEEvSN_
; %bb.0:
	.section	.rodata,"a",@progbits
	.p2align	6, 0x0
	.amdhsa_kernel _ZN7rocprim17ROCPRIM_400000_NS6detail17trampoline_kernelINS0_14default_configENS1_27upper_bound_config_selectorIiiEEZNS1_14transform_implILb0ES3_S5_N6thrust23THRUST_200600_302600_NS6detail15normal_iteratorINS8_10device_ptrIiEEEESD_ZNS1_13binary_searchIS3_S5_SD_SD_SD_NS1_21upper_bound_search_opENS9_16wrapped_functionINS0_4lessIvEEbEEEE10hipError_tPvRmT1_T2_T3_mmT4_T5_P12ihipStream_tbEUlRKiE_EESK_SO_SP_mSQ_ST_bEUlT_E_NS1_11comp_targetILNS1_3genE2ELNS1_11target_archE906ELNS1_3gpuE6ELNS1_3repE0EEENS1_30default_config_static_selectorELNS0_4arch9wavefront6targetE1EEEvSN_
		.amdhsa_group_segment_fixed_size 0
		.amdhsa_private_segment_fixed_size 0
		.amdhsa_kernarg_size 56
		.amdhsa_user_sgpr_count 6
		.amdhsa_user_sgpr_private_segment_buffer 1
		.amdhsa_user_sgpr_dispatch_ptr 0
		.amdhsa_user_sgpr_queue_ptr 0
		.amdhsa_user_sgpr_kernarg_segment_ptr 1
		.amdhsa_user_sgpr_dispatch_id 0
		.amdhsa_user_sgpr_flat_scratch_init 0
		.amdhsa_user_sgpr_kernarg_preload_length 0
		.amdhsa_user_sgpr_kernarg_preload_offset 0
		.amdhsa_user_sgpr_private_segment_size 0
		.amdhsa_uses_dynamic_stack 0
		.amdhsa_system_sgpr_private_segment_wavefront_offset 0
		.amdhsa_system_sgpr_workgroup_id_x 1
		.amdhsa_system_sgpr_workgroup_id_y 0
		.amdhsa_system_sgpr_workgroup_id_z 0
		.amdhsa_system_sgpr_workgroup_info 0
		.amdhsa_system_vgpr_workitem_id 0
		.amdhsa_next_free_vgpr 1
		.amdhsa_next_free_sgpr 0
		.amdhsa_accum_offset 4
		.amdhsa_reserve_vcc 0
		.amdhsa_reserve_flat_scratch 0
		.amdhsa_float_round_mode_32 0
		.amdhsa_float_round_mode_16_64 0
		.amdhsa_float_denorm_mode_32 3
		.amdhsa_float_denorm_mode_16_64 3
		.amdhsa_dx10_clamp 1
		.amdhsa_ieee_mode 1
		.amdhsa_fp16_overflow 0
		.amdhsa_tg_split 0
		.amdhsa_exception_fp_ieee_invalid_op 0
		.amdhsa_exception_fp_denorm_src 0
		.amdhsa_exception_fp_ieee_div_zero 0
		.amdhsa_exception_fp_ieee_overflow 0
		.amdhsa_exception_fp_ieee_underflow 0
		.amdhsa_exception_fp_ieee_inexact 0
		.amdhsa_exception_int_div_zero 0
	.end_amdhsa_kernel
	.section	.text._ZN7rocprim17ROCPRIM_400000_NS6detail17trampoline_kernelINS0_14default_configENS1_27upper_bound_config_selectorIiiEEZNS1_14transform_implILb0ES3_S5_N6thrust23THRUST_200600_302600_NS6detail15normal_iteratorINS8_10device_ptrIiEEEESD_ZNS1_13binary_searchIS3_S5_SD_SD_SD_NS1_21upper_bound_search_opENS9_16wrapped_functionINS0_4lessIvEEbEEEE10hipError_tPvRmT1_T2_T3_mmT4_T5_P12ihipStream_tbEUlRKiE_EESK_SO_SP_mSQ_ST_bEUlT_E_NS1_11comp_targetILNS1_3genE2ELNS1_11target_archE906ELNS1_3gpuE6ELNS1_3repE0EEENS1_30default_config_static_selectorELNS0_4arch9wavefront6targetE1EEEvSN_,"axG",@progbits,_ZN7rocprim17ROCPRIM_400000_NS6detail17trampoline_kernelINS0_14default_configENS1_27upper_bound_config_selectorIiiEEZNS1_14transform_implILb0ES3_S5_N6thrust23THRUST_200600_302600_NS6detail15normal_iteratorINS8_10device_ptrIiEEEESD_ZNS1_13binary_searchIS3_S5_SD_SD_SD_NS1_21upper_bound_search_opENS9_16wrapped_functionINS0_4lessIvEEbEEEE10hipError_tPvRmT1_T2_T3_mmT4_T5_P12ihipStream_tbEUlRKiE_EESK_SO_SP_mSQ_ST_bEUlT_E_NS1_11comp_targetILNS1_3genE2ELNS1_11target_archE906ELNS1_3gpuE6ELNS1_3repE0EEENS1_30default_config_static_selectorELNS0_4arch9wavefront6targetE1EEEvSN_,comdat
.Lfunc_end388:
	.size	_ZN7rocprim17ROCPRIM_400000_NS6detail17trampoline_kernelINS0_14default_configENS1_27upper_bound_config_selectorIiiEEZNS1_14transform_implILb0ES3_S5_N6thrust23THRUST_200600_302600_NS6detail15normal_iteratorINS8_10device_ptrIiEEEESD_ZNS1_13binary_searchIS3_S5_SD_SD_SD_NS1_21upper_bound_search_opENS9_16wrapped_functionINS0_4lessIvEEbEEEE10hipError_tPvRmT1_T2_T3_mmT4_T5_P12ihipStream_tbEUlRKiE_EESK_SO_SP_mSQ_ST_bEUlT_E_NS1_11comp_targetILNS1_3genE2ELNS1_11target_archE906ELNS1_3gpuE6ELNS1_3repE0EEENS1_30default_config_static_selectorELNS0_4arch9wavefront6targetE1EEEvSN_, .Lfunc_end388-_ZN7rocprim17ROCPRIM_400000_NS6detail17trampoline_kernelINS0_14default_configENS1_27upper_bound_config_selectorIiiEEZNS1_14transform_implILb0ES3_S5_N6thrust23THRUST_200600_302600_NS6detail15normal_iteratorINS8_10device_ptrIiEEEESD_ZNS1_13binary_searchIS3_S5_SD_SD_SD_NS1_21upper_bound_search_opENS9_16wrapped_functionINS0_4lessIvEEbEEEE10hipError_tPvRmT1_T2_T3_mmT4_T5_P12ihipStream_tbEUlRKiE_EESK_SO_SP_mSQ_ST_bEUlT_E_NS1_11comp_targetILNS1_3genE2ELNS1_11target_archE906ELNS1_3gpuE6ELNS1_3repE0EEENS1_30default_config_static_selectorELNS0_4arch9wavefront6targetE1EEEvSN_
                                        ; -- End function
	.section	.AMDGPU.csdata,"",@progbits
; Kernel info:
; codeLenInByte = 0
; NumSgprs: 4
; NumVgprs: 0
; NumAgprs: 0
; TotalNumVgprs: 0
; ScratchSize: 0
; MemoryBound: 0
; FloatMode: 240
; IeeeMode: 1
; LDSByteSize: 0 bytes/workgroup (compile time only)
; SGPRBlocks: 0
; VGPRBlocks: 0
; NumSGPRsForWavesPerEU: 4
; NumVGPRsForWavesPerEU: 1
; AccumOffset: 4
; Occupancy: 8
; WaveLimiterHint : 0
; COMPUTE_PGM_RSRC2:SCRATCH_EN: 0
; COMPUTE_PGM_RSRC2:USER_SGPR: 6
; COMPUTE_PGM_RSRC2:TRAP_HANDLER: 0
; COMPUTE_PGM_RSRC2:TGID_X_EN: 1
; COMPUTE_PGM_RSRC2:TGID_Y_EN: 0
; COMPUTE_PGM_RSRC2:TGID_Z_EN: 0
; COMPUTE_PGM_RSRC2:TIDIG_COMP_CNT: 0
; COMPUTE_PGM_RSRC3_GFX90A:ACCUM_OFFSET: 0
; COMPUTE_PGM_RSRC3_GFX90A:TG_SPLIT: 0
	.section	.text._ZN7rocprim17ROCPRIM_400000_NS6detail17trampoline_kernelINS0_14default_configENS1_27upper_bound_config_selectorIiiEEZNS1_14transform_implILb0ES3_S5_N6thrust23THRUST_200600_302600_NS6detail15normal_iteratorINS8_10device_ptrIiEEEESD_ZNS1_13binary_searchIS3_S5_SD_SD_SD_NS1_21upper_bound_search_opENS9_16wrapped_functionINS0_4lessIvEEbEEEE10hipError_tPvRmT1_T2_T3_mmT4_T5_P12ihipStream_tbEUlRKiE_EESK_SO_SP_mSQ_ST_bEUlT_E_NS1_11comp_targetILNS1_3genE10ELNS1_11target_archE1201ELNS1_3gpuE5ELNS1_3repE0EEENS1_30default_config_static_selectorELNS0_4arch9wavefront6targetE1EEEvSN_,"axG",@progbits,_ZN7rocprim17ROCPRIM_400000_NS6detail17trampoline_kernelINS0_14default_configENS1_27upper_bound_config_selectorIiiEEZNS1_14transform_implILb0ES3_S5_N6thrust23THRUST_200600_302600_NS6detail15normal_iteratorINS8_10device_ptrIiEEEESD_ZNS1_13binary_searchIS3_S5_SD_SD_SD_NS1_21upper_bound_search_opENS9_16wrapped_functionINS0_4lessIvEEbEEEE10hipError_tPvRmT1_T2_T3_mmT4_T5_P12ihipStream_tbEUlRKiE_EESK_SO_SP_mSQ_ST_bEUlT_E_NS1_11comp_targetILNS1_3genE10ELNS1_11target_archE1201ELNS1_3gpuE5ELNS1_3repE0EEENS1_30default_config_static_selectorELNS0_4arch9wavefront6targetE1EEEvSN_,comdat
	.protected	_ZN7rocprim17ROCPRIM_400000_NS6detail17trampoline_kernelINS0_14default_configENS1_27upper_bound_config_selectorIiiEEZNS1_14transform_implILb0ES3_S5_N6thrust23THRUST_200600_302600_NS6detail15normal_iteratorINS8_10device_ptrIiEEEESD_ZNS1_13binary_searchIS3_S5_SD_SD_SD_NS1_21upper_bound_search_opENS9_16wrapped_functionINS0_4lessIvEEbEEEE10hipError_tPvRmT1_T2_T3_mmT4_T5_P12ihipStream_tbEUlRKiE_EESK_SO_SP_mSQ_ST_bEUlT_E_NS1_11comp_targetILNS1_3genE10ELNS1_11target_archE1201ELNS1_3gpuE5ELNS1_3repE0EEENS1_30default_config_static_selectorELNS0_4arch9wavefront6targetE1EEEvSN_ ; -- Begin function _ZN7rocprim17ROCPRIM_400000_NS6detail17trampoline_kernelINS0_14default_configENS1_27upper_bound_config_selectorIiiEEZNS1_14transform_implILb0ES3_S5_N6thrust23THRUST_200600_302600_NS6detail15normal_iteratorINS8_10device_ptrIiEEEESD_ZNS1_13binary_searchIS3_S5_SD_SD_SD_NS1_21upper_bound_search_opENS9_16wrapped_functionINS0_4lessIvEEbEEEE10hipError_tPvRmT1_T2_T3_mmT4_T5_P12ihipStream_tbEUlRKiE_EESK_SO_SP_mSQ_ST_bEUlT_E_NS1_11comp_targetILNS1_3genE10ELNS1_11target_archE1201ELNS1_3gpuE5ELNS1_3repE0EEENS1_30default_config_static_selectorELNS0_4arch9wavefront6targetE1EEEvSN_
	.globl	_ZN7rocprim17ROCPRIM_400000_NS6detail17trampoline_kernelINS0_14default_configENS1_27upper_bound_config_selectorIiiEEZNS1_14transform_implILb0ES3_S5_N6thrust23THRUST_200600_302600_NS6detail15normal_iteratorINS8_10device_ptrIiEEEESD_ZNS1_13binary_searchIS3_S5_SD_SD_SD_NS1_21upper_bound_search_opENS9_16wrapped_functionINS0_4lessIvEEbEEEE10hipError_tPvRmT1_T2_T3_mmT4_T5_P12ihipStream_tbEUlRKiE_EESK_SO_SP_mSQ_ST_bEUlT_E_NS1_11comp_targetILNS1_3genE10ELNS1_11target_archE1201ELNS1_3gpuE5ELNS1_3repE0EEENS1_30default_config_static_selectorELNS0_4arch9wavefront6targetE1EEEvSN_
	.p2align	8
	.type	_ZN7rocprim17ROCPRIM_400000_NS6detail17trampoline_kernelINS0_14default_configENS1_27upper_bound_config_selectorIiiEEZNS1_14transform_implILb0ES3_S5_N6thrust23THRUST_200600_302600_NS6detail15normal_iteratorINS8_10device_ptrIiEEEESD_ZNS1_13binary_searchIS3_S5_SD_SD_SD_NS1_21upper_bound_search_opENS9_16wrapped_functionINS0_4lessIvEEbEEEE10hipError_tPvRmT1_T2_T3_mmT4_T5_P12ihipStream_tbEUlRKiE_EESK_SO_SP_mSQ_ST_bEUlT_E_NS1_11comp_targetILNS1_3genE10ELNS1_11target_archE1201ELNS1_3gpuE5ELNS1_3repE0EEENS1_30default_config_static_selectorELNS0_4arch9wavefront6targetE1EEEvSN_,@function
_ZN7rocprim17ROCPRIM_400000_NS6detail17trampoline_kernelINS0_14default_configENS1_27upper_bound_config_selectorIiiEEZNS1_14transform_implILb0ES3_S5_N6thrust23THRUST_200600_302600_NS6detail15normal_iteratorINS8_10device_ptrIiEEEESD_ZNS1_13binary_searchIS3_S5_SD_SD_SD_NS1_21upper_bound_search_opENS9_16wrapped_functionINS0_4lessIvEEbEEEE10hipError_tPvRmT1_T2_T3_mmT4_T5_P12ihipStream_tbEUlRKiE_EESK_SO_SP_mSQ_ST_bEUlT_E_NS1_11comp_targetILNS1_3genE10ELNS1_11target_archE1201ELNS1_3gpuE5ELNS1_3repE0EEENS1_30default_config_static_selectorELNS0_4arch9wavefront6targetE1EEEvSN_: ; @_ZN7rocprim17ROCPRIM_400000_NS6detail17trampoline_kernelINS0_14default_configENS1_27upper_bound_config_selectorIiiEEZNS1_14transform_implILb0ES3_S5_N6thrust23THRUST_200600_302600_NS6detail15normal_iteratorINS8_10device_ptrIiEEEESD_ZNS1_13binary_searchIS3_S5_SD_SD_SD_NS1_21upper_bound_search_opENS9_16wrapped_functionINS0_4lessIvEEbEEEE10hipError_tPvRmT1_T2_T3_mmT4_T5_P12ihipStream_tbEUlRKiE_EESK_SO_SP_mSQ_ST_bEUlT_E_NS1_11comp_targetILNS1_3genE10ELNS1_11target_archE1201ELNS1_3gpuE5ELNS1_3repE0EEENS1_30default_config_static_selectorELNS0_4arch9wavefront6targetE1EEEvSN_
; %bb.0:
	.section	.rodata,"a",@progbits
	.p2align	6, 0x0
	.amdhsa_kernel _ZN7rocprim17ROCPRIM_400000_NS6detail17trampoline_kernelINS0_14default_configENS1_27upper_bound_config_selectorIiiEEZNS1_14transform_implILb0ES3_S5_N6thrust23THRUST_200600_302600_NS6detail15normal_iteratorINS8_10device_ptrIiEEEESD_ZNS1_13binary_searchIS3_S5_SD_SD_SD_NS1_21upper_bound_search_opENS9_16wrapped_functionINS0_4lessIvEEbEEEE10hipError_tPvRmT1_T2_T3_mmT4_T5_P12ihipStream_tbEUlRKiE_EESK_SO_SP_mSQ_ST_bEUlT_E_NS1_11comp_targetILNS1_3genE10ELNS1_11target_archE1201ELNS1_3gpuE5ELNS1_3repE0EEENS1_30default_config_static_selectorELNS0_4arch9wavefront6targetE1EEEvSN_
		.amdhsa_group_segment_fixed_size 0
		.amdhsa_private_segment_fixed_size 0
		.amdhsa_kernarg_size 56
		.amdhsa_user_sgpr_count 6
		.amdhsa_user_sgpr_private_segment_buffer 1
		.amdhsa_user_sgpr_dispatch_ptr 0
		.amdhsa_user_sgpr_queue_ptr 0
		.amdhsa_user_sgpr_kernarg_segment_ptr 1
		.amdhsa_user_sgpr_dispatch_id 0
		.amdhsa_user_sgpr_flat_scratch_init 0
		.amdhsa_user_sgpr_kernarg_preload_length 0
		.amdhsa_user_sgpr_kernarg_preload_offset 0
		.amdhsa_user_sgpr_private_segment_size 0
		.amdhsa_uses_dynamic_stack 0
		.amdhsa_system_sgpr_private_segment_wavefront_offset 0
		.amdhsa_system_sgpr_workgroup_id_x 1
		.amdhsa_system_sgpr_workgroup_id_y 0
		.amdhsa_system_sgpr_workgroup_id_z 0
		.amdhsa_system_sgpr_workgroup_info 0
		.amdhsa_system_vgpr_workitem_id 0
		.amdhsa_next_free_vgpr 1
		.amdhsa_next_free_sgpr 0
		.amdhsa_accum_offset 4
		.amdhsa_reserve_vcc 0
		.amdhsa_reserve_flat_scratch 0
		.amdhsa_float_round_mode_32 0
		.amdhsa_float_round_mode_16_64 0
		.amdhsa_float_denorm_mode_32 3
		.amdhsa_float_denorm_mode_16_64 3
		.amdhsa_dx10_clamp 1
		.amdhsa_ieee_mode 1
		.amdhsa_fp16_overflow 0
		.amdhsa_tg_split 0
		.amdhsa_exception_fp_ieee_invalid_op 0
		.amdhsa_exception_fp_denorm_src 0
		.amdhsa_exception_fp_ieee_div_zero 0
		.amdhsa_exception_fp_ieee_overflow 0
		.amdhsa_exception_fp_ieee_underflow 0
		.amdhsa_exception_fp_ieee_inexact 0
		.amdhsa_exception_int_div_zero 0
	.end_amdhsa_kernel
	.section	.text._ZN7rocprim17ROCPRIM_400000_NS6detail17trampoline_kernelINS0_14default_configENS1_27upper_bound_config_selectorIiiEEZNS1_14transform_implILb0ES3_S5_N6thrust23THRUST_200600_302600_NS6detail15normal_iteratorINS8_10device_ptrIiEEEESD_ZNS1_13binary_searchIS3_S5_SD_SD_SD_NS1_21upper_bound_search_opENS9_16wrapped_functionINS0_4lessIvEEbEEEE10hipError_tPvRmT1_T2_T3_mmT4_T5_P12ihipStream_tbEUlRKiE_EESK_SO_SP_mSQ_ST_bEUlT_E_NS1_11comp_targetILNS1_3genE10ELNS1_11target_archE1201ELNS1_3gpuE5ELNS1_3repE0EEENS1_30default_config_static_selectorELNS0_4arch9wavefront6targetE1EEEvSN_,"axG",@progbits,_ZN7rocprim17ROCPRIM_400000_NS6detail17trampoline_kernelINS0_14default_configENS1_27upper_bound_config_selectorIiiEEZNS1_14transform_implILb0ES3_S5_N6thrust23THRUST_200600_302600_NS6detail15normal_iteratorINS8_10device_ptrIiEEEESD_ZNS1_13binary_searchIS3_S5_SD_SD_SD_NS1_21upper_bound_search_opENS9_16wrapped_functionINS0_4lessIvEEbEEEE10hipError_tPvRmT1_T2_T3_mmT4_T5_P12ihipStream_tbEUlRKiE_EESK_SO_SP_mSQ_ST_bEUlT_E_NS1_11comp_targetILNS1_3genE10ELNS1_11target_archE1201ELNS1_3gpuE5ELNS1_3repE0EEENS1_30default_config_static_selectorELNS0_4arch9wavefront6targetE1EEEvSN_,comdat
.Lfunc_end389:
	.size	_ZN7rocprim17ROCPRIM_400000_NS6detail17trampoline_kernelINS0_14default_configENS1_27upper_bound_config_selectorIiiEEZNS1_14transform_implILb0ES3_S5_N6thrust23THRUST_200600_302600_NS6detail15normal_iteratorINS8_10device_ptrIiEEEESD_ZNS1_13binary_searchIS3_S5_SD_SD_SD_NS1_21upper_bound_search_opENS9_16wrapped_functionINS0_4lessIvEEbEEEE10hipError_tPvRmT1_T2_T3_mmT4_T5_P12ihipStream_tbEUlRKiE_EESK_SO_SP_mSQ_ST_bEUlT_E_NS1_11comp_targetILNS1_3genE10ELNS1_11target_archE1201ELNS1_3gpuE5ELNS1_3repE0EEENS1_30default_config_static_selectorELNS0_4arch9wavefront6targetE1EEEvSN_, .Lfunc_end389-_ZN7rocprim17ROCPRIM_400000_NS6detail17trampoline_kernelINS0_14default_configENS1_27upper_bound_config_selectorIiiEEZNS1_14transform_implILb0ES3_S5_N6thrust23THRUST_200600_302600_NS6detail15normal_iteratorINS8_10device_ptrIiEEEESD_ZNS1_13binary_searchIS3_S5_SD_SD_SD_NS1_21upper_bound_search_opENS9_16wrapped_functionINS0_4lessIvEEbEEEE10hipError_tPvRmT1_T2_T3_mmT4_T5_P12ihipStream_tbEUlRKiE_EESK_SO_SP_mSQ_ST_bEUlT_E_NS1_11comp_targetILNS1_3genE10ELNS1_11target_archE1201ELNS1_3gpuE5ELNS1_3repE0EEENS1_30default_config_static_selectorELNS0_4arch9wavefront6targetE1EEEvSN_
                                        ; -- End function
	.section	.AMDGPU.csdata,"",@progbits
; Kernel info:
; codeLenInByte = 0
; NumSgprs: 4
; NumVgprs: 0
; NumAgprs: 0
; TotalNumVgprs: 0
; ScratchSize: 0
; MemoryBound: 0
; FloatMode: 240
; IeeeMode: 1
; LDSByteSize: 0 bytes/workgroup (compile time only)
; SGPRBlocks: 0
; VGPRBlocks: 0
; NumSGPRsForWavesPerEU: 4
; NumVGPRsForWavesPerEU: 1
; AccumOffset: 4
; Occupancy: 8
; WaveLimiterHint : 0
; COMPUTE_PGM_RSRC2:SCRATCH_EN: 0
; COMPUTE_PGM_RSRC2:USER_SGPR: 6
; COMPUTE_PGM_RSRC2:TRAP_HANDLER: 0
; COMPUTE_PGM_RSRC2:TGID_X_EN: 1
; COMPUTE_PGM_RSRC2:TGID_Y_EN: 0
; COMPUTE_PGM_RSRC2:TGID_Z_EN: 0
; COMPUTE_PGM_RSRC2:TIDIG_COMP_CNT: 0
; COMPUTE_PGM_RSRC3_GFX90A:ACCUM_OFFSET: 0
; COMPUTE_PGM_RSRC3_GFX90A:TG_SPLIT: 0
	.section	.text._ZN7rocprim17ROCPRIM_400000_NS6detail17trampoline_kernelINS0_14default_configENS1_27upper_bound_config_selectorIiiEEZNS1_14transform_implILb0ES3_S5_N6thrust23THRUST_200600_302600_NS6detail15normal_iteratorINS8_10device_ptrIiEEEESD_ZNS1_13binary_searchIS3_S5_SD_SD_SD_NS1_21upper_bound_search_opENS9_16wrapped_functionINS0_4lessIvEEbEEEE10hipError_tPvRmT1_T2_T3_mmT4_T5_P12ihipStream_tbEUlRKiE_EESK_SO_SP_mSQ_ST_bEUlT_E_NS1_11comp_targetILNS1_3genE10ELNS1_11target_archE1200ELNS1_3gpuE4ELNS1_3repE0EEENS1_30default_config_static_selectorELNS0_4arch9wavefront6targetE1EEEvSN_,"axG",@progbits,_ZN7rocprim17ROCPRIM_400000_NS6detail17trampoline_kernelINS0_14default_configENS1_27upper_bound_config_selectorIiiEEZNS1_14transform_implILb0ES3_S5_N6thrust23THRUST_200600_302600_NS6detail15normal_iteratorINS8_10device_ptrIiEEEESD_ZNS1_13binary_searchIS3_S5_SD_SD_SD_NS1_21upper_bound_search_opENS9_16wrapped_functionINS0_4lessIvEEbEEEE10hipError_tPvRmT1_T2_T3_mmT4_T5_P12ihipStream_tbEUlRKiE_EESK_SO_SP_mSQ_ST_bEUlT_E_NS1_11comp_targetILNS1_3genE10ELNS1_11target_archE1200ELNS1_3gpuE4ELNS1_3repE0EEENS1_30default_config_static_selectorELNS0_4arch9wavefront6targetE1EEEvSN_,comdat
	.protected	_ZN7rocprim17ROCPRIM_400000_NS6detail17trampoline_kernelINS0_14default_configENS1_27upper_bound_config_selectorIiiEEZNS1_14transform_implILb0ES3_S5_N6thrust23THRUST_200600_302600_NS6detail15normal_iteratorINS8_10device_ptrIiEEEESD_ZNS1_13binary_searchIS3_S5_SD_SD_SD_NS1_21upper_bound_search_opENS9_16wrapped_functionINS0_4lessIvEEbEEEE10hipError_tPvRmT1_T2_T3_mmT4_T5_P12ihipStream_tbEUlRKiE_EESK_SO_SP_mSQ_ST_bEUlT_E_NS1_11comp_targetILNS1_3genE10ELNS1_11target_archE1200ELNS1_3gpuE4ELNS1_3repE0EEENS1_30default_config_static_selectorELNS0_4arch9wavefront6targetE1EEEvSN_ ; -- Begin function _ZN7rocprim17ROCPRIM_400000_NS6detail17trampoline_kernelINS0_14default_configENS1_27upper_bound_config_selectorIiiEEZNS1_14transform_implILb0ES3_S5_N6thrust23THRUST_200600_302600_NS6detail15normal_iteratorINS8_10device_ptrIiEEEESD_ZNS1_13binary_searchIS3_S5_SD_SD_SD_NS1_21upper_bound_search_opENS9_16wrapped_functionINS0_4lessIvEEbEEEE10hipError_tPvRmT1_T2_T3_mmT4_T5_P12ihipStream_tbEUlRKiE_EESK_SO_SP_mSQ_ST_bEUlT_E_NS1_11comp_targetILNS1_3genE10ELNS1_11target_archE1200ELNS1_3gpuE4ELNS1_3repE0EEENS1_30default_config_static_selectorELNS0_4arch9wavefront6targetE1EEEvSN_
	.globl	_ZN7rocprim17ROCPRIM_400000_NS6detail17trampoline_kernelINS0_14default_configENS1_27upper_bound_config_selectorIiiEEZNS1_14transform_implILb0ES3_S5_N6thrust23THRUST_200600_302600_NS6detail15normal_iteratorINS8_10device_ptrIiEEEESD_ZNS1_13binary_searchIS3_S5_SD_SD_SD_NS1_21upper_bound_search_opENS9_16wrapped_functionINS0_4lessIvEEbEEEE10hipError_tPvRmT1_T2_T3_mmT4_T5_P12ihipStream_tbEUlRKiE_EESK_SO_SP_mSQ_ST_bEUlT_E_NS1_11comp_targetILNS1_3genE10ELNS1_11target_archE1200ELNS1_3gpuE4ELNS1_3repE0EEENS1_30default_config_static_selectorELNS0_4arch9wavefront6targetE1EEEvSN_
	.p2align	8
	.type	_ZN7rocprim17ROCPRIM_400000_NS6detail17trampoline_kernelINS0_14default_configENS1_27upper_bound_config_selectorIiiEEZNS1_14transform_implILb0ES3_S5_N6thrust23THRUST_200600_302600_NS6detail15normal_iteratorINS8_10device_ptrIiEEEESD_ZNS1_13binary_searchIS3_S5_SD_SD_SD_NS1_21upper_bound_search_opENS9_16wrapped_functionINS0_4lessIvEEbEEEE10hipError_tPvRmT1_T2_T3_mmT4_T5_P12ihipStream_tbEUlRKiE_EESK_SO_SP_mSQ_ST_bEUlT_E_NS1_11comp_targetILNS1_3genE10ELNS1_11target_archE1200ELNS1_3gpuE4ELNS1_3repE0EEENS1_30default_config_static_selectorELNS0_4arch9wavefront6targetE1EEEvSN_,@function
_ZN7rocprim17ROCPRIM_400000_NS6detail17trampoline_kernelINS0_14default_configENS1_27upper_bound_config_selectorIiiEEZNS1_14transform_implILb0ES3_S5_N6thrust23THRUST_200600_302600_NS6detail15normal_iteratorINS8_10device_ptrIiEEEESD_ZNS1_13binary_searchIS3_S5_SD_SD_SD_NS1_21upper_bound_search_opENS9_16wrapped_functionINS0_4lessIvEEbEEEE10hipError_tPvRmT1_T2_T3_mmT4_T5_P12ihipStream_tbEUlRKiE_EESK_SO_SP_mSQ_ST_bEUlT_E_NS1_11comp_targetILNS1_3genE10ELNS1_11target_archE1200ELNS1_3gpuE4ELNS1_3repE0EEENS1_30default_config_static_selectorELNS0_4arch9wavefront6targetE1EEEvSN_: ; @_ZN7rocprim17ROCPRIM_400000_NS6detail17trampoline_kernelINS0_14default_configENS1_27upper_bound_config_selectorIiiEEZNS1_14transform_implILb0ES3_S5_N6thrust23THRUST_200600_302600_NS6detail15normal_iteratorINS8_10device_ptrIiEEEESD_ZNS1_13binary_searchIS3_S5_SD_SD_SD_NS1_21upper_bound_search_opENS9_16wrapped_functionINS0_4lessIvEEbEEEE10hipError_tPvRmT1_T2_T3_mmT4_T5_P12ihipStream_tbEUlRKiE_EESK_SO_SP_mSQ_ST_bEUlT_E_NS1_11comp_targetILNS1_3genE10ELNS1_11target_archE1200ELNS1_3gpuE4ELNS1_3repE0EEENS1_30default_config_static_selectorELNS0_4arch9wavefront6targetE1EEEvSN_
; %bb.0:
	.section	.rodata,"a",@progbits
	.p2align	6, 0x0
	.amdhsa_kernel _ZN7rocprim17ROCPRIM_400000_NS6detail17trampoline_kernelINS0_14default_configENS1_27upper_bound_config_selectorIiiEEZNS1_14transform_implILb0ES3_S5_N6thrust23THRUST_200600_302600_NS6detail15normal_iteratorINS8_10device_ptrIiEEEESD_ZNS1_13binary_searchIS3_S5_SD_SD_SD_NS1_21upper_bound_search_opENS9_16wrapped_functionINS0_4lessIvEEbEEEE10hipError_tPvRmT1_T2_T3_mmT4_T5_P12ihipStream_tbEUlRKiE_EESK_SO_SP_mSQ_ST_bEUlT_E_NS1_11comp_targetILNS1_3genE10ELNS1_11target_archE1200ELNS1_3gpuE4ELNS1_3repE0EEENS1_30default_config_static_selectorELNS0_4arch9wavefront6targetE1EEEvSN_
		.amdhsa_group_segment_fixed_size 0
		.amdhsa_private_segment_fixed_size 0
		.amdhsa_kernarg_size 56
		.amdhsa_user_sgpr_count 6
		.amdhsa_user_sgpr_private_segment_buffer 1
		.amdhsa_user_sgpr_dispatch_ptr 0
		.amdhsa_user_sgpr_queue_ptr 0
		.amdhsa_user_sgpr_kernarg_segment_ptr 1
		.amdhsa_user_sgpr_dispatch_id 0
		.amdhsa_user_sgpr_flat_scratch_init 0
		.amdhsa_user_sgpr_kernarg_preload_length 0
		.amdhsa_user_sgpr_kernarg_preload_offset 0
		.amdhsa_user_sgpr_private_segment_size 0
		.amdhsa_uses_dynamic_stack 0
		.amdhsa_system_sgpr_private_segment_wavefront_offset 0
		.amdhsa_system_sgpr_workgroup_id_x 1
		.amdhsa_system_sgpr_workgroup_id_y 0
		.amdhsa_system_sgpr_workgroup_id_z 0
		.amdhsa_system_sgpr_workgroup_info 0
		.amdhsa_system_vgpr_workitem_id 0
		.amdhsa_next_free_vgpr 1
		.amdhsa_next_free_sgpr 0
		.amdhsa_accum_offset 4
		.amdhsa_reserve_vcc 0
		.amdhsa_reserve_flat_scratch 0
		.amdhsa_float_round_mode_32 0
		.amdhsa_float_round_mode_16_64 0
		.amdhsa_float_denorm_mode_32 3
		.amdhsa_float_denorm_mode_16_64 3
		.amdhsa_dx10_clamp 1
		.amdhsa_ieee_mode 1
		.amdhsa_fp16_overflow 0
		.amdhsa_tg_split 0
		.amdhsa_exception_fp_ieee_invalid_op 0
		.amdhsa_exception_fp_denorm_src 0
		.amdhsa_exception_fp_ieee_div_zero 0
		.amdhsa_exception_fp_ieee_overflow 0
		.amdhsa_exception_fp_ieee_underflow 0
		.amdhsa_exception_fp_ieee_inexact 0
		.amdhsa_exception_int_div_zero 0
	.end_amdhsa_kernel
	.section	.text._ZN7rocprim17ROCPRIM_400000_NS6detail17trampoline_kernelINS0_14default_configENS1_27upper_bound_config_selectorIiiEEZNS1_14transform_implILb0ES3_S5_N6thrust23THRUST_200600_302600_NS6detail15normal_iteratorINS8_10device_ptrIiEEEESD_ZNS1_13binary_searchIS3_S5_SD_SD_SD_NS1_21upper_bound_search_opENS9_16wrapped_functionINS0_4lessIvEEbEEEE10hipError_tPvRmT1_T2_T3_mmT4_T5_P12ihipStream_tbEUlRKiE_EESK_SO_SP_mSQ_ST_bEUlT_E_NS1_11comp_targetILNS1_3genE10ELNS1_11target_archE1200ELNS1_3gpuE4ELNS1_3repE0EEENS1_30default_config_static_selectorELNS0_4arch9wavefront6targetE1EEEvSN_,"axG",@progbits,_ZN7rocprim17ROCPRIM_400000_NS6detail17trampoline_kernelINS0_14default_configENS1_27upper_bound_config_selectorIiiEEZNS1_14transform_implILb0ES3_S5_N6thrust23THRUST_200600_302600_NS6detail15normal_iteratorINS8_10device_ptrIiEEEESD_ZNS1_13binary_searchIS3_S5_SD_SD_SD_NS1_21upper_bound_search_opENS9_16wrapped_functionINS0_4lessIvEEbEEEE10hipError_tPvRmT1_T2_T3_mmT4_T5_P12ihipStream_tbEUlRKiE_EESK_SO_SP_mSQ_ST_bEUlT_E_NS1_11comp_targetILNS1_3genE10ELNS1_11target_archE1200ELNS1_3gpuE4ELNS1_3repE0EEENS1_30default_config_static_selectorELNS0_4arch9wavefront6targetE1EEEvSN_,comdat
.Lfunc_end390:
	.size	_ZN7rocprim17ROCPRIM_400000_NS6detail17trampoline_kernelINS0_14default_configENS1_27upper_bound_config_selectorIiiEEZNS1_14transform_implILb0ES3_S5_N6thrust23THRUST_200600_302600_NS6detail15normal_iteratorINS8_10device_ptrIiEEEESD_ZNS1_13binary_searchIS3_S5_SD_SD_SD_NS1_21upper_bound_search_opENS9_16wrapped_functionINS0_4lessIvEEbEEEE10hipError_tPvRmT1_T2_T3_mmT4_T5_P12ihipStream_tbEUlRKiE_EESK_SO_SP_mSQ_ST_bEUlT_E_NS1_11comp_targetILNS1_3genE10ELNS1_11target_archE1200ELNS1_3gpuE4ELNS1_3repE0EEENS1_30default_config_static_selectorELNS0_4arch9wavefront6targetE1EEEvSN_, .Lfunc_end390-_ZN7rocprim17ROCPRIM_400000_NS6detail17trampoline_kernelINS0_14default_configENS1_27upper_bound_config_selectorIiiEEZNS1_14transform_implILb0ES3_S5_N6thrust23THRUST_200600_302600_NS6detail15normal_iteratorINS8_10device_ptrIiEEEESD_ZNS1_13binary_searchIS3_S5_SD_SD_SD_NS1_21upper_bound_search_opENS9_16wrapped_functionINS0_4lessIvEEbEEEE10hipError_tPvRmT1_T2_T3_mmT4_T5_P12ihipStream_tbEUlRKiE_EESK_SO_SP_mSQ_ST_bEUlT_E_NS1_11comp_targetILNS1_3genE10ELNS1_11target_archE1200ELNS1_3gpuE4ELNS1_3repE0EEENS1_30default_config_static_selectorELNS0_4arch9wavefront6targetE1EEEvSN_
                                        ; -- End function
	.section	.AMDGPU.csdata,"",@progbits
; Kernel info:
; codeLenInByte = 0
; NumSgprs: 4
; NumVgprs: 0
; NumAgprs: 0
; TotalNumVgprs: 0
; ScratchSize: 0
; MemoryBound: 0
; FloatMode: 240
; IeeeMode: 1
; LDSByteSize: 0 bytes/workgroup (compile time only)
; SGPRBlocks: 0
; VGPRBlocks: 0
; NumSGPRsForWavesPerEU: 4
; NumVGPRsForWavesPerEU: 1
; AccumOffset: 4
; Occupancy: 8
; WaveLimiterHint : 0
; COMPUTE_PGM_RSRC2:SCRATCH_EN: 0
; COMPUTE_PGM_RSRC2:USER_SGPR: 6
; COMPUTE_PGM_RSRC2:TRAP_HANDLER: 0
; COMPUTE_PGM_RSRC2:TGID_X_EN: 1
; COMPUTE_PGM_RSRC2:TGID_Y_EN: 0
; COMPUTE_PGM_RSRC2:TGID_Z_EN: 0
; COMPUTE_PGM_RSRC2:TIDIG_COMP_CNT: 0
; COMPUTE_PGM_RSRC3_GFX90A:ACCUM_OFFSET: 0
; COMPUTE_PGM_RSRC3_GFX90A:TG_SPLIT: 0
	.section	.text._ZN7rocprim17ROCPRIM_400000_NS6detail17trampoline_kernelINS0_14default_configENS1_27upper_bound_config_selectorIiiEEZNS1_14transform_implILb0ES3_S5_N6thrust23THRUST_200600_302600_NS6detail15normal_iteratorINS8_10device_ptrIiEEEESD_ZNS1_13binary_searchIS3_S5_SD_SD_SD_NS1_21upper_bound_search_opENS9_16wrapped_functionINS0_4lessIvEEbEEEE10hipError_tPvRmT1_T2_T3_mmT4_T5_P12ihipStream_tbEUlRKiE_EESK_SO_SP_mSQ_ST_bEUlT_E_NS1_11comp_targetILNS1_3genE9ELNS1_11target_archE1100ELNS1_3gpuE3ELNS1_3repE0EEENS1_30default_config_static_selectorELNS0_4arch9wavefront6targetE1EEEvSN_,"axG",@progbits,_ZN7rocprim17ROCPRIM_400000_NS6detail17trampoline_kernelINS0_14default_configENS1_27upper_bound_config_selectorIiiEEZNS1_14transform_implILb0ES3_S5_N6thrust23THRUST_200600_302600_NS6detail15normal_iteratorINS8_10device_ptrIiEEEESD_ZNS1_13binary_searchIS3_S5_SD_SD_SD_NS1_21upper_bound_search_opENS9_16wrapped_functionINS0_4lessIvEEbEEEE10hipError_tPvRmT1_T2_T3_mmT4_T5_P12ihipStream_tbEUlRKiE_EESK_SO_SP_mSQ_ST_bEUlT_E_NS1_11comp_targetILNS1_3genE9ELNS1_11target_archE1100ELNS1_3gpuE3ELNS1_3repE0EEENS1_30default_config_static_selectorELNS0_4arch9wavefront6targetE1EEEvSN_,comdat
	.protected	_ZN7rocprim17ROCPRIM_400000_NS6detail17trampoline_kernelINS0_14default_configENS1_27upper_bound_config_selectorIiiEEZNS1_14transform_implILb0ES3_S5_N6thrust23THRUST_200600_302600_NS6detail15normal_iteratorINS8_10device_ptrIiEEEESD_ZNS1_13binary_searchIS3_S5_SD_SD_SD_NS1_21upper_bound_search_opENS9_16wrapped_functionINS0_4lessIvEEbEEEE10hipError_tPvRmT1_T2_T3_mmT4_T5_P12ihipStream_tbEUlRKiE_EESK_SO_SP_mSQ_ST_bEUlT_E_NS1_11comp_targetILNS1_3genE9ELNS1_11target_archE1100ELNS1_3gpuE3ELNS1_3repE0EEENS1_30default_config_static_selectorELNS0_4arch9wavefront6targetE1EEEvSN_ ; -- Begin function _ZN7rocprim17ROCPRIM_400000_NS6detail17trampoline_kernelINS0_14default_configENS1_27upper_bound_config_selectorIiiEEZNS1_14transform_implILb0ES3_S5_N6thrust23THRUST_200600_302600_NS6detail15normal_iteratorINS8_10device_ptrIiEEEESD_ZNS1_13binary_searchIS3_S5_SD_SD_SD_NS1_21upper_bound_search_opENS9_16wrapped_functionINS0_4lessIvEEbEEEE10hipError_tPvRmT1_T2_T3_mmT4_T5_P12ihipStream_tbEUlRKiE_EESK_SO_SP_mSQ_ST_bEUlT_E_NS1_11comp_targetILNS1_3genE9ELNS1_11target_archE1100ELNS1_3gpuE3ELNS1_3repE0EEENS1_30default_config_static_selectorELNS0_4arch9wavefront6targetE1EEEvSN_
	.globl	_ZN7rocprim17ROCPRIM_400000_NS6detail17trampoline_kernelINS0_14default_configENS1_27upper_bound_config_selectorIiiEEZNS1_14transform_implILb0ES3_S5_N6thrust23THRUST_200600_302600_NS6detail15normal_iteratorINS8_10device_ptrIiEEEESD_ZNS1_13binary_searchIS3_S5_SD_SD_SD_NS1_21upper_bound_search_opENS9_16wrapped_functionINS0_4lessIvEEbEEEE10hipError_tPvRmT1_T2_T3_mmT4_T5_P12ihipStream_tbEUlRKiE_EESK_SO_SP_mSQ_ST_bEUlT_E_NS1_11comp_targetILNS1_3genE9ELNS1_11target_archE1100ELNS1_3gpuE3ELNS1_3repE0EEENS1_30default_config_static_selectorELNS0_4arch9wavefront6targetE1EEEvSN_
	.p2align	8
	.type	_ZN7rocprim17ROCPRIM_400000_NS6detail17trampoline_kernelINS0_14default_configENS1_27upper_bound_config_selectorIiiEEZNS1_14transform_implILb0ES3_S5_N6thrust23THRUST_200600_302600_NS6detail15normal_iteratorINS8_10device_ptrIiEEEESD_ZNS1_13binary_searchIS3_S5_SD_SD_SD_NS1_21upper_bound_search_opENS9_16wrapped_functionINS0_4lessIvEEbEEEE10hipError_tPvRmT1_T2_T3_mmT4_T5_P12ihipStream_tbEUlRKiE_EESK_SO_SP_mSQ_ST_bEUlT_E_NS1_11comp_targetILNS1_3genE9ELNS1_11target_archE1100ELNS1_3gpuE3ELNS1_3repE0EEENS1_30default_config_static_selectorELNS0_4arch9wavefront6targetE1EEEvSN_,@function
_ZN7rocprim17ROCPRIM_400000_NS6detail17trampoline_kernelINS0_14default_configENS1_27upper_bound_config_selectorIiiEEZNS1_14transform_implILb0ES3_S5_N6thrust23THRUST_200600_302600_NS6detail15normal_iteratorINS8_10device_ptrIiEEEESD_ZNS1_13binary_searchIS3_S5_SD_SD_SD_NS1_21upper_bound_search_opENS9_16wrapped_functionINS0_4lessIvEEbEEEE10hipError_tPvRmT1_T2_T3_mmT4_T5_P12ihipStream_tbEUlRKiE_EESK_SO_SP_mSQ_ST_bEUlT_E_NS1_11comp_targetILNS1_3genE9ELNS1_11target_archE1100ELNS1_3gpuE3ELNS1_3repE0EEENS1_30default_config_static_selectorELNS0_4arch9wavefront6targetE1EEEvSN_: ; @_ZN7rocprim17ROCPRIM_400000_NS6detail17trampoline_kernelINS0_14default_configENS1_27upper_bound_config_selectorIiiEEZNS1_14transform_implILb0ES3_S5_N6thrust23THRUST_200600_302600_NS6detail15normal_iteratorINS8_10device_ptrIiEEEESD_ZNS1_13binary_searchIS3_S5_SD_SD_SD_NS1_21upper_bound_search_opENS9_16wrapped_functionINS0_4lessIvEEbEEEE10hipError_tPvRmT1_T2_T3_mmT4_T5_P12ihipStream_tbEUlRKiE_EESK_SO_SP_mSQ_ST_bEUlT_E_NS1_11comp_targetILNS1_3genE9ELNS1_11target_archE1100ELNS1_3gpuE3ELNS1_3repE0EEENS1_30default_config_static_selectorELNS0_4arch9wavefront6targetE1EEEvSN_
; %bb.0:
	.section	.rodata,"a",@progbits
	.p2align	6, 0x0
	.amdhsa_kernel _ZN7rocprim17ROCPRIM_400000_NS6detail17trampoline_kernelINS0_14default_configENS1_27upper_bound_config_selectorIiiEEZNS1_14transform_implILb0ES3_S5_N6thrust23THRUST_200600_302600_NS6detail15normal_iteratorINS8_10device_ptrIiEEEESD_ZNS1_13binary_searchIS3_S5_SD_SD_SD_NS1_21upper_bound_search_opENS9_16wrapped_functionINS0_4lessIvEEbEEEE10hipError_tPvRmT1_T2_T3_mmT4_T5_P12ihipStream_tbEUlRKiE_EESK_SO_SP_mSQ_ST_bEUlT_E_NS1_11comp_targetILNS1_3genE9ELNS1_11target_archE1100ELNS1_3gpuE3ELNS1_3repE0EEENS1_30default_config_static_selectorELNS0_4arch9wavefront6targetE1EEEvSN_
		.amdhsa_group_segment_fixed_size 0
		.amdhsa_private_segment_fixed_size 0
		.amdhsa_kernarg_size 56
		.amdhsa_user_sgpr_count 6
		.amdhsa_user_sgpr_private_segment_buffer 1
		.amdhsa_user_sgpr_dispatch_ptr 0
		.amdhsa_user_sgpr_queue_ptr 0
		.amdhsa_user_sgpr_kernarg_segment_ptr 1
		.amdhsa_user_sgpr_dispatch_id 0
		.amdhsa_user_sgpr_flat_scratch_init 0
		.amdhsa_user_sgpr_kernarg_preload_length 0
		.amdhsa_user_sgpr_kernarg_preload_offset 0
		.amdhsa_user_sgpr_private_segment_size 0
		.amdhsa_uses_dynamic_stack 0
		.amdhsa_system_sgpr_private_segment_wavefront_offset 0
		.amdhsa_system_sgpr_workgroup_id_x 1
		.amdhsa_system_sgpr_workgroup_id_y 0
		.amdhsa_system_sgpr_workgroup_id_z 0
		.amdhsa_system_sgpr_workgroup_info 0
		.amdhsa_system_vgpr_workitem_id 0
		.amdhsa_next_free_vgpr 1
		.amdhsa_next_free_sgpr 0
		.amdhsa_accum_offset 4
		.amdhsa_reserve_vcc 0
		.amdhsa_reserve_flat_scratch 0
		.amdhsa_float_round_mode_32 0
		.amdhsa_float_round_mode_16_64 0
		.amdhsa_float_denorm_mode_32 3
		.amdhsa_float_denorm_mode_16_64 3
		.amdhsa_dx10_clamp 1
		.amdhsa_ieee_mode 1
		.amdhsa_fp16_overflow 0
		.amdhsa_tg_split 0
		.amdhsa_exception_fp_ieee_invalid_op 0
		.amdhsa_exception_fp_denorm_src 0
		.amdhsa_exception_fp_ieee_div_zero 0
		.amdhsa_exception_fp_ieee_overflow 0
		.amdhsa_exception_fp_ieee_underflow 0
		.amdhsa_exception_fp_ieee_inexact 0
		.amdhsa_exception_int_div_zero 0
	.end_amdhsa_kernel
	.section	.text._ZN7rocprim17ROCPRIM_400000_NS6detail17trampoline_kernelINS0_14default_configENS1_27upper_bound_config_selectorIiiEEZNS1_14transform_implILb0ES3_S5_N6thrust23THRUST_200600_302600_NS6detail15normal_iteratorINS8_10device_ptrIiEEEESD_ZNS1_13binary_searchIS3_S5_SD_SD_SD_NS1_21upper_bound_search_opENS9_16wrapped_functionINS0_4lessIvEEbEEEE10hipError_tPvRmT1_T2_T3_mmT4_T5_P12ihipStream_tbEUlRKiE_EESK_SO_SP_mSQ_ST_bEUlT_E_NS1_11comp_targetILNS1_3genE9ELNS1_11target_archE1100ELNS1_3gpuE3ELNS1_3repE0EEENS1_30default_config_static_selectorELNS0_4arch9wavefront6targetE1EEEvSN_,"axG",@progbits,_ZN7rocprim17ROCPRIM_400000_NS6detail17trampoline_kernelINS0_14default_configENS1_27upper_bound_config_selectorIiiEEZNS1_14transform_implILb0ES3_S5_N6thrust23THRUST_200600_302600_NS6detail15normal_iteratorINS8_10device_ptrIiEEEESD_ZNS1_13binary_searchIS3_S5_SD_SD_SD_NS1_21upper_bound_search_opENS9_16wrapped_functionINS0_4lessIvEEbEEEE10hipError_tPvRmT1_T2_T3_mmT4_T5_P12ihipStream_tbEUlRKiE_EESK_SO_SP_mSQ_ST_bEUlT_E_NS1_11comp_targetILNS1_3genE9ELNS1_11target_archE1100ELNS1_3gpuE3ELNS1_3repE0EEENS1_30default_config_static_selectorELNS0_4arch9wavefront6targetE1EEEvSN_,comdat
.Lfunc_end391:
	.size	_ZN7rocprim17ROCPRIM_400000_NS6detail17trampoline_kernelINS0_14default_configENS1_27upper_bound_config_selectorIiiEEZNS1_14transform_implILb0ES3_S5_N6thrust23THRUST_200600_302600_NS6detail15normal_iteratorINS8_10device_ptrIiEEEESD_ZNS1_13binary_searchIS3_S5_SD_SD_SD_NS1_21upper_bound_search_opENS9_16wrapped_functionINS0_4lessIvEEbEEEE10hipError_tPvRmT1_T2_T3_mmT4_T5_P12ihipStream_tbEUlRKiE_EESK_SO_SP_mSQ_ST_bEUlT_E_NS1_11comp_targetILNS1_3genE9ELNS1_11target_archE1100ELNS1_3gpuE3ELNS1_3repE0EEENS1_30default_config_static_selectorELNS0_4arch9wavefront6targetE1EEEvSN_, .Lfunc_end391-_ZN7rocprim17ROCPRIM_400000_NS6detail17trampoline_kernelINS0_14default_configENS1_27upper_bound_config_selectorIiiEEZNS1_14transform_implILb0ES3_S5_N6thrust23THRUST_200600_302600_NS6detail15normal_iteratorINS8_10device_ptrIiEEEESD_ZNS1_13binary_searchIS3_S5_SD_SD_SD_NS1_21upper_bound_search_opENS9_16wrapped_functionINS0_4lessIvEEbEEEE10hipError_tPvRmT1_T2_T3_mmT4_T5_P12ihipStream_tbEUlRKiE_EESK_SO_SP_mSQ_ST_bEUlT_E_NS1_11comp_targetILNS1_3genE9ELNS1_11target_archE1100ELNS1_3gpuE3ELNS1_3repE0EEENS1_30default_config_static_selectorELNS0_4arch9wavefront6targetE1EEEvSN_
                                        ; -- End function
	.section	.AMDGPU.csdata,"",@progbits
; Kernel info:
; codeLenInByte = 0
; NumSgprs: 4
; NumVgprs: 0
; NumAgprs: 0
; TotalNumVgprs: 0
; ScratchSize: 0
; MemoryBound: 0
; FloatMode: 240
; IeeeMode: 1
; LDSByteSize: 0 bytes/workgroup (compile time only)
; SGPRBlocks: 0
; VGPRBlocks: 0
; NumSGPRsForWavesPerEU: 4
; NumVGPRsForWavesPerEU: 1
; AccumOffset: 4
; Occupancy: 8
; WaveLimiterHint : 0
; COMPUTE_PGM_RSRC2:SCRATCH_EN: 0
; COMPUTE_PGM_RSRC2:USER_SGPR: 6
; COMPUTE_PGM_RSRC2:TRAP_HANDLER: 0
; COMPUTE_PGM_RSRC2:TGID_X_EN: 1
; COMPUTE_PGM_RSRC2:TGID_Y_EN: 0
; COMPUTE_PGM_RSRC2:TGID_Z_EN: 0
; COMPUTE_PGM_RSRC2:TIDIG_COMP_CNT: 0
; COMPUTE_PGM_RSRC3_GFX90A:ACCUM_OFFSET: 0
; COMPUTE_PGM_RSRC3_GFX90A:TG_SPLIT: 0
	.section	.text._ZN7rocprim17ROCPRIM_400000_NS6detail17trampoline_kernelINS0_14default_configENS1_27upper_bound_config_selectorIiiEEZNS1_14transform_implILb0ES3_S5_N6thrust23THRUST_200600_302600_NS6detail15normal_iteratorINS8_10device_ptrIiEEEESD_ZNS1_13binary_searchIS3_S5_SD_SD_SD_NS1_21upper_bound_search_opENS9_16wrapped_functionINS0_4lessIvEEbEEEE10hipError_tPvRmT1_T2_T3_mmT4_T5_P12ihipStream_tbEUlRKiE_EESK_SO_SP_mSQ_ST_bEUlT_E_NS1_11comp_targetILNS1_3genE8ELNS1_11target_archE1030ELNS1_3gpuE2ELNS1_3repE0EEENS1_30default_config_static_selectorELNS0_4arch9wavefront6targetE1EEEvSN_,"axG",@progbits,_ZN7rocprim17ROCPRIM_400000_NS6detail17trampoline_kernelINS0_14default_configENS1_27upper_bound_config_selectorIiiEEZNS1_14transform_implILb0ES3_S5_N6thrust23THRUST_200600_302600_NS6detail15normal_iteratorINS8_10device_ptrIiEEEESD_ZNS1_13binary_searchIS3_S5_SD_SD_SD_NS1_21upper_bound_search_opENS9_16wrapped_functionINS0_4lessIvEEbEEEE10hipError_tPvRmT1_T2_T3_mmT4_T5_P12ihipStream_tbEUlRKiE_EESK_SO_SP_mSQ_ST_bEUlT_E_NS1_11comp_targetILNS1_3genE8ELNS1_11target_archE1030ELNS1_3gpuE2ELNS1_3repE0EEENS1_30default_config_static_selectorELNS0_4arch9wavefront6targetE1EEEvSN_,comdat
	.protected	_ZN7rocprim17ROCPRIM_400000_NS6detail17trampoline_kernelINS0_14default_configENS1_27upper_bound_config_selectorIiiEEZNS1_14transform_implILb0ES3_S5_N6thrust23THRUST_200600_302600_NS6detail15normal_iteratorINS8_10device_ptrIiEEEESD_ZNS1_13binary_searchIS3_S5_SD_SD_SD_NS1_21upper_bound_search_opENS9_16wrapped_functionINS0_4lessIvEEbEEEE10hipError_tPvRmT1_T2_T3_mmT4_T5_P12ihipStream_tbEUlRKiE_EESK_SO_SP_mSQ_ST_bEUlT_E_NS1_11comp_targetILNS1_3genE8ELNS1_11target_archE1030ELNS1_3gpuE2ELNS1_3repE0EEENS1_30default_config_static_selectorELNS0_4arch9wavefront6targetE1EEEvSN_ ; -- Begin function _ZN7rocprim17ROCPRIM_400000_NS6detail17trampoline_kernelINS0_14default_configENS1_27upper_bound_config_selectorIiiEEZNS1_14transform_implILb0ES3_S5_N6thrust23THRUST_200600_302600_NS6detail15normal_iteratorINS8_10device_ptrIiEEEESD_ZNS1_13binary_searchIS3_S5_SD_SD_SD_NS1_21upper_bound_search_opENS9_16wrapped_functionINS0_4lessIvEEbEEEE10hipError_tPvRmT1_T2_T3_mmT4_T5_P12ihipStream_tbEUlRKiE_EESK_SO_SP_mSQ_ST_bEUlT_E_NS1_11comp_targetILNS1_3genE8ELNS1_11target_archE1030ELNS1_3gpuE2ELNS1_3repE0EEENS1_30default_config_static_selectorELNS0_4arch9wavefront6targetE1EEEvSN_
	.globl	_ZN7rocprim17ROCPRIM_400000_NS6detail17trampoline_kernelINS0_14default_configENS1_27upper_bound_config_selectorIiiEEZNS1_14transform_implILb0ES3_S5_N6thrust23THRUST_200600_302600_NS6detail15normal_iteratorINS8_10device_ptrIiEEEESD_ZNS1_13binary_searchIS3_S5_SD_SD_SD_NS1_21upper_bound_search_opENS9_16wrapped_functionINS0_4lessIvEEbEEEE10hipError_tPvRmT1_T2_T3_mmT4_T5_P12ihipStream_tbEUlRKiE_EESK_SO_SP_mSQ_ST_bEUlT_E_NS1_11comp_targetILNS1_3genE8ELNS1_11target_archE1030ELNS1_3gpuE2ELNS1_3repE0EEENS1_30default_config_static_selectorELNS0_4arch9wavefront6targetE1EEEvSN_
	.p2align	8
	.type	_ZN7rocprim17ROCPRIM_400000_NS6detail17trampoline_kernelINS0_14default_configENS1_27upper_bound_config_selectorIiiEEZNS1_14transform_implILb0ES3_S5_N6thrust23THRUST_200600_302600_NS6detail15normal_iteratorINS8_10device_ptrIiEEEESD_ZNS1_13binary_searchIS3_S5_SD_SD_SD_NS1_21upper_bound_search_opENS9_16wrapped_functionINS0_4lessIvEEbEEEE10hipError_tPvRmT1_T2_T3_mmT4_T5_P12ihipStream_tbEUlRKiE_EESK_SO_SP_mSQ_ST_bEUlT_E_NS1_11comp_targetILNS1_3genE8ELNS1_11target_archE1030ELNS1_3gpuE2ELNS1_3repE0EEENS1_30default_config_static_selectorELNS0_4arch9wavefront6targetE1EEEvSN_,@function
_ZN7rocprim17ROCPRIM_400000_NS6detail17trampoline_kernelINS0_14default_configENS1_27upper_bound_config_selectorIiiEEZNS1_14transform_implILb0ES3_S5_N6thrust23THRUST_200600_302600_NS6detail15normal_iteratorINS8_10device_ptrIiEEEESD_ZNS1_13binary_searchIS3_S5_SD_SD_SD_NS1_21upper_bound_search_opENS9_16wrapped_functionINS0_4lessIvEEbEEEE10hipError_tPvRmT1_T2_T3_mmT4_T5_P12ihipStream_tbEUlRKiE_EESK_SO_SP_mSQ_ST_bEUlT_E_NS1_11comp_targetILNS1_3genE8ELNS1_11target_archE1030ELNS1_3gpuE2ELNS1_3repE0EEENS1_30default_config_static_selectorELNS0_4arch9wavefront6targetE1EEEvSN_: ; @_ZN7rocprim17ROCPRIM_400000_NS6detail17trampoline_kernelINS0_14default_configENS1_27upper_bound_config_selectorIiiEEZNS1_14transform_implILb0ES3_S5_N6thrust23THRUST_200600_302600_NS6detail15normal_iteratorINS8_10device_ptrIiEEEESD_ZNS1_13binary_searchIS3_S5_SD_SD_SD_NS1_21upper_bound_search_opENS9_16wrapped_functionINS0_4lessIvEEbEEEE10hipError_tPvRmT1_T2_T3_mmT4_T5_P12ihipStream_tbEUlRKiE_EESK_SO_SP_mSQ_ST_bEUlT_E_NS1_11comp_targetILNS1_3genE8ELNS1_11target_archE1030ELNS1_3gpuE2ELNS1_3repE0EEENS1_30default_config_static_selectorELNS0_4arch9wavefront6targetE1EEEvSN_
; %bb.0:
	.section	.rodata,"a",@progbits
	.p2align	6, 0x0
	.amdhsa_kernel _ZN7rocprim17ROCPRIM_400000_NS6detail17trampoline_kernelINS0_14default_configENS1_27upper_bound_config_selectorIiiEEZNS1_14transform_implILb0ES3_S5_N6thrust23THRUST_200600_302600_NS6detail15normal_iteratorINS8_10device_ptrIiEEEESD_ZNS1_13binary_searchIS3_S5_SD_SD_SD_NS1_21upper_bound_search_opENS9_16wrapped_functionINS0_4lessIvEEbEEEE10hipError_tPvRmT1_T2_T3_mmT4_T5_P12ihipStream_tbEUlRKiE_EESK_SO_SP_mSQ_ST_bEUlT_E_NS1_11comp_targetILNS1_3genE8ELNS1_11target_archE1030ELNS1_3gpuE2ELNS1_3repE0EEENS1_30default_config_static_selectorELNS0_4arch9wavefront6targetE1EEEvSN_
		.amdhsa_group_segment_fixed_size 0
		.amdhsa_private_segment_fixed_size 0
		.amdhsa_kernarg_size 56
		.amdhsa_user_sgpr_count 6
		.amdhsa_user_sgpr_private_segment_buffer 1
		.amdhsa_user_sgpr_dispatch_ptr 0
		.amdhsa_user_sgpr_queue_ptr 0
		.amdhsa_user_sgpr_kernarg_segment_ptr 1
		.amdhsa_user_sgpr_dispatch_id 0
		.amdhsa_user_sgpr_flat_scratch_init 0
		.amdhsa_user_sgpr_kernarg_preload_length 0
		.amdhsa_user_sgpr_kernarg_preload_offset 0
		.amdhsa_user_sgpr_private_segment_size 0
		.amdhsa_uses_dynamic_stack 0
		.amdhsa_system_sgpr_private_segment_wavefront_offset 0
		.amdhsa_system_sgpr_workgroup_id_x 1
		.amdhsa_system_sgpr_workgroup_id_y 0
		.amdhsa_system_sgpr_workgroup_id_z 0
		.amdhsa_system_sgpr_workgroup_info 0
		.amdhsa_system_vgpr_workitem_id 0
		.amdhsa_next_free_vgpr 1
		.amdhsa_next_free_sgpr 0
		.amdhsa_accum_offset 4
		.amdhsa_reserve_vcc 0
		.amdhsa_reserve_flat_scratch 0
		.amdhsa_float_round_mode_32 0
		.amdhsa_float_round_mode_16_64 0
		.amdhsa_float_denorm_mode_32 3
		.amdhsa_float_denorm_mode_16_64 3
		.amdhsa_dx10_clamp 1
		.amdhsa_ieee_mode 1
		.amdhsa_fp16_overflow 0
		.amdhsa_tg_split 0
		.amdhsa_exception_fp_ieee_invalid_op 0
		.amdhsa_exception_fp_denorm_src 0
		.amdhsa_exception_fp_ieee_div_zero 0
		.amdhsa_exception_fp_ieee_overflow 0
		.amdhsa_exception_fp_ieee_underflow 0
		.amdhsa_exception_fp_ieee_inexact 0
		.amdhsa_exception_int_div_zero 0
	.end_amdhsa_kernel
	.section	.text._ZN7rocprim17ROCPRIM_400000_NS6detail17trampoline_kernelINS0_14default_configENS1_27upper_bound_config_selectorIiiEEZNS1_14transform_implILb0ES3_S5_N6thrust23THRUST_200600_302600_NS6detail15normal_iteratorINS8_10device_ptrIiEEEESD_ZNS1_13binary_searchIS3_S5_SD_SD_SD_NS1_21upper_bound_search_opENS9_16wrapped_functionINS0_4lessIvEEbEEEE10hipError_tPvRmT1_T2_T3_mmT4_T5_P12ihipStream_tbEUlRKiE_EESK_SO_SP_mSQ_ST_bEUlT_E_NS1_11comp_targetILNS1_3genE8ELNS1_11target_archE1030ELNS1_3gpuE2ELNS1_3repE0EEENS1_30default_config_static_selectorELNS0_4arch9wavefront6targetE1EEEvSN_,"axG",@progbits,_ZN7rocprim17ROCPRIM_400000_NS6detail17trampoline_kernelINS0_14default_configENS1_27upper_bound_config_selectorIiiEEZNS1_14transform_implILb0ES3_S5_N6thrust23THRUST_200600_302600_NS6detail15normal_iteratorINS8_10device_ptrIiEEEESD_ZNS1_13binary_searchIS3_S5_SD_SD_SD_NS1_21upper_bound_search_opENS9_16wrapped_functionINS0_4lessIvEEbEEEE10hipError_tPvRmT1_T2_T3_mmT4_T5_P12ihipStream_tbEUlRKiE_EESK_SO_SP_mSQ_ST_bEUlT_E_NS1_11comp_targetILNS1_3genE8ELNS1_11target_archE1030ELNS1_3gpuE2ELNS1_3repE0EEENS1_30default_config_static_selectorELNS0_4arch9wavefront6targetE1EEEvSN_,comdat
.Lfunc_end392:
	.size	_ZN7rocprim17ROCPRIM_400000_NS6detail17trampoline_kernelINS0_14default_configENS1_27upper_bound_config_selectorIiiEEZNS1_14transform_implILb0ES3_S5_N6thrust23THRUST_200600_302600_NS6detail15normal_iteratorINS8_10device_ptrIiEEEESD_ZNS1_13binary_searchIS3_S5_SD_SD_SD_NS1_21upper_bound_search_opENS9_16wrapped_functionINS0_4lessIvEEbEEEE10hipError_tPvRmT1_T2_T3_mmT4_T5_P12ihipStream_tbEUlRKiE_EESK_SO_SP_mSQ_ST_bEUlT_E_NS1_11comp_targetILNS1_3genE8ELNS1_11target_archE1030ELNS1_3gpuE2ELNS1_3repE0EEENS1_30default_config_static_selectorELNS0_4arch9wavefront6targetE1EEEvSN_, .Lfunc_end392-_ZN7rocprim17ROCPRIM_400000_NS6detail17trampoline_kernelINS0_14default_configENS1_27upper_bound_config_selectorIiiEEZNS1_14transform_implILb0ES3_S5_N6thrust23THRUST_200600_302600_NS6detail15normal_iteratorINS8_10device_ptrIiEEEESD_ZNS1_13binary_searchIS3_S5_SD_SD_SD_NS1_21upper_bound_search_opENS9_16wrapped_functionINS0_4lessIvEEbEEEE10hipError_tPvRmT1_T2_T3_mmT4_T5_P12ihipStream_tbEUlRKiE_EESK_SO_SP_mSQ_ST_bEUlT_E_NS1_11comp_targetILNS1_3genE8ELNS1_11target_archE1030ELNS1_3gpuE2ELNS1_3repE0EEENS1_30default_config_static_selectorELNS0_4arch9wavefront6targetE1EEEvSN_
                                        ; -- End function
	.section	.AMDGPU.csdata,"",@progbits
; Kernel info:
; codeLenInByte = 0
; NumSgprs: 4
; NumVgprs: 0
; NumAgprs: 0
; TotalNumVgprs: 0
; ScratchSize: 0
; MemoryBound: 0
; FloatMode: 240
; IeeeMode: 1
; LDSByteSize: 0 bytes/workgroup (compile time only)
; SGPRBlocks: 0
; VGPRBlocks: 0
; NumSGPRsForWavesPerEU: 4
; NumVGPRsForWavesPerEU: 1
; AccumOffset: 4
; Occupancy: 8
; WaveLimiterHint : 0
; COMPUTE_PGM_RSRC2:SCRATCH_EN: 0
; COMPUTE_PGM_RSRC2:USER_SGPR: 6
; COMPUTE_PGM_RSRC2:TRAP_HANDLER: 0
; COMPUTE_PGM_RSRC2:TGID_X_EN: 1
; COMPUTE_PGM_RSRC2:TGID_Y_EN: 0
; COMPUTE_PGM_RSRC2:TGID_Z_EN: 0
; COMPUTE_PGM_RSRC2:TIDIG_COMP_CNT: 0
; COMPUTE_PGM_RSRC3_GFX90A:ACCUM_OFFSET: 0
; COMPUTE_PGM_RSRC3_GFX90A:TG_SPLIT: 0
	.section	.text._ZN7rocprim17ROCPRIM_400000_NS6detail17trampoline_kernelINS0_14default_configENS1_27upper_bound_config_selectorIsiEEZNS1_14transform_implILb0ES3_S5_N6thrust23THRUST_200600_302600_NS6detail15normal_iteratorINS8_10device_ptrIsEEEENSA_INSB_IiEEEEZNS1_13binary_searchIS3_S5_SD_SD_SF_NS1_21upper_bound_search_opENS9_16wrapped_functionINS0_4lessIvEEbEEEE10hipError_tPvRmT1_T2_T3_mmT4_T5_P12ihipStream_tbEUlRKsE_EESM_SQ_SR_mSS_SV_bEUlT_E_NS1_11comp_targetILNS1_3genE0ELNS1_11target_archE4294967295ELNS1_3gpuE0ELNS1_3repE0EEENS1_30default_config_static_selectorELNS0_4arch9wavefront6targetE1EEEvSP_,"axG",@progbits,_ZN7rocprim17ROCPRIM_400000_NS6detail17trampoline_kernelINS0_14default_configENS1_27upper_bound_config_selectorIsiEEZNS1_14transform_implILb0ES3_S5_N6thrust23THRUST_200600_302600_NS6detail15normal_iteratorINS8_10device_ptrIsEEEENSA_INSB_IiEEEEZNS1_13binary_searchIS3_S5_SD_SD_SF_NS1_21upper_bound_search_opENS9_16wrapped_functionINS0_4lessIvEEbEEEE10hipError_tPvRmT1_T2_T3_mmT4_T5_P12ihipStream_tbEUlRKsE_EESM_SQ_SR_mSS_SV_bEUlT_E_NS1_11comp_targetILNS1_3genE0ELNS1_11target_archE4294967295ELNS1_3gpuE0ELNS1_3repE0EEENS1_30default_config_static_selectorELNS0_4arch9wavefront6targetE1EEEvSP_,comdat
	.protected	_ZN7rocprim17ROCPRIM_400000_NS6detail17trampoline_kernelINS0_14default_configENS1_27upper_bound_config_selectorIsiEEZNS1_14transform_implILb0ES3_S5_N6thrust23THRUST_200600_302600_NS6detail15normal_iteratorINS8_10device_ptrIsEEEENSA_INSB_IiEEEEZNS1_13binary_searchIS3_S5_SD_SD_SF_NS1_21upper_bound_search_opENS9_16wrapped_functionINS0_4lessIvEEbEEEE10hipError_tPvRmT1_T2_T3_mmT4_T5_P12ihipStream_tbEUlRKsE_EESM_SQ_SR_mSS_SV_bEUlT_E_NS1_11comp_targetILNS1_3genE0ELNS1_11target_archE4294967295ELNS1_3gpuE0ELNS1_3repE0EEENS1_30default_config_static_selectorELNS0_4arch9wavefront6targetE1EEEvSP_ ; -- Begin function _ZN7rocprim17ROCPRIM_400000_NS6detail17trampoline_kernelINS0_14default_configENS1_27upper_bound_config_selectorIsiEEZNS1_14transform_implILb0ES3_S5_N6thrust23THRUST_200600_302600_NS6detail15normal_iteratorINS8_10device_ptrIsEEEENSA_INSB_IiEEEEZNS1_13binary_searchIS3_S5_SD_SD_SF_NS1_21upper_bound_search_opENS9_16wrapped_functionINS0_4lessIvEEbEEEE10hipError_tPvRmT1_T2_T3_mmT4_T5_P12ihipStream_tbEUlRKsE_EESM_SQ_SR_mSS_SV_bEUlT_E_NS1_11comp_targetILNS1_3genE0ELNS1_11target_archE4294967295ELNS1_3gpuE0ELNS1_3repE0EEENS1_30default_config_static_selectorELNS0_4arch9wavefront6targetE1EEEvSP_
	.globl	_ZN7rocprim17ROCPRIM_400000_NS6detail17trampoline_kernelINS0_14default_configENS1_27upper_bound_config_selectorIsiEEZNS1_14transform_implILb0ES3_S5_N6thrust23THRUST_200600_302600_NS6detail15normal_iteratorINS8_10device_ptrIsEEEENSA_INSB_IiEEEEZNS1_13binary_searchIS3_S5_SD_SD_SF_NS1_21upper_bound_search_opENS9_16wrapped_functionINS0_4lessIvEEbEEEE10hipError_tPvRmT1_T2_T3_mmT4_T5_P12ihipStream_tbEUlRKsE_EESM_SQ_SR_mSS_SV_bEUlT_E_NS1_11comp_targetILNS1_3genE0ELNS1_11target_archE4294967295ELNS1_3gpuE0ELNS1_3repE0EEENS1_30default_config_static_selectorELNS0_4arch9wavefront6targetE1EEEvSP_
	.p2align	8
	.type	_ZN7rocprim17ROCPRIM_400000_NS6detail17trampoline_kernelINS0_14default_configENS1_27upper_bound_config_selectorIsiEEZNS1_14transform_implILb0ES3_S5_N6thrust23THRUST_200600_302600_NS6detail15normal_iteratorINS8_10device_ptrIsEEEENSA_INSB_IiEEEEZNS1_13binary_searchIS3_S5_SD_SD_SF_NS1_21upper_bound_search_opENS9_16wrapped_functionINS0_4lessIvEEbEEEE10hipError_tPvRmT1_T2_T3_mmT4_T5_P12ihipStream_tbEUlRKsE_EESM_SQ_SR_mSS_SV_bEUlT_E_NS1_11comp_targetILNS1_3genE0ELNS1_11target_archE4294967295ELNS1_3gpuE0ELNS1_3repE0EEENS1_30default_config_static_selectorELNS0_4arch9wavefront6targetE1EEEvSP_,@function
_ZN7rocprim17ROCPRIM_400000_NS6detail17trampoline_kernelINS0_14default_configENS1_27upper_bound_config_selectorIsiEEZNS1_14transform_implILb0ES3_S5_N6thrust23THRUST_200600_302600_NS6detail15normal_iteratorINS8_10device_ptrIsEEEENSA_INSB_IiEEEEZNS1_13binary_searchIS3_S5_SD_SD_SF_NS1_21upper_bound_search_opENS9_16wrapped_functionINS0_4lessIvEEbEEEE10hipError_tPvRmT1_T2_T3_mmT4_T5_P12ihipStream_tbEUlRKsE_EESM_SQ_SR_mSS_SV_bEUlT_E_NS1_11comp_targetILNS1_3genE0ELNS1_11target_archE4294967295ELNS1_3gpuE0ELNS1_3repE0EEENS1_30default_config_static_selectorELNS0_4arch9wavefront6targetE1EEEvSP_: ; @_ZN7rocprim17ROCPRIM_400000_NS6detail17trampoline_kernelINS0_14default_configENS1_27upper_bound_config_selectorIsiEEZNS1_14transform_implILb0ES3_S5_N6thrust23THRUST_200600_302600_NS6detail15normal_iteratorINS8_10device_ptrIsEEEENSA_INSB_IiEEEEZNS1_13binary_searchIS3_S5_SD_SD_SF_NS1_21upper_bound_search_opENS9_16wrapped_functionINS0_4lessIvEEbEEEE10hipError_tPvRmT1_T2_T3_mmT4_T5_P12ihipStream_tbEUlRKsE_EESM_SQ_SR_mSS_SV_bEUlT_E_NS1_11comp_targetILNS1_3genE0ELNS1_11target_archE4294967295ELNS1_3gpuE0ELNS1_3repE0EEENS1_30default_config_static_selectorELNS0_4arch9wavefront6targetE1EEEvSP_
; %bb.0:
	.section	.rodata,"a",@progbits
	.p2align	6, 0x0
	.amdhsa_kernel _ZN7rocprim17ROCPRIM_400000_NS6detail17trampoline_kernelINS0_14default_configENS1_27upper_bound_config_selectorIsiEEZNS1_14transform_implILb0ES3_S5_N6thrust23THRUST_200600_302600_NS6detail15normal_iteratorINS8_10device_ptrIsEEEENSA_INSB_IiEEEEZNS1_13binary_searchIS3_S5_SD_SD_SF_NS1_21upper_bound_search_opENS9_16wrapped_functionINS0_4lessIvEEbEEEE10hipError_tPvRmT1_T2_T3_mmT4_T5_P12ihipStream_tbEUlRKsE_EESM_SQ_SR_mSS_SV_bEUlT_E_NS1_11comp_targetILNS1_3genE0ELNS1_11target_archE4294967295ELNS1_3gpuE0ELNS1_3repE0EEENS1_30default_config_static_selectorELNS0_4arch9wavefront6targetE1EEEvSP_
		.amdhsa_group_segment_fixed_size 0
		.amdhsa_private_segment_fixed_size 0
		.amdhsa_kernarg_size 56
		.amdhsa_user_sgpr_count 6
		.amdhsa_user_sgpr_private_segment_buffer 1
		.amdhsa_user_sgpr_dispatch_ptr 0
		.amdhsa_user_sgpr_queue_ptr 0
		.amdhsa_user_sgpr_kernarg_segment_ptr 1
		.amdhsa_user_sgpr_dispatch_id 0
		.amdhsa_user_sgpr_flat_scratch_init 0
		.amdhsa_user_sgpr_kernarg_preload_length 0
		.amdhsa_user_sgpr_kernarg_preload_offset 0
		.amdhsa_user_sgpr_private_segment_size 0
		.amdhsa_uses_dynamic_stack 0
		.amdhsa_system_sgpr_private_segment_wavefront_offset 0
		.amdhsa_system_sgpr_workgroup_id_x 1
		.amdhsa_system_sgpr_workgroup_id_y 0
		.amdhsa_system_sgpr_workgroup_id_z 0
		.amdhsa_system_sgpr_workgroup_info 0
		.amdhsa_system_vgpr_workitem_id 0
		.amdhsa_next_free_vgpr 1
		.amdhsa_next_free_sgpr 0
		.amdhsa_accum_offset 4
		.amdhsa_reserve_vcc 0
		.amdhsa_reserve_flat_scratch 0
		.amdhsa_float_round_mode_32 0
		.amdhsa_float_round_mode_16_64 0
		.amdhsa_float_denorm_mode_32 3
		.amdhsa_float_denorm_mode_16_64 3
		.amdhsa_dx10_clamp 1
		.amdhsa_ieee_mode 1
		.amdhsa_fp16_overflow 0
		.amdhsa_tg_split 0
		.amdhsa_exception_fp_ieee_invalid_op 0
		.amdhsa_exception_fp_denorm_src 0
		.amdhsa_exception_fp_ieee_div_zero 0
		.amdhsa_exception_fp_ieee_overflow 0
		.amdhsa_exception_fp_ieee_underflow 0
		.amdhsa_exception_fp_ieee_inexact 0
		.amdhsa_exception_int_div_zero 0
	.end_amdhsa_kernel
	.section	.text._ZN7rocprim17ROCPRIM_400000_NS6detail17trampoline_kernelINS0_14default_configENS1_27upper_bound_config_selectorIsiEEZNS1_14transform_implILb0ES3_S5_N6thrust23THRUST_200600_302600_NS6detail15normal_iteratorINS8_10device_ptrIsEEEENSA_INSB_IiEEEEZNS1_13binary_searchIS3_S5_SD_SD_SF_NS1_21upper_bound_search_opENS9_16wrapped_functionINS0_4lessIvEEbEEEE10hipError_tPvRmT1_T2_T3_mmT4_T5_P12ihipStream_tbEUlRKsE_EESM_SQ_SR_mSS_SV_bEUlT_E_NS1_11comp_targetILNS1_3genE0ELNS1_11target_archE4294967295ELNS1_3gpuE0ELNS1_3repE0EEENS1_30default_config_static_selectorELNS0_4arch9wavefront6targetE1EEEvSP_,"axG",@progbits,_ZN7rocprim17ROCPRIM_400000_NS6detail17trampoline_kernelINS0_14default_configENS1_27upper_bound_config_selectorIsiEEZNS1_14transform_implILb0ES3_S5_N6thrust23THRUST_200600_302600_NS6detail15normal_iteratorINS8_10device_ptrIsEEEENSA_INSB_IiEEEEZNS1_13binary_searchIS3_S5_SD_SD_SF_NS1_21upper_bound_search_opENS9_16wrapped_functionINS0_4lessIvEEbEEEE10hipError_tPvRmT1_T2_T3_mmT4_T5_P12ihipStream_tbEUlRKsE_EESM_SQ_SR_mSS_SV_bEUlT_E_NS1_11comp_targetILNS1_3genE0ELNS1_11target_archE4294967295ELNS1_3gpuE0ELNS1_3repE0EEENS1_30default_config_static_selectorELNS0_4arch9wavefront6targetE1EEEvSP_,comdat
.Lfunc_end393:
	.size	_ZN7rocprim17ROCPRIM_400000_NS6detail17trampoline_kernelINS0_14default_configENS1_27upper_bound_config_selectorIsiEEZNS1_14transform_implILb0ES3_S5_N6thrust23THRUST_200600_302600_NS6detail15normal_iteratorINS8_10device_ptrIsEEEENSA_INSB_IiEEEEZNS1_13binary_searchIS3_S5_SD_SD_SF_NS1_21upper_bound_search_opENS9_16wrapped_functionINS0_4lessIvEEbEEEE10hipError_tPvRmT1_T2_T3_mmT4_T5_P12ihipStream_tbEUlRKsE_EESM_SQ_SR_mSS_SV_bEUlT_E_NS1_11comp_targetILNS1_3genE0ELNS1_11target_archE4294967295ELNS1_3gpuE0ELNS1_3repE0EEENS1_30default_config_static_selectorELNS0_4arch9wavefront6targetE1EEEvSP_, .Lfunc_end393-_ZN7rocprim17ROCPRIM_400000_NS6detail17trampoline_kernelINS0_14default_configENS1_27upper_bound_config_selectorIsiEEZNS1_14transform_implILb0ES3_S5_N6thrust23THRUST_200600_302600_NS6detail15normal_iteratorINS8_10device_ptrIsEEEENSA_INSB_IiEEEEZNS1_13binary_searchIS3_S5_SD_SD_SF_NS1_21upper_bound_search_opENS9_16wrapped_functionINS0_4lessIvEEbEEEE10hipError_tPvRmT1_T2_T3_mmT4_T5_P12ihipStream_tbEUlRKsE_EESM_SQ_SR_mSS_SV_bEUlT_E_NS1_11comp_targetILNS1_3genE0ELNS1_11target_archE4294967295ELNS1_3gpuE0ELNS1_3repE0EEENS1_30default_config_static_selectorELNS0_4arch9wavefront6targetE1EEEvSP_
                                        ; -- End function
	.section	.AMDGPU.csdata,"",@progbits
; Kernel info:
; codeLenInByte = 0
; NumSgprs: 4
; NumVgprs: 0
; NumAgprs: 0
; TotalNumVgprs: 0
; ScratchSize: 0
; MemoryBound: 0
; FloatMode: 240
; IeeeMode: 1
; LDSByteSize: 0 bytes/workgroup (compile time only)
; SGPRBlocks: 0
; VGPRBlocks: 0
; NumSGPRsForWavesPerEU: 4
; NumVGPRsForWavesPerEU: 1
; AccumOffset: 4
; Occupancy: 8
; WaveLimiterHint : 0
; COMPUTE_PGM_RSRC2:SCRATCH_EN: 0
; COMPUTE_PGM_RSRC2:USER_SGPR: 6
; COMPUTE_PGM_RSRC2:TRAP_HANDLER: 0
; COMPUTE_PGM_RSRC2:TGID_X_EN: 1
; COMPUTE_PGM_RSRC2:TGID_Y_EN: 0
; COMPUTE_PGM_RSRC2:TGID_Z_EN: 0
; COMPUTE_PGM_RSRC2:TIDIG_COMP_CNT: 0
; COMPUTE_PGM_RSRC3_GFX90A:ACCUM_OFFSET: 0
; COMPUTE_PGM_RSRC3_GFX90A:TG_SPLIT: 0
	.section	.text._ZN7rocprim17ROCPRIM_400000_NS6detail17trampoline_kernelINS0_14default_configENS1_27upper_bound_config_selectorIsiEEZNS1_14transform_implILb0ES3_S5_N6thrust23THRUST_200600_302600_NS6detail15normal_iteratorINS8_10device_ptrIsEEEENSA_INSB_IiEEEEZNS1_13binary_searchIS3_S5_SD_SD_SF_NS1_21upper_bound_search_opENS9_16wrapped_functionINS0_4lessIvEEbEEEE10hipError_tPvRmT1_T2_T3_mmT4_T5_P12ihipStream_tbEUlRKsE_EESM_SQ_SR_mSS_SV_bEUlT_E_NS1_11comp_targetILNS1_3genE5ELNS1_11target_archE942ELNS1_3gpuE9ELNS1_3repE0EEENS1_30default_config_static_selectorELNS0_4arch9wavefront6targetE1EEEvSP_,"axG",@progbits,_ZN7rocprim17ROCPRIM_400000_NS6detail17trampoline_kernelINS0_14default_configENS1_27upper_bound_config_selectorIsiEEZNS1_14transform_implILb0ES3_S5_N6thrust23THRUST_200600_302600_NS6detail15normal_iteratorINS8_10device_ptrIsEEEENSA_INSB_IiEEEEZNS1_13binary_searchIS3_S5_SD_SD_SF_NS1_21upper_bound_search_opENS9_16wrapped_functionINS0_4lessIvEEbEEEE10hipError_tPvRmT1_T2_T3_mmT4_T5_P12ihipStream_tbEUlRKsE_EESM_SQ_SR_mSS_SV_bEUlT_E_NS1_11comp_targetILNS1_3genE5ELNS1_11target_archE942ELNS1_3gpuE9ELNS1_3repE0EEENS1_30default_config_static_selectorELNS0_4arch9wavefront6targetE1EEEvSP_,comdat
	.protected	_ZN7rocprim17ROCPRIM_400000_NS6detail17trampoline_kernelINS0_14default_configENS1_27upper_bound_config_selectorIsiEEZNS1_14transform_implILb0ES3_S5_N6thrust23THRUST_200600_302600_NS6detail15normal_iteratorINS8_10device_ptrIsEEEENSA_INSB_IiEEEEZNS1_13binary_searchIS3_S5_SD_SD_SF_NS1_21upper_bound_search_opENS9_16wrapped_functionINS0_4lessIvEEbEEEE10hipError_tPvRmT1_T2_T3_mmT4_T5_P12ihipStream_tbEUlRKsE_EESM_SQ_SR_mSS_SV_bEUlT_E_NS1_11comp_targetILNS1_3genE5ELNS1_11target_archE942ELNS1_3gpuE9ELNS1_3repE0EEENS1_30default_config_static_selectorELNS0_4arch9wavefront6targetE1EEEvSP_ ; -- Begin function _ZN7rocprim17ROCPRIM_400000_NS6detail17trampoline_kernelINS0_14default_configENS1_27upper_bound_config_selectorIsiEEZNS1_14transform_implILb0ES3_S5_N6thrust23THRUST_200600_302600_NS6detail15normal_iteratorINS8_10device_ptrIsEEEENSA_INSB_IiEEEEZNS1_13binary_searchIS3_S5_SD_SD_SF_NS1_21upper_bound_search_opENS9_16wrapped_functionINS0_4lessIvEEbEEEE10hipError_tPvRmT1_T2_T3_mmT4_T5_P12ihipStream_tbEUlRKsE_EESM_SQ_SR_mSS_SV_bEUlT_E_NS1_11comp_targetILNS1_3genE5ELNS1_11target_archE942ELNS1_3gpuE9ELNS1_3repE0EEENS1_30default_config_static_selectorELNS0_4arch9wavefront6targetE1EEEvSP_
	.globl	_ZN7rocprim17ROCPRIM_400000_NS6detail17trampoline_kernelINS0_14default_configENS1_27upper_bound_config_selectorIsiEEZNS1_14transform_implILb0ES3_S5_N6thrust23THRUST_200600_302600_NS6detail15normal_iteratorINS8_10device_ptrIsEEEENSA_INSB_IiEEEEZNS1_13binary_searchIS3_S5_SD_SD_SF_NS1_21upper_bound_search_opENS9_16wrapped_functionINS0_4lessIvEEbEEEE10hipError_tPvRmT1_T2_T3_mmT4_T5_P12ihipStream_tbEUlRKsE_EESM_SQ_SR_mSS_SV_bEUlT_E_NS1_11comp_targetILNS1_3genE5ELNS1_11target_archE942ELNS1_3gpuE9ELNS1_3repE0EEENS1_30default_config_static_selectorELNS0_4arch9wavefront6targetE1EEEvSP_
	.p2align	8
	.type	_ZN7rocprim17ROCPRIM_400000_NS6detail17trampoline_kernelINS0_14default_configENS1_27upper_bound_config_selectorIsiEEZNS1_14transform_implILb0ES3_S5_N6thrust23THRUST_200600_302600_NS6detail15normal_iteratorINS8_10device_ptrIsEEEENSA_INSB_IiEEEEZNS1_13binary_searchIS3_S5_SD_SD_SF_NS1_21upper_bound_search_opENS9_16wrapped_functionINS0_4lessIvEEbEEEE10hipError_tPvRmT1_T2_T3_mmT4_T5_P12ihipStream_tbEUlRKsE_EESM_SQ_SR_mSS_SV_bEUlT_E_NS1_11comp_targetILNS1_3genE5ELNS1_11target_archE942ELNS1_3gpuE9ELNS1_3repE0EEENS1_30default_config_static_selectorELNS0_4arch9wavefront6targetE1EEEvSP_,@function
_ZN7rocprim17ROCPRIM_400000_NS6detail17trampoline_kernelINS0_14default_configENS1_27upper_bound_config_selectorIsiEEZNS1_14transform_implILb0ES3_S5_N6thrust23THRUST_200600_302600_NS6detail15normal_iteratorINS8_10device_ptrIsEEEENSA_INSB_IiEEEEZNS1_13binary_searchIS3_S5_SD_SD_SF_NS1_21upper_bound_search_opENS9_16wrapped_functionINS0_4lessIvEEbEEEE10hipError_tPvRmT1_T2_T3_mmT4_T5_P12ihipStream_tbEUlRKsE_EESM_SQ_SR_mSS_SV_bEUlT_E_NS1_11comp_targetILNS1_3genE5ELNS1_11target_archE942ELNS1_3gpuE9ELNS1_3repE0EEENS1_30default_config_static_selectorELNS0_4arch9wavefront6targetE1EEEvSP_: ; @_ZN7rocprim17ROCPRIM_400000_NS6detail17trampoline_kernelINS0_14default_configENS1_27upper_bound_config_selectorIsiEEZNS1_14transform_implILb0ES3_S5_N6thrust23THRUST_200600_302600_NS6detail15normal_iteratorINS8_10device_ptrIsEEEENSA_INSB_IiEEEEZNS1_13binary_searchIS3_S5_SD_SD_SF_NS1_21upper_bound_search_opENS9_16wrapped_functionINS0_4lessIvEEbEEEE10hipError_tPvRmT1_T2_T3_mmT4_T5_P12ihipStream_tbEUlRKsE_EESM_SQ_SR_mSS_SV_bEUlT_E_NS1_11comp_targetILNS1_3genE5ELNS1_11target_archE942ELNS1_3gpuE9ELNS1_3repE0EEENS1_30default_config_static_selectorELNS0_4arch9wavefront6targetE1EEEvSP_
; %bb.0:
	.section	.rodata,"a",@progbits
	.p2align	6, 0x0
	.amdhsa_kernel _ZN7rocprim17ROCPRIM_400000_NS6detail17trampoline_kernelINS0_14default_configENS1_27upper_bound_config_selectorIsiEEZNS1_14transform_implILb0ES3_S5_N6thrust23THRUST_200600_302600_NS6detail15normal_iteratorINS8_10device_ptrIsEEEENSA_INSB_IiEEEEZNS1_13binary_searchIS3_S5_SD_SD_SF_NS1_21upper_bound_search_opENS9_16wrapped_functionINS0_4lessIvEEbEEEE10hipError_tPvRmT1_T2_T3_mmT4_T5_P12ihipStream_tbEUlRKsE_EESM_SQ_SR_mSS_SV_bEUlT_E_NS1_11comp_targetILNS1_3genE5ELNS1_11target_archE942ELNS1_3gpuE9ELNS1_3repE0EEENS1_30default_config_static_selectorELNS0_4arch9wavefront6targetE1EEEvSP_
		.amdhsa_group_segment_fixed_size 0
		.amdhsa_private_segment_fixed_size 0
		.amdhsa_kernarg_size 56
		.amdhsa_user_sgpr_count 6
		.amdhsa_user_sgpr_private_segment_buffer 1
		.amdhsa_user_sgpr_dispatch_ptr 0
		.amdhsa_user_sgpr_queue_ptr 0
		.amdhsa_user_sgpr_kernarg_segment_ptr 1
		.amdhsa_user_sgpr_dispatch_id 0
		.amdhsa_user_sgpr_flat_scratch_init 0
		.amdhsa_user_sgpr_kernarg_preload_length 0
		.amdhsa_user_sgpr_kernarg_preload_offset 0
		.amdhsa_user_sgpr_private_segment_size 0
		.amdhsa_uses_dynamic_stack 0
		.amdhsa_system_sgpr_private_segment_wavefront_offset 0
		.amdhsa_system_sgpr_workgroup_id_x 1
		.amdhsa_system_sgpr_workgroup_id_y 0
		.amdhsa_system_sgpr_workgroup_id_z 0
		.amdhsa_system_sgpr_workgroup_info 0
		.amdhsa_system_vgpr_workitem_id 0
		.amdhsa_next_free_vgpr 1
		.amdhsa_next_free_sgpr 0
		.amdhsa_accum_offset 4
		.amdhsa_reserve_vcc 0
		.amdhsa_reserve_flat_scratch 0
		.amdhsa_float_round_mode_32 0
		.amdhsa_float_round_mode_16_64 0
		.amdhsa_float_denorm_mode_32 3
		.amdhsa_float_denorm_mode_16_64 3
		.amdhsa_dx10_clamp 1
		.amdhsa_ieee_mode 1
		.amdhsa_fp16_overflow 0
		.amdhsa_tg_split 0
		.amdhsa_exception_fp_ieee_invalid_op 0
		.amdhsa_exception_fp_denorm_src 0
		.amdhsa_exception_fp_ieee_div_zero 0
		.amdhsa_exception_fp_ieee_overflow 0
		.amdhsa_exception_fp_ieee_underflow 0
		.amdhsa_exception_fp_ieee_inexact 0
		.amdhsa_exception_int_div_zero 0
	.end_amdhsa_kernel
	.section	.text._ZN7rocprim17ROCPRIM_400000_NS6detail17trampoline_kernelINS0_14default_configENS1_27upper_bound_config_selectorIsiEEZNS1_14transform_implILb0ES3_S5_N6thrust23THRUST_200600_302600_NS6detail15normal_iteratorINS8_10device_ptrIsEEEENSA_INSB_IiEEEEZNS1_13binary_searchIS3_S5_SD_SD_SF_NS1_21upper_bound_search_opENS9_16wrapped_functionINS0_4lessIvEEbEEEE10hipError_tPvRmT1_T2_T3_mmT4_T5_P12ihipStream_tbEUlRKsE_EESM_SQ_SR_mSS_SV_bEUlT_E_NS1_11comp_targetILNS1_3genE5ELNS1_11target_archE942ELNS1_3gpuE9ELNS1_3repE0EEENS1_30default_config_static_selectorELNS0_4arch9wavefront6targetE1EEEvSP_,"axG",@progbits,_ZN7rocprim17ROCPRIM_400000_NS6detail17trampoline_kernelINS0_14default_configENS1_27upper_bound_config_selectorIsiEEZNS1_14transform_implILb0ES3_S5_N6thrust23THRUST_200600_302600_NS6detail15normal_iteratorINS8_10device_ptrIsEEEENSA_INSB_IiEEEEZNS1_13binary_searchIS3_S5_SD_SD_SF_NS1_21upper_bound_search_opENS9_16wrapped_functionINS0_4lessIvEEbEEEE10hipError_tPvRmT1_T2_T3_mmT4_T5_P12ihipStream_tbEUlRKsE_EESM_SQ_SR_mSS_SV_bEUlT_E_NS1_11comp_targetILNS1_3genE5ELNS1_11target_archE942ELNS1_3gpuE9ELNS1_3repE0EEENS1_30default_config_static_selectorELNS0_4arch9wavefront6targetE1EEEvSP_,comdat
.Lfunc_end394:
	.size	_ZN7rocprim17ROCPRIM_400000_NS6detail17trampoline_kernelINS0_14default_configENS1_27upper_bound_config_selectorIsiEEZNS1_14transform_implILb0ES3_S5_N6thrust23THRUST_200600_302600_NS6detail15normal_iteratorINS8_10device_ptrIsEEEENSA_INSB_IiEEEEZNS1_13binary_searchIS3_S5_SD_SD_SF_NS1_21upper_bound_search_opENS9_16wrapped_functionINS0_4lessIvEEbEEEE10hipError_tPvRmT1_T2_T3_mmT4_T5_P12ihipStream_tbEUlRKsE_EESM_SQ_SR_mSS_SV_bEUlT_E_NS1_11comp_targetILNS1_3genE5ELNS1_11target_archE942ELNS1_3gpuE9ELNS1_3repE0EEENS1_30default_config_static_selectorELNS0_4arch9wavefront6targetE1EEEvSP_, .Lfunc_end394-_ZN7rocprim17ROCPRIM_400000_NS6detail17trampoline_kernelINS0_14default_configENS1_27upper_bound_config_selectorIsiEEZNS1_14transform_implILb0ES3_S5_N6thrust23THRUST_200600_302600_NS6detail15normal_iteratorINS8_10device_ptrIsEEEENSA_INSB_IiEEEEZNS1_13binary_searchIS3_S5_SD_SD_SF_NS1_21upper_bound_search_opENS9_16wrapped_functionINS0_4lessIvEEbEEEE10hipError_tPvRmT1_T2_T3_mmT4_T5_P12ihipStream_tbEUlRKsE_EESM_SQ_SR_mSS_SV_bEUlT_E_NS1_11comp_targetILNS1_3genE5ELNS1_11target_archE942ELNS1_3gpuE9ELNS1_3repE0EEENS1_30default_config_static_selectorELNS0_4arch9wavefront6targetE1EEEvSP_
                                        ; -- End function
	.section	.AMDGPU.csdata,"",@progbits
; Kernel info:
; codeLenInByte = 0
; NumSgprs: 4
; NumVgprs: 0
; NumAgprs: 0
; TotalNumVgprs: 0
; ScratchSize: 0
; MemoryBound: 0
; FloatMode: 240
; IeeeMode: 1
; LDSByteSize: 0 bytes/workgroup (compile time only)
; SGPRBlocks: 0
; VGPRBlocks: 0
; NumSGPRsForWavesPerEU: 4
; NumVGPRsForWavesPerEU: 1
; AccumOffset: 4
; Occupancy: 8
; WaveLimiterHint : 0
; COMPUTE_PGM_RSRC2:SCRATCH_EN: 0
; COMPUTE_PGM_RSRC2:USER_SGPR: 6
; COMPUTE_PGM_RSRC2:TRAP_HANDLER: 0
; COMPUTE_PGM_RSRC2:TGID_X_EN: 1
; COMPUTE_PGM_RSRC2:TGID_Y_EN: 0
; COMPUTE_PGM_RSRC2:TGID_Z_EN: 0
; COMPUTE_PGM_RSRC2:TIDIG_COMP_CNT: 0
; COMPUTE_PGM_RSRC3_GFX90A:ACCUM_OFFSET: 0
; COMPUTE_PGM_RSRC3_GFX90A:TG_SPLIT: 0
	.section	.text._ZN7rocprim17ROCPRIM_400000_NS6detail17trampoline_kernelINS0_14default_configENS1_27upper_bound_config_selectorIsiEEZNS1_14transform_implILb0ES3_S5_N6thrust23THRUST_200600_302600_NS6detail15normal_iteratorINS8_10device_ptrIsEEEENSA_INSB_IiEEEEZNS1_13binary_searchIS3_S5_SD_SD_SF_NS1_21upper_bound_search_opENS9_16wrapped_functionINS0_4lessIvEEbEEEE10hipError_tPvRmT1_T2_T3_mmT4_T5_P12ihipStream_tbEUlRKsE_EESM_SQ_SR_mSS_SV_bEUlT_E_NS1_11comp_targetILNS1_3genE4ELNS1_11target_archE910ELNS1_3gpuE8ELNS1_3repE0EEENS1_30default_config_static_selectorELNS0_4arch9wavefront6targetE1EEEvSP_,"axG",@progbits,_ZN7rocprim17ROCPRIM_400000_NS6detail17trampoline_kernelINS0_14default_configENS1_27upper_bound_config_selectorIsiEEZNS1_14transform_implILb0ES3_S5_N6thrust23THRUST_200600_302600_NS6detail15normal_iteratorINS8_10device_ptrIsEEEENSA_INSB_IiEEEEZNS1_13binary_searchIS3_S5_SD_SD_SF_NS1_21upper_bound_search_opENS9_16wrapped_functionINS0_4lessIvEEbEEEE10hipError_tPvRmT1_T2_T3_mmT4_T5_P12ihipStream_tbEUlRKsE_EESM_SQ_SR_mSS_SV_bEUlT_E_NS1_11comp_targetILNS1_3genE4ELNS1_11target_archE910ELNS1_3gpuE8ELNS1_3repE0EEENS1_30default_config_static_selectorELNS0_4arch9wavefront6targetE1EEEvSP_,comdat
	.protected	_ZN7rocprim17ROCPRIM_400000_NS6detail17trampoline_kernelINS0_14default_configENS1_27upper_bound_config_selectorIsiEEZNS1_14transform_implILb0ES3_S5_N6thrust23THRUST_200600_302600_NS6detail15normal_iteratorINS8_10device_ptrIsEEEENSA_INSB_IiEEEEZNS1_13binary_searchIS3_S5_SD_SD_SF_NS1_21upper_bound_search_opENS9_16wrapped_functionINS0_4lessIvEEbEEEE10hipError_tPvRmT1_T2_T3_mmT4_T5_P12ihipStream_tbEUlRKsE_EESM_SQ_SR_mSS_SV_bEUlT_E_NS1_11comp_targetILNS1_3genE4ELNS1_11target_archE910ELNS1_3gpuE8ELNS1_3repE0EEENS1_30default_config_static_selectorELNS0_4arch9wavefront6targetE1EEEvSP_ ; -- Begin function _ZN7rocprim17ROCPRIM_400000_NS6detail17trampoline_kernelINS0_14default_configENS1_27upper_bound_config_selectorIsiEEZNS1_14transform_implILb0ES3_S5_N6thrust23THRUST_200600_302600_NS6detail15normal_iteratorINS8_10device_ptrIsEEEENSA_INSB_IiEEEEZNS1_13binary_searchIS3_S5_SD_SD_SF_NS1_21upper_bound_search_opENS9_16wrapped_functionINS0_4lessIvEEbEEEE10hipError_tPvRmT1_T2_T3_mmT4_T5_P12ihipStream_tbEUlRKsE_EESM_SQ_SR_mSS_SV_bEUlT_E_NS1_11comp_targetILNS1_3genE4ELNS1_11target_archE910ELNS1_3gpuE8ELNS1_3repE0EEENS1_30default_config_static_selectorELNS0_4arch9wavefront6targetE1EEEvSP_
	.globl	_ZN7rocprim17ROCPRIM_400000_NS6detail17trampoline_kernelINS0_14default_configENS1_27upper_bound_config_selectorIsiEEZNS1_14transform_implILb0ES3_S5_N6thrust23THRUST_200600_302600_NS6detail15normal_iteratorINS8_10device_ptrIsEEEENSA_INSB_IiEEEEZNS1_13binary_searchIS3_S5_SD_SD_SF_NS1_21upper_bound_search_opENS9_16wrapped_functionINS0_4lessIvEEbEEEE10hipError_tPvRmT1_T2_T3_mmT4_T5_P12ihipStream_tbEUlRKsE_EESM_SQ_SR_mSS_SV_bEUlT_E_NS1_11comp_targetILNS1_3genE4ELNS1_11target_archE910ELNS1_3gpuE8ELNS1_3repE0EEENS1_30default_config_static_selectorELNS0_4arch9wavefront6targetE1EEEvSP_
	.p2align	8
	.type	_ZN7rocprim17ROCPRIM_400000_NS6detail17trampoline_kernelINS0_14default_configENS1_27upper_bound_config_selectorIsiEEZNS1_14transform_implILb0ES3_S5_N6thrust23THRUST_200600_302600_NS6detail15normal_iteratorINS8_10device_ptrIsEEEENSA_INSB_IiEEEEZNS1_13binary_searchIS3_S5_SD_SD_SF_NS1_21upper_bound_search_opENS9_16wrapped_functionINS0_4lessIvEEbEEEE10hipError_tPvRmT1_T2_T3_mmT4_T5_P12ihipStream_tbEUlRKsE_EESM_SQ_SR_mSS_SV_bEUlT_E_NS1_11comp_targetILNS1_3genE4ELNS1_11target_archE910ELNS1_3gpuE8ELNS1_3repE0EEENS1_30default_config_static_selectorELNS0_4arch9wavefront6targetE1EEEvSP_,@function
_ZN7rocprim17ROCPRIM_400000_NS6detail17trampoline_kernelINS0_14default_configENS1_27upper_bound_config_selectorIsiEEZNS1_14transform_implILb0ES3_S5_N6thrust23THRUST_200600_302600_NS6detail15normal_iteratorINS8_10device_ptrIsEEEENSA_INSB_IiEEEEZNS1_13binary_searchIS3_S5_SD_SD_SF_NS1_21upper_bound_search_opENS9_16wrapped_functionINS0_4lessIvEEbEEEE10hipError_tPvRmT1_T2_T3_mmT4_T5_P12ihipStream_tbEUlRKsE_EESM_SQ_SR_mSS_SV_bEUlT_E_NS1_11comp_targetILNS1_3genE4ELNS1_11target_archE910ELNS1_3gpuE8ELNS1_3repE0EEENS1_30default_config_static_selectorELNS0_4arch9wavefront6targetE1EEEvSP_: ; @_ZN7rocprim17ROCPRIM_400000_NS6detail17trampoline_kernelINS0_14default_configENS1_27upper_bound_config_selectorIsiEEZNS1_14transform_implILb0ES3_S5_N6thrust23THRUST_200600_302600_NS6detail15normal_iteratorINS8_10device_ptrIsEEEENSA_INSB_IiEEEEZNS1_13binary_searchIS3_S5_SD_SD_SF_NS1_21upper_bound_search_opENS9_16wrapped_functionINS0_4lessIvEEbEEEE10hipError_tPvRmT1_T2_T3_mmT4_T5_P12ihipStream_tbEUlRKsE_EESM_SQ_SR_mSS_SV_bEUlT_E_NS1_11comp_targetILNS1_3genE4ELNS1_11target_archE910ELNS1_3gpuE8ELNS1_3repE0EEENS1_30default_config_static_selectorELNS0_4arch9wavefront6targetE1EEEvSP_
; %bb.0:
	s_load_dwordx4 s[16:19], s[4:5], 0x0
	s_load_dwordx4 s[0:3], s[4:5], 0x18
	s_load_dwordx2 s[10:11], s[4:5], 0x28
	s_load_dword s15, s[4:5], 0x38
	s_waitcnt lgkmcnt(0)
	s_lshl_b64 s[8:9], s[18:19], 1
	s_add_u32 s7, s16, s8
	s_addc_u32 s14, s17, s9
	s_lshl_b64 s[8:9], s[18:19], 2
	s_add_u32 s12, s0, s8
	s_addc_u32 s13, s1, s9
	s_lshl_b32 s8, s6, 8
	s_add_i32 s15, s15, -1
	s_mov_b32 s9, 0
	s_cmp_lg_u32 s6, s15
	s_mov_b64 s[0:1], -1
	s_cbranch_scc0 .LBB395_6
; %bb.1:
	v_mov_b32_e32 v2, 0
	s_cmp_eq_u64 s[10:11], 0
	s_mov_b64 s[0:1], 0
	s_cbranch_scc1 .LBB395_5
; %bb.2:
	s_lshl_b64 s[16:17], s[8:9], 1
	s_add_u32 s6, s7, s16
	s_addc_u32 s15, s14, s17
	v_lshlrev_b32_e32 v1, 1, v0
	v_mov_b32_e32 v3, s15
	v_add_co_u32_e32 v2, vcc, s6, v1
	v_addc_co_u32_e32 v3, vcc, 0, v3, vcc
	flat_load_ushort v1, v[2:3]
	v_pk_mov_b32 v[2:3], 0, 0
	v_pk_mov_b32 v[4:5], s[10:11], s[10:11] op_sel:[0,1]
	v_mov_b32_e32 v6, s3
.LBB395_3:                              ; =>This Inner Loop Header: Depth=1
	v_sub_co_u32_e32 v8, vcc, v4, v2
	v_subb_co_u32_e32 v9, vcc, v5, v3, vcc
	v_lshrrev_b64 v[10:11], 1, v[8:9]
	v_add_co_u32_e32 v7, vcc, v10, v2
	v_lshrrev_b64 v[8:9], 6, v[8:9]
	v_addc_co_u32_e32 v10, vcc, v11, v3, vcc
	v_add_co_u32_e32 v8, vcc, v7, v8
	v_addc_co_u32_e32 v9, vcc, v10, v9, vcc
	v_lshlrev_b64 v[10:11], 1, v[8:9]
	v_add_co_u32_e32 v10, vcc, s2, v10
	v_addc_co_u32_e32 v11, vcc, v6, v11, vcc
	global_load_ushort v7, v[10:11], off
	v_add_co_u32_e32 v10, vcc, 1, v8
	v_addc_co_u32_e32 v11, vcc, 0, v9, vcc
	s_waitcnt vmcnt(0) lgkmcnt(0)
	v_cmp_gt_i16_e32 vcc, v7, v1
	v_cndmask_b32_e32 v5, v5, v9, vcc
	v_cndmask_b32_e32 v4, v4, v8, vcc
	;; [unrolled: 1-line block ×4, first 2 shown]
	v_cmp_ge_u64_e32 vcc, v[2:3], v[4:5]
	s_or_b64 s[0:1], vcc, s[0:1]
	s_andn2_b64 exec, exec, s[0:1]
	s_cbranch_execnz .LBB395_3
; %bb.4:
	s_or_b64 exec, exec, s[0:1]
.LBB395_5:
	s_lshl_b64 s[0:1], s[8:9], 2
	s_add_u32 s0, s12, s0
	s_addc_u32 s1, s13, s1
	v_lshlrev_b32_e32 v1, 2, v0
	v_mov_b32_e32 v3, s1
	v_add_co_u32_e32 v4, vcc, s0, v1
	v_addc_co_u32_e32 v5, vcc, 0, v3, vcc
	s_mov_b64 s[0:1], 0
	flat_store_dword v[4:5], v2
.LBB395_6:
	s_and_b64 vcc, exec, s[0:1]
	s_cbranch_vccz .LBB395_11
; %bb.7:
	s_load_dword s0, s[4:5], 0x10
                                        ; implicit-def: $vgpr1
	s_waitcnt lgkmcnt(0)
	s_sub_i32 s0, s0, s8
	v_cmp_gt_u32_e32 vcc, s0, v0
	s_and_saveexec_b64 s[4:5], vcc
	s_cbranch_execnz .LBB395_12
; %bb.8:
	s_or_b64 exec, exec, s[4:5]
                                        ; implicit-def: $vgpr2
	s_and_saveexec_b64 s[4:5], vcc
	s_cbranch_execnz .LBB395_13
.LBB395_9:
	s_or_b64 exec, exec, s[4:5]
	s_and_saveexec_b64 s[0:1], vcc
	s_cbranch_execz .LBB395_11
.LBB395_10:
	s_lshl_b64 s[0:1], s[8:9], 2
	s_add_u32 s0, s12, s0
	s_addc_u32 s1, s13, s1
	v_lshlrev_b32_e32 v0, 2, v0
	s_waitcnt vmcnt(0) lgkmcnt(0)
	v_mov_b32_e32 v1, s1
	v_add_co_u32_e32 v0, vcc, s0, v0
	v_addc_co_u32_e32 v1, vcc, 0, v1, vcc
	flat_store_dword v[0:1], v2
.LBB395_11:
	s_endpgm
.LBB395_12:
	s_lshl_b64 s[0:1], s[8:9], 1
	s_add_u32 s0, s7, s0
	s_addc_u32 s1, s14, s1
	v_lshlrev_b32_e32 v1, 1, v0
	v_mov_b32_e32 v3, s1
	v_add_co_u32_e64 v2, s[0:1], s0, v1
	v_addc_co_u32_e64 v3, s[0:1], 0, v3, s[0:1]
	flat_load_ushort v1, v[2:3]
	s_or_b64 exec, exec, s[4:5]
                                        ; implicit-def: $vgpr2
	s_and_saveexec_b64 s[4:5], vcc
	s_cbranch_execz .LBB395_9
.LBB395_13:
	s_cmp_eq_u64 s[10:11], 0
	s_mov_b64 s[6:7], 0
	s_cbranch_scc1 .LBB395_17
; %bb.14:
	v_pk_mov_b32 v[2:3], 0, 0
	v_pk_mov_b32 v[4:5], s[10:11], s[10:11] op_sel:[0,1]
	v_mov_b32_e32 v6, s3
.LBB395_15:                             ; =>This Inner Loop Header: Depth=1
	v_sub_co_u32_e64 v8, s[0:1], v4, v2
	v_subb_co_u32_e64 v9, s[0:1], v5, v3, s[0:1]
	v_lshrrev_b64 v[10:11], 1, v[8:9]
	v_add_co_u32_e64 v7, s[0:1], v10, v2
	v_lshrrev_b64 v[8:9], 6, v[8:9]
	v_addc_co_u32_e64 v10, s[0:1], v11, v3, s[0:1]
	v_add_co_u32_e64 v8, s[0:1], v7, v8
	v_addc_co_u32_e64 v9, s[0:1], v10, v9, s[0:1]
	v_lshlrev_b64 v[10:11], 1, v[8:9]
	v_add_co_u32_e64 v10, s[0:1], s2, v10
	v_addc_co_u32_e64 v11, s[0:1], v6, v11, s[0:1]
	global_load_ushort v7, v[10:11], off
	v_add_co_u32_e64 v10, s[0:1], 1, v8
	v_addc_co_u32_e64 v11, s[0:1], 0, v9, s[0:1]
	s_waitcnt vmcnt(0) lgkmcnt(0)
	v_cmp_gt_i16_e64 s[0:1], v7, v1
	v_cndmask_b32_e64 v5, v5, v9, s[0:1]
	v_cndmask_b32_e64 v4, v4, v8, s[0:1]
	;; [unrolled: 1-line block ×4, first 2 shown]
	v_cmp_ge_u64_e64 s[0:1], v[2:3], v[4:5]
	s_or_b64 s[6:7], s[0:1], s[6:7]
	s_andn2_b64 exec, exec, s[6:7]
	s_cbranch_execnz .LBB395_15
; %bb.16:
	s_or_b64 exec, exec, s[6:7]
	s_or_b64 exec, exec, s[4:5]
	s_and_saveexec_b64 s[0:1], vcc
	s_cbranch_execnz .LBB395_10
	s_branch .LBB395_11
.LBB395_17:
	v_mov_b32_e32 v2, 0
	s_or_b64 exec, exec, s[4:5]
	s_and_saveexec_b64 s[0:1], vcc
	s_cbranch_execnz .LBB395_10
	s_branch .LBB395_11
	.section	.rodata,"a",@progbits
	.p2align	6, 0x0
	.amdhsa_kernel _ZN7rocprim17ROCPRIM_400000_NS6detail17trampoline_kernelINS0_14default_configENS1_27upper_bound_config_selectorIsiEEZNS1_14transform_implILb0ES3_S5_N6thrust23THRUST_200600_302600_NS6detail15normal_iteratorINS8_10device_ptrIsEEEENSA_INSB_IiEEEEZNS1_13binary_searchIS3_S5_SD_SD_SF_NS1_21upper_bound_search_opENS9_16wrapped_functionINS0_4lessIvEEbEEEE10hipError_tPvRmT1_T2_T3_mmT4_T5_P12ihipStream_tbEUlRKsE_EESM_SQ_SR_mSS_SV_bEUlT_E_NS1_11comp_targetILNS1_3genE4ELNS1_11target_archE910ELNS1_3gpuE8ELNS1_3repE0EEENS1_30default_config_static_selectorELNS0_4arch9wavefront6targetE1EEEvSP_
		.amdhsa_group_segment_fixed_size 0
		.amdhsa_private_segment_fixed_size 0
		.amdhsa_kernarg_size 312
		.amdhsa_user_sgpr_count 6
		.amdhsa_user_sgpr_private_segment_buffer 1
		.amdhsa_user_sgpr_dispatch_ptr 0
		.amdhsa_user_sgpr_queue_ptr 0
		.amdhsa_user_sgpr_kernarg_segment_ptr 1
		.amdhsa_user_sgpr_dispatch_id 0
		.amdhsa_user_sgpr_flat_scratch_init 0
		.amdhsa_user_sgpr_kernarg_preload_length 0
		.amdhsa_user_sgpr_kernarg_preload_offset 0
		.amdhsa_user_sgpr_private_segment_size 0
		.amdhsa_uses_dynamic_stack 0
		.amdhsa_system_sgpr_private_segment_wavefront_offset 0
		.amdhsa_system_sgpr_workgroup_id_x 1
		.amdhsa_system_sgpr_workgroup_id_y 0
		.amdhsa_system_sgpr_workgroup_id_z 0
		.amdhsa_system_sgpr_workgroup_info 0
		.amdhsa_system_vgpr_workitem_id 0
		.amdhsa_next_free_vgpr 12
		.amdhsa_next_free_sgpr 20
		.amdhsa_accum_offset 12
		.amdhsa_reserve_vcc 1
		.amdhsa_reserve_flat_scratch 0
		.amdhsa_float_round_mode_32 0
		.amdhsa_float_round_mode_16_64 0
		.amdhsa_float_denorm_mode_32 3
		.amdhsa_float_denorm_mode_16_64 3
		.amdhsa_dx10_clamp 1
		.amdhsa_ieee_mode 1
		.amdhsa_fp16_overflow 0
		.amdhsa_tg_split 0
		.amdhsa_exception_fp_ieee_invalid_op 0
		.amdhsa_exception_fp_denorm_src 0
		.amdhsa_exception_fp_ieee_div_zero 0
		.amdhsa_exception_fp_ieee_overflow 0
		.amdhsa_exception_fp_ieee_underflow 0
		.amdhsa_exception_fp_ieee_inexact 0
		.amdhsa_exception_int_div_zero 0
	.end_amdhsa_kernel
	.section	.text._ZN7rocprim17ROCPRIM_400000_NS6detail17trampoline_kernelINS0_14default_configENS1_27upper_bound_config_selectorIsiEEZNS1_14transform_implILb0ES3_S5_N6thrust23THRUST_200600_302600_NS6detail15normal_iteratorINS8_10device_ptrIsEEEENSA_INSB_IiEEEEZNS1_13binary_searchIS3_S5_SD_SD_SF_NS1_21upper_bound_search_opENS9_16wrapped_functionINS0_4lessIvEEbEEEE10hipError_tPvRmT1_T2_T3_mmT4_T5_P12ihipStream_tbEUlRKsE_EESM_SQ_SR_mSS_SV_bEUlT_E_NS1_11comp_targetILNS1_3genE4ELNS1_11target_archE910ELNS1_3gpuE8ELNS1_3repE0EEENS1_30default_config_static_selectorELNS0_4arch9wavefront6targetE1EEEvSP_,"axG",@progbits,_ZN7rocprim17ROCPRIM_400000_NS6detail17trampoline_kernelINS0_14default_configENS1_27upper_bound_config_selectorIsiEEZNS1_14transform_implILb0ES3_S5_N6thrust23THRUST_200600_302600_NS6detail15normal_iteratorINS8_10device_ptrIsEEEENSA_INSB_IiEEEEZNS1_13binary_searchIS3_S5_SD_SD_SF_NS1_21upper_bound_search_opENS9_16wrapped_functionINS0_4lessIvEEbEEEE10hipError_tPvRmT1_T2_T3_mmT4_T5_P12ihipStream_tbEUlRKsE_EESM_SQ_SR_mSS_SV_bEUlT_E_NS1_11comp_targetILNS1_3genE4ELNS1_11target_archE910ELNS1_3gpuE8ELNS1_3repE0EEENS1_30default_config_static_selectorELNS0_4arch9wavefront6targetE1EEEvSP_,comdat
.Lfunc_end395:
	.size	_ZN7rocprim17ROCPRIM_400000_NS6detail17trampoline_kernelINS0_14default_configENS1_27upper_bound_config_selectorIsiEEZNS1_14transform_implILb0ES3_S5_N6thrust23THRUST_200600_302600_NS6detail15normal_iteratorINS8_10device_ptrIsEEEENSA_INSB_IiEEEEZNS1_13binary_searchIS3_S5_SD_SD_SF_NS1_21upper_bound_search_opENS9_16wrapped_functionINS0_4lessIvEEbEEEE10hipError_tPvRmT1_T2_T3_mmT4_T5_P12ihipStream_tbEUlRKsE_EESM_SQ_SR_mSS_SV_bEUlT_E_NS1_11comp_targetILNS1_3genE4ELNS1_11target_archE910ELNS1_3gpuE8ELNS1_3repE0EEENS1_30default_config_static_selectorELNS0_4arch9wavefront6targetE1EEEvSP_, .Lfunc_end395-_ZN7rocprim17ROCPRIM_400000_NS6detail17trampoline_kernelINS0_14default_configENS1_27upper_bound_config_selectorIsiEEZNS1_14transform_implILb0ES3_S5_N6thrust23THRUST_200600_302600_NS6detail15normal_iteratorINS8_10device_ptrIsEEEENSA_INSB_IiEEEEZNS1_13binary_searchIS3_S5_SD_SD_SF_NS1_21upper_bound_search_opENS9_16wrapped_functionINS0_4lessIvEEbEEEE10hipError_tPvRmT1_T2_T3_mmT4_T5_P12ihipStream_tbEUlRKsE_EESM_SQ_SR_mSS_SV_bEUlT_E_NS1_11comp_targetILNS1_3genE4ELNS1_11target_archE910ELNS1_3gpuE8ELNS1_3repE0EEENS1_30default_config_static_selectorELNS0_4arch9wavefront6targetE1EEEvSP_
                                        ; -- End function
	.section	.AMDGPU.csdata,"",@progbits
; Kernel info:
; codeLenInByte = 720
; NumSgprs: 24
; NumVgprs: 12
; NumAgprs: 0
; TotalNumVgprs: 12
; ScratchSize: 0
; MemoryBound: 0
; FloatMode: 240
; IeeeMode: 1
; LDSByteSize: 0 bytes/workgroup (compile time only)
; SGPRBlocks: 2
; VGPRBlocks: 1
; NumSGPRsForWavesPerEU: 24
; NumVGPRsForWavesPerEU: 12
; AccumOffset: 12
; Occupancy: 8
; WaveLimiterHint : 0
; COMPUTE_PGM_RSRC2:SCRATCH_EN: 0
; COMPUTE_PGM_RSRC2:USER_SGPR: 6
; COMPUTE_PGM_RSRC2:TRAP_HANDLER: 0
; COMPUTE_PGM_RSRC2:TGID_X_EN: 1
; COMPUTE_PGM_RSRC2:TGID_Y_EN: 0
; COMPUTE_PGM_RSRC2:TGID_Z_EN: 0
; COMPUTE_PGM_RSRC2:TIDIG_COMP_CNT: 0
; COMPUTE_PGM_RSRC3_GFX90A:ACCUM_OFFSET: 2
; COMPUTE_PGM_RSRC3_GFX90A:TG_SPLIT: 0
	.section	.text._ZN7rocprim17ROCPRIM_400000_NS6detail17trampoline_kernelINS0_14default_configENS1_27upper_bound_config_selectorIsiEEZNS1_14transform_implILb0ES3_S5_N6thrust23THRUST_200600_302600_NS6detail15normal_iteratorINS8_10device_ptrIsEEEENSA_INSB_IiEEEEZNS1_13binary_searchIS3_S5_SD_SD_SF_NS1_21upper_bound_search_opENS9_16wrapped_functionINS0_4lessIvEEbEEEE10hipError_tPvRmT1_T2_T3_mmT4_T5_P12ihipStream_tbEUlRKsE_EESM_SQ_SR_mSS_SV_bEUlT_E_NS1_11comp_targetILNS1_3genE3ELNS1_11target_archE908ELNS1_3gpuE7ELNS1_3repE0EEENS1_30default_config_static_selectorELNS0_4arch9wavefront6targetE1EEEvSP_,"axG",@progbits,_ZN7rocprim17ROCPRIM_400000_NS6detail17trampoline_kernelINS0_14default_configENS1_27upper_bound_config_selectorIsiEEZNS1_14transform_implILb0ES3_S5_N6thrust23THRUST_200600_302600_NS6detail15normal_iteratorINS8_10device_ptrIsEEEENSA_INSB_IiEEEEZNS1_13binary_searchIS3_S5_SD_SD_SF_NS1_21upper_bound_search_opENS9_16wrapped_functionINS0_4lessIvEEbEEEE10hipError_tPvRmT1_T2_T3_mmT4_T5_P12ihipStream_tbEUlRKsE_EESM_SQ_SR_mSS_SV_bEUlT_E_NS1_11comp_targetILNS1_3genE3ELNS1_11target_archE908ELNS1_3gpuE7ELNS1_3repE0EEENS1_30default_config_static_selectorELNS0_4arch9wavefront6targetE1EEEvSP_,comdat
	.protected	_ZN7rocprim17ROCPRIM_400000_NS6detail17trampoline_kernelINS0_14default_configENS1_27upper_bound_config_selectorIsiEEZNS1_14transform_implILb0ES3_S5_N6thrust23THRUST_200600_302600_NS6detail15normal_iteratorINS8_10device_ptrIsEEEENSA_INSB_IiEEEEZNS1_13binary_searchIS3_S5_SD_SD_SF_NS1_21upper_bound_search_opENS9_16wrapped_functionINS0_4lessIvEEbEEEE10hipError_tPvRmT1_T2_T3_mmT4_T5_P12ihipStream_tbEUlRKsE_EESM_SQ_SR_mSS_SV_bEUlT_E_NS1_11comp_targetILNS1_3genE3ELNS1_11target_archE908ELNS1_3gpuE7ELNS1_3repE0EEENS1_30default_config_static_selectorELNS0_4arch9wavefront6targetE1EEEvSP_ ; -- Begin function _ZN7rocprim17ROCPRIM_400000_NS6detail17trampoline_kernelINS0_14default_configENS1_27upper_bound_config_selectorIsiEEZNS1_14transform_implILb0ES3_S5_N6thrust23THRUST_200600_302600_NS6detail15normal_iteratorINS8_10device_ptrIsEEEENSA_INSB_IiEEEEZNS1_13binary_searchIS3_S5_SD_SD_SF_NS1_21upper_bound_search_opENS9_16wrapped_functionINS0_4lessIvEEbEEEE10hipError_tPvRmT1_T2_T3_mmT4_T5_P12ihipStream_tbEUlRKsE_EESM_SQ_SR_mSS_SV_bEUlT_E_NS1_11comp_targetILNS1_3genE3ELNS1_11target_archE908ELNS1_3gpuE7ELNS1_3repE0EEENS1_30default_config_static_selectorELNS0_4arch9wavefront6targetE1EEEvSP_
	.globl	_ZN7rocprim17ROCPRIM_400000_NS6detail17trampoline_kernelINS0_14default_configENS1_27upper_bound_config_selectorIsiEEZNS1_14transform_implILb0ES3_S5_N6thrust23THRUST_200600_302600_NS6detail15normal_iteratorINS8_10device_ptrIsEEEENSA_INSB_IiEEEEZNS1_13binary_searchIS3_S5_SD_SD_SF_NS1_21upper_bound_search_opENS9_16wrapped_functionINS0_4lessIvEEbEEEE10hipError_tPvRmT1_T2_T3_mmT4_T5_P12ihipStream_tbEUlRKsE_EESM_SQ_SR_mSS_SV_bEUlT_E_NS1_11comp_targetILNS1_3genE3ELNS1_11target_archE908ELNS1_3gpuE7ELNS1_3repE0EEENS1_30default_config_static_selectorELNS0_4arch9wavefront6targetE1EEEvSP_
	.p2align	8
	.type	_ZN7rocprim17ROCPRIM_400000_NS6detail17trampoline_kernelINS0_14default_configENS1_27upper_bound_config_selectorIsiEEZNS1_14transform_implILb0ES3_S5_N6thrust23THRUST_200600_302600_NS6detail15normal_iteratorINS8_10device_ptrIsEEEENSA_INSB_IiEEEEZNS1_13binary_searchIS3_S5_SD_SD_SF_NS1_21upper_bound_search_opENS9_16wrapped_functionINS0_4lessIvEEbEEEE10hipError_tPvRmT1_T2_T3_mmT4_T5_P12ihipStream_tbEUlRKsE_EESM_SQ_SR_mSS_SV_bEUlT_E_NS1_11comp_targetILNS1_3genE3ELNS1_11target_archE908ELNS1_3gpuE7ELNS1_3repE0EEENS1_30default_config_static_selectorELNS0_4arch9wavefront6targetE1EEEvSP_,@function
_ZN7rocprim17ROCPRIM_400000_NS6detail17trampoline_kernelINS0_14default_configENS1_27upper_bound_config_selectorIsiEEZNS1_14transform_implILb0ES3_S5_N6thrust23THRUST_200600_302600_NS6detail15normal_iteratorINS8_10device_ptrIsEEEENSA_INSB_IiEEEEZNS1_13binary_searchIS3_S5_SD_SD_SF_NS1_21upper_bound_search_opENS9_16wrapped_functionINS0_4lessIvEEbEEEE10hipError_tPvRmT1_T2_T3_mmT4_T5_P12ihipStream_tbEUlRKsE_EESM_SQ_SR_mSS_SV_bEUlT_E_NS1_11comp_targetILNS1_3genE3ELNS1_11target_archE908ELNS1_3gpuE7ELNS1_3repE0EEENS1_30default_config_static_selectorELNS0_4arch9wavefront6targetE1EEEvSP_: ; @_ZN7rocprim17ROCPRIM_400000_NS6detail17trampoline_kernelINS0_14default_configENS1_27upper_bound_config_selectorIsiEEZNS1_14transform_implILb0ES3_S5_N6thrust23THRUST_200600_302600_NS6detail15normal_iteratorINS8_10device_ptrIsEEEENSA_INSB_IiEEEEZNS1_13binary_searchIS3_S5_SD_SD_SF_NS1_21upper_bound_search_opENS9_16wrapped_functionINS0_4lessIvEEbEEEE10hipError_tPvRmT1_T2_T3_mmT4_T5_P12ihipStream_tbEUlRKsE_EESM_SQ_SR_mSS_SV_bEUlT_E_NS1_11comp_targetILNS1_3genE3ELNS1_11target_archE908ELNS1_3gpuE7ELNS1_3repE0EEENS1_30default_config_static_selectorELNS0_4arch9wavefront6targetE1EEEvSP_
; %bb.0:
	.section	.rodata,"a",@progbits
	.p2align	6, 0x0
	.amdhsa_kernel _ZN7rocprim17ROCPRIM_400000_NS6detail17trampoline_kernelINS0_14default_configENS1_27upper_bound_config_selectorIsiEEZNS1_14transform_implILb0ES3_S5_N6thrust23THRUST_200600_302600_NS6detail15normal_iteratorINS8_10device_ptrIsEEEENSA_INSB_IiEEEEZNS1_13binary_searchIS3_S5_SD_SD_SF_NS1_21upper_bound_search_opENS9_16wrapped_functionINS0_4lessIvEEbEEEE10hipError_tPvRmT1_T2_T3_mmT4_T5_P12ihipStream_tbEUlRKsE_EESM_SQ_SR_mSS_SV_bEUlT_E_NS1_11comp_targetILNS1_3genE3ELNS1_11target_archE908ELNS1_3gpuE7ELNS1_3repE0EEENS1_30default_config_static_selectorELNS0_4arch9wavefront6targetE1EEEvSP_
		.amdhsa_group_segment_fixed_size 0
		.amdhsa_private_segment_fixed_size 0
		.amdhsa_kernarg_size 56
		.amdhsa_user_sgpr_count 6
		.amdhsa_user_sgpr_private_segment_buffer 1
		.amdhsa_user_sgpr_dispatch_ptr 0
		.amdhsa_user_sgpr_queue_ptr 0
		.amdhsa_user_sgpr_kernarg_segment_ptr 1
		.amdhsa_user_sgpr_dispatch_id 0
		.amdhsa_user_sgpr_flat_scratch_init 0
		.amdhsa_user_sgpr_kernarg_preload_length 0
		.amdhsa_user_sgpr_kernarg_preload_offset 0
		.amdhsa_user_sgpr_private_segment_size 0
		.amdhsa_uses_dynamic_stack 0
		.amdhsa_system_sgpr_private_segment_wavefront_offset 0
		.amdhsa_system_sgpr_workgroup_id_x 1
		.amdhsa_system_sgpr_workgroup_id_y 0
		.amdhsa_system_sgpr_workgroup_id_z 0
		.amdhsa_system_sgpr_workgroup_info 0
		.amdhsa_system_vgpr_workitem_id 0
		.amdhsa_next_free_vgpr 1
		.amdhsa_next_free_sgpr 0
		.amdhsa_accum_offset 4
		.amdhsa_reserve_vcc 0
		.amdhsa_reserve_flat_scratch 0
		.amdhsa_float_round_mode_32 0
		.amdhsa_float_round_mode_16_64 0
		.amdhsa_float_denorm_mode_32 3
		.amdhsa_float_denorm_mode_16_64 3
		.amdhsa_dx10_clamp 1
		.amdhsa_ieee_mode 1
		.amdhsa_fp16_overflow 0
		.amdhsa_tg_split 0
		.amdhsa_exception_fp_ieee_invalid_op 0
		.amdhsa_exception_fp_denorm_src 0
		.amdhsa_exception_fp_ieee_div_zero 0
		.amdhsa_exception_fp_ieee_overflow 0
		.amdhsa_exception_fp_ieee_underflow 0
		.amdhsa_exception_fp_ieee_inexact 0
		.amdhsa_exception_int_div_zero 0
	.end_amdhsa_kernel
	.section	.text._ZN7rocprim17ROCPRIM_400000_NS6detail17trampoline_kernelINS0_14default_configENS1_27upper_bound_config_selectorIsiEEZNS1_14transform_implILb0ES3_S5_N6thrust23THRUST_200600_302600_NS6detail15normal_iteratorINS8_10device_ptrIsEEEENSA_INSB_IiEEEEZNS1_13binary_searchIS3_S5_SD_SD_SF_NS1_21upper_bound_search_opENS9_16wrapped_functionINS0_4lessIvEEbEEEE10hipError_tPvRmT1_T2_T3_mmT4_T5_P12ihipStream_tbEUlRKsE_EESM_SQ_SR_mSS_SV_bEUlT_E_NS1_11comp_targetILNS1_3genE3ELNS1_11target_archE908ELNS1_3gpuE7ELNS1_3repE0EEENS1_30default_config_static_selectorELNS0_4arch9wavefront6targetE1EEEvSP_,"axG",@progbits,_ZN7rocprim17ROCPRIM_400000_NS6detail17trampoline_kernelINS0_14default_configENS1_27upper_bound_config_selectorIsiEEZNS1_14transform_implILb0ES3_S5_N6thrust23THRUST_200600_302600_NS6detail15normal_iteratorINS8_10device_ptrIsEEEENSA_INSB_IiEEEEZNS1_13binary_searchIS3_S5_SD_SD_SF_NS1_21upper_bound_search_opENS9_16wrapped_functionINS0_4lessIvEEbEEEE10hipError_tPvRmT1_T2_T3_mmT4_T5_P12ihipStream_tbEUlRKsE_EESM_SQ_SR_mSS_SV_bEUlT_E_NS1_11comp_targetILNS1_3genE3ELNS1_11target_archE908ELNS1_3gpuE7ELNS1_3repE0EEENS1_30default_config_static_selectorELNS0_4arch9wavefront6targetE1EEEvSP_,comdat
.Lfunc_end396:
	.size	_ZN7rocprim17ROCPRIM_400000_NS6detail17trampoline_kernelINS0_14default_configENS1_27upper_bound_config_selectorIsiEEZNS1_14transform_implILb0ES3_S5_N6thrust23THRUST_200600_302600_NS6detail15normal_iteratorINS8_10device_ptrIsEEEENSA_INSB_IiEEEEZNS1_13binary_searchIS3_S5_SD_SD_SF_NS1_21upper_bound_search_opENS9_16wrapped_functionINS0_4lessIvEEbEEEE10hipError_tPvRmT1_T2_T3_mmT4_T5_P12ihipStream_tbEUlRKsE_EESM_SQ_SR_mSS_SV_bEUlT_E_NS1_11comp_targetILNS1_3genE3ELNS1_11target_archE908ELNS1_3gpuE7ELNS1_3repE0EEENS1_30default_config_static_selectorELNS0_4arch9wavefront6targetE1EEEvSP_, .Lfunc_end396-_ZN7rocprim17ROCPRIM_400000_NS6detail17trampoline_kernelINS0_14default_configENS1_27upper_bound_config_selectorIsiEEZNS1_14transform_implILb0ES3_S5_N6thrust23THRUST_200600_302600_NS6detail15normal_iteratorINS8_10device_ptrIsEEEENSA_INSB_IiEEEEZNS1_13binary_searchIS3_S5_SD_SD_SF_NS1_21upper_bound_search_opENS9_16wrapped_functionINS0_4lessIvEEbEEEE10hipError_tPvRmT1_T2_T3_mmT4_T5_P12ihipStream_tbEUlRKsE_EESM_SQ_SR_mSS_SV_bEUlT_E_NS1_11comp_targetILNS1_3genE3ELNS1_11target_archE908ELNS1_3gpuE7ELNS1_3repE0EEENS1_30default_config_static_selectorELNS0_4arch9wavefront6targetE1EEEvSP_
                                        ; -- End function
	.section	.AMDGPU.csdata,"",@progbits
; Kernel info:
; codeLenInByte = 0
; NumSgprs: 4
; NumVgprs: 0
; NumAgprs: 0
; TotalNumVgprs: 0
; ScratchSize: 0
; MemoryBound: 0
; FloatMode: 240
; IeeeMode: 1
; LDSByteSize: 0 bytes/workgroup (compile time only)
; SGPRBlocks: 0
; VGPRBlocks: 0
; NumSGPRsForWavesPerEU: 4
; NumVGPRsForWavesPerEU: 1
; AccumOffset: 4
; Occupancy: 8
; WaveLimiterHint : 0
; COMPUTE_PGM_RSRC2:SCRATCH_EN: 0
; COMPUTE_PGM_RSRC2:USER_SGPR: 6
; COMPUTE_PGM_RSRC2:TRAP_HANDLER: 0
; COMPUTE_PGM_RSRC2:TGID_X_EN: 1
; COMPUTE_PGM_RSRC2:TGID_Y_EN: 0
; COMPUTE_PGM_RSRC2:TGID_Z_EN: 0
; COMPUTE_PGM_RSRC2:TIDIG_COMP_CNT: 0
; COMPUTE_PGM_RSRC3_GFX90A:ACCUM_OFFSET: 0
; COMPUTE_PGM_RSRC3_GFX90A:TG_SPLIT: 0
	.section	.text._ZN7rocprim17ROCPRIM_400000_NS6detail17trampoline_kernelINS0_14default_configENS1_27upper_bound_config_selectorIsiEEZNS1_14transform_implILb0ES3_S5_N6thrust23THRUST_200600_302600_NS6detail15normal_iteratorINS8_10device_ptrIsEEEENSA_INSB_IiEEEEZNS1_13binary_searchIS3_S5_SD_SD_SF_NS1_21upper_bound_search_opENS9_16wrapped_functionINS0_4lessIvEEbEEEE10hipError_tPvRmT1_T2_T3_mmT4_T5_P12ihipStream_tbEUlRKsE_EESM_SQ_SR_mSS_SV_bEUlT_E_NS1_11comp_targetILNS1_3genE2ELNS1_11target_archE906ELNS1_3gpuE6ELNS1_3repE0EEENS1_30default_config_static_selectorELNS0_4arch9wavefront6targetE1EEEvSP_,"axG",@progbits,_ZN7rocprim17ROCPRIM_400000_NS6detail17trampoline_kernelINS0_14default_configENS1_27upper_bound_config_selectorIsiEEZNS1_14transform_implILb0ES3_S5_N6thrust23THRUST_200600_302600_NS6detail15normal_iteratorINS8_10device_ptrIsEEEENSA_INSB_IiEEEEZNS1_13binary_searchIS3_S5_SD_SD_SF_NS1_21upper_bound_search_opENS9_16wrapped_functionINS0_4lessIvEEbEEEE10hipError_tPvRmT1_T2_T3_mmT4_T5_P12ihipStream_tbEUlRKsE_EESM_SQ_SR_mSS_SV_bEUlT_E_NS1_11comp_targetILNS1_3genE2ELNS1_11target_archE906ELNS1_3gpuE6ELNS1_3repE0EEENS1_30default_config_static_selectorELNS0_4arch9wavefront6targetE1EEEvSP_,comdat
	.protected	_ZN7rocprim17ROCPRIM_400000_NS6detail17trampoline_kernelINS0_14default_configENS1_27upper_bound_config_selectorIsiEEZNS1_14transform_implILb0ES3_S5_N6thrust23THRUST_200600_302600_NS6detail15normal_iteratorINS8_10device_ptrIsEEEENSA_INSB_IiEEEEZNS1_13binary_searchIS3_S5_SD_SD_SF_NS1_21upper_bound_search_opENS9_16wrapped_functionINS0_4lessIvEEbEEEE10hipError_tPvRmT1_T2_T3_mmT4_T5_P12ihipStream_tbEUlRKsE_EESM_SQ_SR_mSS_SV_bEUlT_E_NS1_11comp_targetILNS1_3genE2ELNS1_11target_archE906ELNS1_3gpuE6ELNS1_3repE0EEENS1_30default_config_static_selectorELNS0_4arch9wavefront6targetE1EEEvSP_ ; -- Begin function _ZN7rocprim17ROCPRIM_400000_NS6detail17trampoline_kernelINS0_14default_configENS1_27upper_bound_config_selectorIsiEEZNS1_14transform_implILb0ES3_S5_N6thrust23THRUST_200600_302600_NS6detail15normal_iteratorINS8_10device_ptrIsEEEENSA_INSB_IiEEEEZNS1_13binary_searchIS3_S5_SD_SD_SF_NS1_21upper_bound_search_opENS9_16wrapped_functionINS0_4lessIvEEbEEEE10hipError_tPvRmT1_T2_T3_mmT4_T5_P12ihipStream_tbEUlRKsE_EESM_SQ_SR_mSS_SV_bEUlT_E_NS1_11comp_targetILNS1_3genE2ELNS1_11target_archE906ELNS1_3gpuE6ELNS1_3repE0EEENS1_30default_config_static_selectorELNS0_4arch9wavefront6targetE1EEEvSP_
	.globl	_ZN7rocprim17ROCPRIM_400000_NS6detail17trampoline_kernelINS0_14default_configENS1_27upper_bound_config_selectorIsiEEZNS1_14transform_implILb0ES3_S5_N6thrust23THRUST_200600_302600_NS6detail15normal_iteratorINS8_10device_ptrIsEEEENSA_INSB_IiEEEEZNS1_13binary_searchIS3_S5_SD_SD_SF_NS1_21upper_bound_search_opENS9_16wrapped_functionINS0_4lessIvEEbEEEE10hipError_tPvRmT1_T2_T3_mmT4_T5_P12ihipStream_tbEUlRKsE_EESM_SQ_SR_mSS_SV_bEUlT_E_NS1_11comp_targetILNS1_3genE2ELNS1_11target_archE906ELNS1_3gpuE6ELNS1_3repE0EEENS1_30default_config_static_selectorELNS0_4arch9wavefront6targetE1EEEvSP_
	.p2align	8
	.type	_ZN7rocprim17ROCPRIM_400000_NS6detail17trampoline_kernelINS0_14default_configENS1_27upper_bound_config_selectorIsiEEZNS1_14transform_implILb0ES3_S5_N6thrust23THRUST_200600_302600_NS6detail15normal_iteratorINS8_10device_ptrIsEEEENSA_INSB_IiEEEEZNS1_13binary_searchIS3_S5_SD_SD_SF_NS1_21upper_bound_search_opENS9_16wrapped_functionINS0_4lessIvEEbEEEE10hipError_tPvRmT1_T2_T3_mmT4_T5_P12ihipStream_tbEUlRKsE_EESM_SQ_SR_mSS_SV_bEUlT_E_NS1_11comp_targetILNS1_3genE2ELNS1_11target_archE906ELNS1_3gpuE6ELNS1_3repE0EEENS1_30default_config_static_selectorELNS0_4arch9wavefront6targetE1EEEvSP_,@function
_ZN7rocprim17ROCPRIM_400000_NS6detail17trampoline_kernelINS0_14default_configENS1_27upper_bound_config_selectorIsiEEZNS1_14transform_implILb0ES3_S5_N6thrust23THRUST_200600_302600_NS6detail15normal_iteratorINS8_10device_ptrIsEEEENSA_INSB_IiEEEEZNS1_13binary_searchIS3_S5_SD_SD_SF_NS1_21upper_bound_search_opENS9_16wrapped_functionINS0_4lessIvEEbEEEE10hipError_tPvRmT1_T2_T3_mmT4_T5_P12ihipStream_tbEUlRKsE_EESM_SQ_SR_mSS_SV_bEUlT_E_NS1_11comp_targetILNS1_3genE2ELNS1_11target_archE906ELNS1_3gpuE6ELNS1_3repE0EEENS1_30default_config_static_selectorELNS0_4arch9wavefront6targetE1EEEvSP_: ; @_ZN7rocprim17ROCPRIM_400000_NS6detail17trampoline_kernelINS0_14default_configENS1_27upper_bound_config_selectorIsiEEZNS1_14transform_implILb0ES3_S5_N6thrust23THRUST_200600_302600_NS6detail15normal_iteratorINS8_10device_ptrIsEEEENSA_INSB_IiEEEEZNS1_13binary_searchIS3_S5_SD_SD_SF_NS1_21upper_bound_search_opENS9_16wrapped_functionINS0_4lessIvEEbEEEE10hipError_tPvRmT1_T2_T3_mmT4_T5_P12ihipStream_tbEUlRKsE_EESM_SQ_SR_mSS_SV_bEUlT_E_NS1_11comp_targetILNS1_3genE2ELNS1_11target_archE906ELNS1_3gpuE6ELNS1_3repE0EEENS1_30default_config_static_selectorELNS0_4arch9wavefront6targetE1EEEvSP_
; %bb.0:
	.section	.rodata,"a",@progbits
	.p2align	6, 0x0
	.amdhsa_kernel _ZN7rocprim17ROCPRIM_400000_NS6detail17trampoline_kernelINS0_14default_configENS1_27upper_bound_config_selectorIsiEEZNS1_14transform_implILb0ES3_S5_N6thrust23THRUST_200600_302600_NS6detail15normal_iteratorINS8_10device_ptrIsEEEENSA_INSB_IiEEEEZNS1_13binary_searchIS3_S5_SD_SD_SF_NS1_21upper_bound_search_opENS9_16wrapped_functionINS0_4lessIvEEbEEEE10hipError_tPvRmT1_T2_T3_mmT4_T5_P12ihipStream_tbEUlRKsE_EESM_SQ_SR_mSS_SV_bEUlT_E_NS1_11comp_targetILNS1_3genE2ELNS1_11target_archE906ELNS1_3gpuE6ELNS1_3repE0EEENS1_30default_config_static_selectorELNS0_4arch9wavefront6targetE1EEEvSP_
		.amdhsa_group_segment_fixed_size 0
		.amdhsa_private_segment_fixed_size 0
		.amdhsa_kernarg_size 56
		.amdhsa_user_sgpr_count 6
		.amdhsa_user_sgpr_private_segment_buffer 1
		.amdhsa_user_sgpr_dispatch_ptr 0
		.amdhsa_user_sgpr_queue_ptr 0
		.amdhsa_user_sgpr_kernarg_segment_ptr 1
		.amdhsa_user_sgpr_dispatch_id 0
		.amdhsa_user_sgpr_flat_scratch_init 0
		.amdhsa_user_sgpr_kernarg_preload_length 0
		.amdhsa_user_sgpr_kernarg_preload_offset 0
		.amdhsa_user_sgpr_private_segment_size 0
		.amdhsa_uses_dynamic_stack 0
		.amdhsa_system_sgpr_private_segment_wavefront_offset 0
		.amdhsa_system_sgpr_workgroup_id_x 1
		.amdhsa_system_sgpr_workgroup_id_y 0
		.amdhsa_system_sgpr_workgroup_id_z 0
		.amdhsa_system_sgpr_workgroup_info 0
		.amdhsa_system_vgpr_workitem_id 0
		.amdhsa_next_free_vgpr 1
		.amdhsa_next_free_sgpr 0
		.amdhsa_accum_offset 4
		.amdhsa_reserve_vcc 0
		.amdhsa_reserve_flat_scratch 0
		.amdhsa_float_round_mode_32 0
		.amdhsa_float_round_mode_16_64 0
		.amdhsa_float_denorm_mode_32 3
		.amdhsa_float_denorm_mode_16_64 3
		.amdhsa_dx10_clamp 1
		.amdhsa_ieee_mode 1
		.amdhsa_fp16_overflow 0
		.amdhsa_tg_split 0
		.amdhsa_exception_fp_ieee_invalid_op 0
		.amdhsa_exception_fp_denorm_src 0
		.amdhsa_exception_fp_ieee_div_zero 0
		.amdhsa_exception_fp_ieee_overflow 0
		.amdhsa_exception_fp_ieee_underflow 0
		.amdhsa_exception_fp_ieee_inexact 0
		.amdhsa_exception_int_div_zero 0
	.end_amdhsa_kernel
	.section	.text._ZN7rocprim17ROCPRIM_400000_NS6detail17trampoline_kernelINS0_14default_configENS1_27upper_bound_config_selectorIsiEEZNS1_14transform_implILb0ES3_S5_N6thrust23THRUST_200600_302600_NS6detail15normal_iteratorINS8_10device_ptrIsEEEENSA_INSB_IiEEEEZNS1_13binary_searchIS3_S5_SD_SD_SF_NS1_21upper_bound_search_opENS9_16wrapped_functionINS0_4lessIvEEbEEEE10hipError_tPvRmT1_T2_T3_mmT4_T5_P12ihipStream_tbEUlRKsE_EESM_SQ_SR_mSS_SV_bEUlT_E_NS1_11comp_targetILNS1_3genE2ELNS1_11target_archE906ELNS1_3gpuE6ELNS1_3repE0EEENS1_30default_config_static_selectorELNS0_4arch9wavefront6targetE1EEEvSP_,"axG",@progbits,_ZN7rocprim17ROCPRIM_400000_NS6detail17trampoline_kernelINS0_14default_configENS1_27upper_bound_config_selectorIsiEEZNS1_14transform_implILb0ES3_S5_N6thrust23THRUST_200600_302600_NS6detail15normal_iteratorINS8_10device_ptrIsEEEENSA_INSB_IiEEEEZNS1_13binary_searchIS3_S5_SD_SD_SF_NS1_21upper_bound_search_opENS9_16wrapped_functionINS0_4lessIvEEbEEEE10hipError_tPvRmT1_T2_T3_mmT4_T5_P12ihipStream_tbEUlRKsE_EESM_SQ_SR_mSS_SV_bEUlT_E_NS1_11comp_targetILNS1_3genE2ELNS1_11target_archE906ELNS1_3gpuE6ELNS1_3repE0EEENS1_30default_config_static_selectorELNS0_4arch9wavefront6targetE1EEEvSP_,comdat
.Lfunc_end397:
	.size	_ZN7rocprim17ROCPRIM_400000_NS6detail17trampoline_kernelINS0_14default_configENS1_27upper_bound_config_selectorIsiEEZNS1_14transform_implILb0ES3_S5_N6thrust23THRUST_200600_302600_NS6detail15normal_iteratorINS8_10device_ptrIsEEEENSA_INSB_IiEEEEZNS1_13binary_searchIS3_S5_SD_SD_SF_NS1_21upper_bound_search_opENS9_16wrapped_functionINS0_4lessIvEEbEEEE10hipError_tPvRmT1_T2_T3_mmT4_T5_P12ihipStream_tbEUlRKsE_EESM_SQ_SR_mSS_SV_bEUlT_E_NS1_11comp_targetILNS1_3genE2ELNS1_11target_archE906ELNS1_3gpuE6ELNS1_3repE0EEENS1_30default_config_static_selectorELNS0_4arch9wavefront6targetE1EEEvSP_, .Lfunc_end397-_ZN7rocprim17ROCPRIM_400000_NS6detail17trampoline_kernelINS0_14default_configENS1_27upper_bound_config_selectorIsiEEZNS1_14transform_implILb0ES3_S5_N6thrust23THRUST_200600_302600_NS6detail15normal_iteratorINS8_10device_ptrIsEEEENSA_INSB_IiEEEEZNS1_13binary_searchIS3_S5_SD_SD_SF_NS1_21upper_bound_search_opENS9_16wrapped_functionINS0_4lessIvEEbEEEE10hipError_tPvRmT1_T2_T3_mmT4_T5_P12ihipStream_tbEUlRKsE_EESM_SQ_SR_mSS_SV_bEUlT_E_NS1_11comp_targetILNS1_3genE2ELNS1_11target_archE906ELNS1_3gpuE6ELNS1_3repE0EEENS1_30default_config_static_selectorELNS0_4arch9wavefront6targetE1EEEvSP_
                                        ; -- End function
	.section	.AMDGPU.csdata,"",@progbits
; Kernel info:
; codeLenInByte = 0
; NumSgprs: 4
; NumVgprs: 0
; NumAgprs: 0
; TotalNumVgprs: 0
; ScratchSize: 0
; MemoryBound: 0
; FloatMode: 240
; IeeeMode: 1
; LDSByteSize: 0 bytes/workgroup (compile time only)
; SGPRBlocks: 0
; VGPRBlocks: 0
; NumSGPRsForWavesPerEU: 4
; NumVGPRsForWavesPerEU: 1
; AccumOffset: 4
; Occupancy: 8
; WaveLimiterHint : 0
; COMPUTE_PGM_RSRC2:SCRATCH_EN: 0
; COMPUTE_PGM_RSRC2:USER_SGPR: 6
; COMPUTE_PGM_RSRC2:TRAP_HANDLER: 0
; COMPUTE_PGM_RSRC2:TGID_X_EN: 1
; COMPUTE_PGM_RSRC2:TGID_Y_EN: 0
; COMPUTE_PGM_RSRC2:TGID_Z_EN: 0
; COMPUTE_PGM_RSRC2:TIDIG_COMP_CNT: 0
; COMPUTE_PGM_RSRC3_GFX90A:ACCUM_OFFSET: 0
; COMPUTE_PGM_RSRC3_GFX90A:TG_SPLIT: 0
	.section	.text._ZN7rocprim17ROCPRIM_400000_NS6detail17trampoline_kernelINS0_14default_configENS1_27upper_bound_config_selectorIsiEEZNS1_14transform_implILb0ES3_S5_N6thrust23THRUST_200600_302600_NS6detail15normal_iteratorINS8_10device_ptrIsEEEENSA_INSB_IiEEEEZNS1_13binary_searchIS3_S5_SD_SD_SF_NS1_21upper_bound_search_opENS9_16wrapped_functionINS0_4lessIvEEbEEEE10hipError_tPvRmT1_T2_T3_mmT4_T5_P12ihipStream_tbEUlRKsE_EESM_SQ_SR_mSS_SV_bEUlT_E_NS1_11comp_targetILNS1_3genE10ELNS1_11target_archE1201ELNS1_3gpuE5ELNS1_3repE0EEENS1_30default_config_static_selectorELNS0_4arch9wavefront6targetE1EEEvSP_,"axG",@progbits,_ZN7rocprim17ROCPRIM_400000_NS6detail17trampoline_kernelINS0_14default_configENS1_27upper_bound_config_selectorIsiEEZNS1_14transform_implILb0ES3_S5_N6thrust23THRUST_200600_302600_NS6detail15normal_iteratorINS8_10device_ptrIsEEEENSA_INSB_IiEEEEZNS1_13binary_searchIS3_S5_SD_SD_SF_NS1_21upper_bound_search_opENS9_16wrapped_functionINS0_4lessIvEEbEEEE10hipError_tPvRmT1_T2_T3_mmT4_T5_P12ihipStream_tbEUlRKsE_EESM_SQ_SR_mSS_SV_bEUlT_E_NS1_11comp_targetILNS1_3genE10ELNS1_11target_archE1201ELNS1_3gpuE5ELNS1_3repE0EEENS1_30default_config_static_selectorELNS0_4arch9wavefront6targetE1EEEvSP_,comdat
	.protected	_ZN7rocprim17ROCPRIM_400000_NS6detail17trampoline_kernelINS0_14default_configENS1_27upper_bound_config_selectorIsiEEZNS1_14transform_implILb0ES3_S5_N6thrust23THRUST_200600_302600_NS6detail15normal_iteratorINS8_10device_ptrIsEEEENSA_INSB_IiEEEEZNS1_13binary_searchIS3_S5_SD_SD_SF_NS1_21upper_bound_search_opENS9_16wrapped_functionINS0_4lessIvEEbEEEE10hipError_tPvRmT1_T2_T3_mmT4_T5_P12ihipStream_tbEUlRKsE_EESM_SQ_SR_mSS_SV_bEUlT_E_NS1_11comp_targetILNS1_3genE10ELNS1_11target_archE1201ELNS1_3gpuE5ELNS1_3repE0EEENS1_30default_config_static_selectorELNS0_4arch9wavefront6targetE1EEEvSP_ ; -- Begin function _ZN7rocprim17ROCPRIM_400000_NS6detail17trampoline_kernelINS0_14default_configENS1_27upper_bound_config_selectorIsiEEZNS1_14transform_implILb0ES3_S5_N6thrust23THRUST_200600_302600_NS6detail15normal_iteratorINS8_10device_ptrIsEEEENSA_INSB_IiEEEEZNS1_13binary_searchIS3_S5_SD_SD_SF_NS1_21upper_bound_search_opENS9_16wrapped_functionINS0_4lessIvEEbEEEE10hipError_tPvRmT1_T2_T3_mmT4_T5_P12ihipStream_tbEUlRKsE_EESM_SQ_SR_mSS_SV_bEUlT_E_NS1_11comp_targetILNS1_3genE10ELNS1_11target_archE1201ELNS1_3gpuE5ELNS1_3repE0EEENS1_30default_config_static_selectorELNS0_4arch9wavefront6targetE1EEEvSP_
	.globl	_ZN7rocprim17ROCPRIM_400000_NS6detail17trampoline_kernelINS0_14default_configENS1_27upper_bound_config_selectorIsiEEZNS1_14transform_implILb0ES3_S5_N6thrust23THRUST_200600_302600_NS6detail15normal_iteratorINS8_10device_ptrIsEEEENSA_INSB_IiEEEEZNS1_13binary_searchIS3_S5_SD_SD_SF_NS1_21upper_bound_search_opENS9_16wrapped_functionINS0_4lessIvEEbEEEE10hipError_tPvRmT1_T2_T3_mmT4_T5_P12ihipStream_tbEUlRKsE_EESM_SQ_SR_mSS_SV_bEUlT_E_NS1_11comp_targetILNS1_3genE10ELNS1_11target_archE1201ELNS1_3gpuE5ELNS1_3repE0EEENS1_30default_config_static_selectorELNS0_4arch9wavefront6targetE1EEEvSP_
	.p2align	8
	.type	_ZN7rocprim17ROCPRIM_400000_NS6detail17trampoline_kernelINS0_14default_configENS1_27upper_bound_config_selectorIsiEEZNS1_14transform_implILb0ES3_S5_N6thrust23THRUST_200600_302600_NS6detail15normal_iteratorINS8_10device_ptrIsEEEENSA_INSB_IiEEEEZNS1_13binary_searchIS3_S5_SD_SD_SF_NS1_21upper_bound_search_opENS9_16wrapped_functionINS0_4lessIvEEbEEEE10hipError_tPvRmT1_T2_T3_mmT4_T5_P12ihipStream_tbEUlRKsE_EESM_SQ_SR_mSS_SV_bEUlT_E_NS1_11comp_targetILNS1_3genE10ELNS1_11target_archE1201ELNS1_3gpuE5ELNS1_3repE0EEENS1_30default_config_static_selectorELNS0_4arch9wavefront6targetE1EEEvSP_,@function
_ZN7rocprim17ROCPRIM_400000_NS6detail17trampoline_kernelINS0_14default_configENS1_27upper_bound_config_selectorIsiEEZNS1_14transform_implILb0ES3_S5_N6thrust23THRUST_200600_302600_NS6detail15normal_iteratorINS8_10device_ptrIsEEEENSA_INSB_IiEEEEZNS1_13binary_searchIS3_S5_SD_SD_SF_NS1_21upper_bound_search_opENS9_16wrapped_functionINS0_4lessIvEEbEEEE10hipError_tPvRmT1_T2_T3_mmT4_T5_P12ihipStream_tbEUlRKsE_EESM_SQ_SR_mSS_SV_bEUlT_E_NS1_11comp_targetILNS1_3genE10ELNS1_11target_archE1201ELNS1_3gpuE5ELNS1_3repE0EEENS1_30default_config_static_selectorELNS0_4arch9wavefront6targetE1EEEvSP_: ; @_ZN7rocprim17ROCPRIM_400000_NS6detail17trampoline_kernelINS0_14default_configENS1_27upper_bound_config_selectorIsiEEZNS1_14transform_implILb0ES3_S5_N6thrust23THRUST_200600_302600_NS6detail15normal_iteratorINS8_10device_ptrIsEEEENSA_INSB_IiEEEEZNS1_13binary_searchIS3_S5_SD_SD_SF_NS1_21upper_bound_search_opENS9_16wrapped_functionINS0_4lessIvEEbEEEE10hipError_tPvRmT1_T2_T3_mmT4_T5_P12ihipStream_tbEUlRKsE_EESM_SQ_SR_mSS_SV_bEUlT_E_NS1_11comp_targetILNS1_3genE10ELNS1_11target_archE1201ELNS1_3gpuE5ELNS1_3repE0EEENS1_30default_config_static_selectorELNS0_4arch9wavefront6targetE1EEEvSP_
; %bb.0:
	.section	.rodata,"a",@progbits
	.p2align	6, 0x0
	.amdhsa_kernel _ZN7rocprim17ROCPRIM_400000_NS6detail17trampoline_kernelINS0_14default_configENS1_27upper_bound_config_selectorIsiEEZNS1_14transform_implILb0ES3_S5_N6thrust23THRUST_200600_302600_NS6detail15normal_iteratorINS8_10device_ptrIsEEEENSA_INSB_IiEEEEZNS1_13binary_searchIS3_S5_SD_SD_SF_NS1_21upper_bound_search_opENS9_16wrapped_functionINS0_4lessIvEEbEEEE10hipError_tPvRmT1_T2_T3_mmT4_T5_P12ihipStream_tbEUlRKsE_EESM_SQ_SR_mSS_SV_bEUlT_E_NS1_11comp_targetILNS1_3genE10ELNS1_11target_archE1201ELNS1_3gpuE5ELNS1_3repE0EEENS1_30default_config_static_selectorELNS0_4arch9wavefront6targetE1EEEvSP_
		.amdhsa_group_segment_fixed_size 0
		.amdhsa_private_segment_fixed_size 0
		.amdhsa_kernarg_size 56
		.amdhsa_user_sgpr_count 6
		.amdhsa_user_sgpr_private_segment_buffer 1
		.amdhsa_user_sgpr_dispatch_ptr 0
		.amdhsa_user_sgpr_queue_ptr 0
		.amdhsa_user_sgpr_kernarg_segment_ptr 1
		.amdhsa_user_sgpr_dispatch_id 0
		.amdhsa_user_sgpr_flat_scratch_init 0
		.amdhsa_user_sgpr_kernarg_preload_length 0
		.amdhsa_user_sgpr_kernarg_preload_offset 0
		.amdhsa_user_sgpr_private_segment_size 0
		.amdhsa_uses_dynamic_stack 0
		.amdhsa_system_sgpr_private_segment_wavefront_offset 0
		.amdhsa_system_sgpr_workgroup_id_x 1
		.amdhsa_system_sgpr_workgroup_id_y 0
		.amdhsa_system_sgpr_workgroup_id_z 0
		.amdhsa_system_sgpr_workgroup_info 0
		.amdhsa_system_vgpr_workitem_id 0
		.amdhsa_next_free_vgpr 1
		.amdhsa_next_free_sgpr 0
		.amdhsa_accum_offset 4
		.amdhsa_reserve_vcc 0
		.amdhsa_reserve_flat_scratch 0
		.amdhsa_float_round_mode_32 0
		.amdhsa_float_round_mode_16_64 0
		.amdhsa_float_denorm_mode_32 3
		.amdhsa_float_denorm_mode_16_64 3
		.amdhsa_dx10_clamp 1
		.amdhsa_ieee_mode 1
		.amdhsa_fp16_overflow 0
		.amdhsa_tg_split 0
		.amdhsa_exception_fp_ieee_invalid_op 0
		.amdhsa_exception_fp_denorm_src 0
		.amdhsa_exception_fp_ieee_div_zero 0
		.amdhsa_exception_fp_ieee_overflow 0
		.amdhsa_exception_fp_ieee_underflow 0
		.amdhsa_exception_fp_ieee_inexact 0
		.amdhsa_exception_int_div_zero 0
	.end_amdhsa_kernel
	.section	.text._ZN7rocprim17ROCPRIM_400000_NS6detail17trampoline_kernelINS0_14default_configENS1_27upper_bound_config_selectorIsiEEZNS1_14transform_implILb0ES3_S5_N6thrust23THRUST_200600_302600_NS6detail15normal_iteratorINS8_10device_ptrIsEEEENSA_INSB_IiEEEEZNS1_13binary_searchIS3_S5_SD_SD_SF_NS1_21upper_bound_search_opENS9_16wrapped_functionINS0_4lessIvEEbEEEE10hipError_tPvRmT1_T2_T3_mmT4_T5_P12ihipStream_tbEUlRKsE_EESM_SQ_SR_mSS_SV_bEUlT_E_NS1_11comp_targetILNS1_3genE10ELNS1_11target_archE1201ELNS1_3gpuE5ELNS1_3repE0EEENS1_30default_config_static_selectorELNS0_4arch9wavefront6targetE1EEEvSP_,"axG",@progbits,_ZN7rocprim17ROCPRIM_400000_NS6detail17trampoline_kernelINS0_14default_configENS1_27upper_bound_config_selectorIsiEEZNS1_14transform_implILb0ES3_S5_N6thrust23THRUST_200600_302600_NS6detail15normal_iteratorINS8_10device_ptrIsEEEENSA_INSB_IiEEEEZNS1_13binary_searchIS3_S5_SD_SD_SF_NS1_21upper_bound_search_opENS9_16wrapped_functionINS0_4lessIvEEbEEEE10hipError_tPvRmT1_T2_T3_mmT4_T5_P12ihipStream_tbEUlRKsE_EESM_SQ_SR_mSS_SV_bEUlT_E_NS1_11comp_targetILNS1_3genE10ELNS1_11target_archE1201ELNS1_3gpuE5ELNS1_3repE0EEENS1_30default_config_static_selectorELNS0_4arch9wavefront6targetE1EEEvSP_,comdat
.Lfunc_end398:
	.size	_ZN7rocprim17ROCPRIM_400000_NS6detail17trampoline_kernelINS0_14default_configENS1_27upper_bound_config_selectorIsiEEZNS1_14transform_implILb0ES3_S5_N6thrust23THRUST_200600_302600_NS6detail15normal_iteratorINS8_10device_ptrIsEEEENSA_INSB_IiEEEEZNS1_13binary_searchIS3_S5_SD_SD_SF_NS1_21upper_bound_search_opENS9_16wrapped_functionINS0_4lessIvEEbEEEE10hipError_tPvRmT1_T2_T3_mmT4_T5_P12ihipStream_tbEUlRKsE_EESM_SQ_SR_mSS_SV_bEUlT_E_NS1_11comp_targetILNS1_3genE10ELNS1_11target_archE1201ELNS1_3gpuE5ELNS1_3repE0EEENS1_30default_config_static_selectorELNS0_4arch9wavefront6targetE1EEEvSP_, .Lfunc_end398-_ZN7rocprim17ROCPRIM_400000_NS6detail17trampoline_kernelINS0_14default_configENS1_27upper_bound_config_selectorIsiEEZNS1_14transform_implILb0ES3_S5_N6thrust23THRUST_200600_302600_NS6detail15normal_iteratorINS8_10device_ptrIsEEEENSA_INSB_IiEEEEZNS1_13binary_searchIS3_S5_SD_SD_SF_NS1_21upper_bound_search_opENS9_16wrapped_functionINS0_4lessIvEEbEEEE10hipError_tPvRmT1_T2_T3_mmT4_T5_P12ihipStream_tbEUlRKsE_EESM_SQ_SR_mSS_SV_bEUlT_E_NS1_11comp_targetILNS1_3genE10ELNS1_11target_archE1201ELNS1_3gpuE5ELNS1_3repE0EEENS1_30default_config_static_selectorELNS0_4arch9wavefront6targetE1EEEvSP_
                                        ; -- End function
	.section	.AMDGPU.csdata,"",@progbits
; Kernel info:
; codeLenInByte = 0
; NumSgprs: 4
; NumVgprs: 0
; NumAgprs: 0
; TotalNumVgprs: 0
; ScratchSize: 0
; MemoryBound: 0
; FloatMode: 240
; IeeeMode: 1
; LDSByteSize: 0 bytes/workgroup (compile time only)
; SGPRBlocks: 0
; VGPRBlocks: 0
; NumSGPRsForWavesPerEU: 4
; NumVGPRsForWavesPerEU: 1
; AccumOffset: 4
; Occupancy: 8
; WaveLimiterHint : 0
; COMPUTE_PGM_RSRC2:SCRATCH_EN: 0
; COMPUTE_PGM_RSRC2:USER_SGPR: 6
; COMPUTE_PGM_RSRC2:TRAP_HANDLER: 0
; COMPUTE_PGM_RSRC2:TGID_X_EN: 1
; COMPUTE_PGM_RSRC2:TGID_Y_EN: 0
; COMPUTE_PGM_RSRC2:TGID_Z_EN: 0
; COMPUTE_PGM_RSRC2:TIDIG_COMP_CNT: 0
; COMPUTE_PGM_RSRC3_GFX90A:ACCUM_OFFSET: 0
; COMPUTE_PGM_RSRC3_GFX90A:TG_SPLIT: 0
	.section	.text._ZN7rocprim17ROCPRIM_400000_NS6detail17trampoline_kernelINS0_14default_configENS1_27upper_bound_config_selectorIsiEEZNS1_14transform_implILb0ES3_S5_N6thrust23THRUST_200600_302600_NS6detail15normal_iteratorINS8_10device_ptrIsEEEENSA_INSB_IiEEEEZNS1_13binary_searchIS3_S5_SD_SD_SF_NS1_21upper_bound_search_opENS9_16wrapped_functionINS0_4lessIvEEbEEEE10hipError_tPvRmT1_T2_T3_mmT4_T5_P12ihipStream_tbEUlRKsE_EESM_SQ_SR_mSS_SV_bEUlT_E_NS1_11comp_targetILNS1_3genE10ELNS1_11target_archE1200ELNS1_3gpuE4ELNS1_3repE0EEENS1_30default_config_static_selectorELNS0_4arch9wavefront6targetE1EEEvSP_,"axG",@progbits,_ZN7rocprim17ROCPRIM_400000_NS6detail17trampoline_kernelINS0_14default_configENS1_27upper_bound_config_selectorIsiEEZNS1_14transform_implILb0ES3_S5_N6thrust23THRUST_200600_302600_NS6detail15normal_iteratorINS8_10device_ptrIsEEEENSA_INSB_IiEEEEZNS1_13binary_searchIS3_S5_SD_SD_SF_NS1_21upper_bound_search_opENS9_16wrapped_functionINS0_4lessIvEEbEEEE10hipError_tPvRmT1_T2_T3_mmT4_T5_P12ihipStream_tbEUlRKsE_EESM_SQ_SR_mSS_SV_bEUlT_E_NS1_11comp_targetILNS1_3genE10ELNS1_11target_archE1200ELNS1_3gpuE4ELNS1_3repE0EEENS1_30default_config_static_selectorELNS0_4arch9wavefront6targetE1EEEvSP_,comdat
	.protected	_ZN7rocprim17ROCPRIM_400000_NS6detail17trampoline_kernelINS0_14default_configENS1_27upper_bound_config_selectorIsiEEZNS1_14transform_implILb0ES3_S5_N6thrust23THRUST_200600_302600_NS6detail15normal_iteratorINS8_10device_ptrIsEEEENSA_INSB_IiEEEEZNS1_13binary_searchIS3_S5_SD_SD_SF_NS1_21upper_bound_search_opENS9_16wrapped_functionINS0_4lessIvEEbEEEE10hipError_tPvRmT1_T2_T3_mmT4_T5_P12ihipStream_tbEUlRKsE_EESM_SQ_SR_mSS_SV_bEUlT_E_NS1_11comp_targetILNS1_3genE10ELNS1_11target_archE1200ELNS1_3gpuE4ELNS1_3repE0EEENS1_30default_config_static_selectorELNS0_4arch9wavefront6targetE1EEEvSP_ ; -- Begin function _ZN7rocprim17ROCPRIM_400000_NS6detail17trampoline_kernelINS0_14default_configENS1_27upper_bound_config_selectorIsiEEZNS1_14transform_implILb0ES3_S5_N6thrust23THRUST_200600_302600_NS6detail15normal_iteratorINS8_10device_ptrIsEEEENSA_INSB_IiEEEEZNS1_13binary_searchIS3_S5_SD_SD_SF_NS1_21upper_bound_search_opENS9_16wrapped_functionINS0_4lessIvEEbEEEE10hipError_tPvRmT1_T2_T3_mmT4_T5_P12ihipStream_tbEUlRKsE_EESM_SQ_SR_mSS_SV_bEUlT_E_NS1_11comp_targetILNS1_3genE10ELNS1_11target_archE1200ELNS1_3gpuE4ELNS1_3repE0EEENS1_30default_config_static_selectorELNS0_4arch9wavefront6targetE1EEEvSP_
	.globl	_ZN7rocprim17ROCPRIM_400000_NS6detail17trampoline_kernelINS0_14default_configENS1_27upper_bound_config_selectorIsiEEZNS1_14transform_implILb0ES3_S5_N6thrust23THRUST_200600_302600_NS6detail15normal_iteratorINS8_10device_ptrIsEEEENSA_INSB_IiEEEEZNS1_13binary_searchIS3_S5_SD_SD_SF_NS1_21upper_bound_search_opENS9_16wrapped_functionINS0_4lessIvEEbEEEE10hipError_tPvRmT1_T2_T3_mmT4_T5_P12ihipStream_tbEUlRKsE_EESM_SQ_SR_mSS_SV_bEUlT_E_NS1_11comp_targetILNS1_3genE10ELNS1_11target_archE1200ELNS1_3gpuE4ELNS1_3repE0EEENS1_30default_config_static_selectorELNS0_4arch9wavefront6targetE1EEEvSP_
	.p2align	8
	.type	_ZN7rocprim17ROCPRIM_400000_NS6detail17trampoline_kernelINS0_14default_configENS1_27upper_bound_config_selectorIsiEEZNS1_14transform_implILb0ES3_S5_N6thrust23THRUST_200600_302600_NS6detail15normal_iteratorINS8_10device_ptrIsEEEENSA_INSB_IiEEEEZNS1_13binary_searchIS3_S5_SD_SD_SF_NS1_21upper_bound_search_opENS9_16wrapped_functionINS0_4lessIvEEbEEEE10hipError_tPvRmT1_T2_T3_mmT4_T5_P12ihipStream_tbEUlRKsE_EESM_SQ_SR_mSS_SV_bEUlT_E_NS1_11comp_targetILNS1_3genE10ELNS1_11target_archE1200ELNS1_3gpuE4ELNS1_3repE0EEENS1_30default_config_static_selectorELNS0_4arch9wavefront6targetE1EEEvSP_,@function
_ZN7rocprim17ROCPRIM_400000_NS6detail17trampoline_kernelINS0_14default_configENS1_27upper_bound_config_selectorIsiEEZNS1_14transform_implILb0ES3_S5_N6thrust23THRUST_200600_302600_NS6detail15normal_iteratorINS8_10device_ptrIsEEEENSA_INSB_IiEEEEZNS1_13binary_searchIS3_S5_SD_SD_SF_NS1_21upper_bound_search_opENS9_16wrapped_functionINS0_4lessIvEEbEEEE10hipError_tPvRmT1_T2_T3_mmT4_T5_P12ihipStream_tbEUlRKsE_EESM_SQ_SR_mSS_SV_bEUlT_E_NS1_11comp_targetILNS1_3genE10ELNS1_11target_archE1200ELNS1_3gpuE4ELNS1_3repE0EEENS1_30default_config_static_selectorELNS0_4arch9wavefront6targetE1EEEvSP_: ; @_ZN7rocprim17ROCPRIM_400000_NS6detail17trampoline_kernelINS0_14default_configENS1_27upper_bound_config_selectorIsiEEZNS1_14transform_implILb0ES3_S5_N6thrust23THRUST_200600_302600_NS6detail15normal_iteratorINS8_10device_ptrIsEEEENSA_INSB_IiEEEEZNS1_13binary_searchIS3_S5_SD_SD_SF_NS1_21upper_bound_search_opENS9_16wrapped_functionINS0_4lessIvEEbEEEE10hipError_tPvRmT1_T2_T3_mmT4_T5_P12ihipStream_tbEUlRKsE_EESM_SQ_SR_mSS_SV_bEUlT_E_NS1_11comp_targetILNS1_3genE10ELNS1_11target_archE1200ELNS1_3gpuE4ELNS1_3repE0EEENS1_30default_config_static_selectorELNS0_4arch9wavefront6targetE1EEEvSP_
; %bb.0:
	.section	.rodata,"a",@progbits
	.p2align	6, 0x0
	.amdhsa_kernel _ZN7rocprim17ROCPRIM_400000_NS6detail17trampoline_kernelINS0_14default_configENS1_27upper_bound_config_selectorIsiEEZNS1_14transform_implILb0ES3_S5_N6thrust23THRUST_200600_302600_NS6detail15normal_iteratorINS8_10device_ptrIsEEEENSA_INSB_IiEEEEZNS1_13binary_searchIS3_S5_SD_SD_SF_NS1_21upper_bound_search_opENS9_16wrapped_functionINS0_4lessIvEEbEEEE10hipError_tPvRmT1_T2_T3_mmT4_T5_P12ihipStream_tbEUlRKsE_EESM_SQ_SR_mSS_SV_bEUlT_E_NS1_11comp_targetILNS1_3genE10ELNS1_11target_archE1200ELNS1_3gpuE4ELNS1_3repE0EEENS1_30default_config_static_selectorELNS0_4arch9wavefront6targetE1EEEvSP_
		.amdhsa_group_segment_fixed_size 0
		.amdhsa_private_segment_fixed_size 0
		.amdhsa_kernarg_size 56
		.amdhsa_user_sgpr_count 6
		.amdhsa_user_sgpr_private_segment_buffer 1
		.amdhsa_user_sgpr_dispatch_ptr 0
		.amdhsa_user_sgpr_queue_ptr 0
		.amdhsa_user_sgpr_kernarg_segment_ptr 1
		.amdhsa_user_sgpr_dispatch_id 0
		.amdhsa_user_sgpr_flat_scratch_init 0
		.amdhsa_user_sgpr_kernarg_preload_length 0
		.amdhsa_user_sgpr_kernarg_preload_offset 0
		.amdhsa_user_sgpr_private_segment_size 0
		.amdhsa_uses_dynamic_stack 0
		.amdhsa_system_sgpr_private_segment_wavefront_offset 0
		.amdhsa_system_sgpr_workgroup_id_x 1
		.amdhsa_system_sgpr_workgroup_id_y 0
		.amdhsa_system_sgpr_workgroup_id_z 0
		.amdhsa_system_sgpr_workgroup_info 0
		.amdhsa_system_vgpr_workitem_id 0
		.amdhsa_next_free_vgpr 1
		.amdhsa_next_free_sgpr 0
		.amdhsa_accum_offset 4
		.amdhsa_reserve_vcc 0
		.amdhsa_reserve_flat_scratch 0
		.amdhsa_float_round_mode_32 0
		.amdhsa_float_round_mode_16_64 0
		.amdhsa_float_denorm_mode_32 3
		.amdhsa_float_denorm_mode_16_64 3
		.amdhsa_dx10_clamp 1
		.amdhsa_ieee_mode 1
		.amdhsa_fp16_overflow 0
		.amdhsa_tg_split 0
		.amdhsa_exception_fp_ieee_invalid_op 0
		.amdhsa_exception_fp_denorm_src 0
		.amdhsa_exception_fp_ieee_div_zero 0
		.amdhsa_exception_fp_ieee_overflow 0
		.amdhsa_exception_fp_ieee_underflow 0
		.amdhsa_exception_fp_ieee_inexact 0
		.amdhsa_exception_int_div_zero 0
	.end_amdhsa_kernel
	.section	.text._ZN7rocprim17ROCPRIM_400000_NS6detail17trampoline_kernelINS0_14default_configENS1_27upper_bound_config_selectorIsiEEZNS1_14transform_implILb0ES3_S5_N6thrust23THRUST_200600_302600_NS6detail15normal_iteratorINS8_10device_ptrIsEEEENSA_INSB_IiEEEEZNS1_13binary_searchIS3_S5_SD_SD_SF_NS1_21upper_bound_search_opENS9_16wrapped_functionINS0_4lessIvEEbEEEE10hipError_tPvRmT1_T2_T3_mmT4_T5_P12ihipStream_tbEUlRKsE_EESM_SQ_SR_mSS_SV_bEUlT_E_NS1_11comp_targetILNS1_3genE10ELNS1_11target_archE1200ELNS1_3gpuE4ELNS1_3repE0EEENS1_30default_config_static_selectorELNS0_4arch9wavefront6targetE1EEEvSP_,"axG",@progbits,_ZN7rocprim17ROCPRIM_400000_NS6detail17trampoline_kernelINS0_14default_configENS1_27upper_bound_config_selectorIsiEEZNS1_14transform_implILb0ES3_S5_N6thrust23THRUST_200600_302600_NS6detail15normal_iteratorINS8_10device_ptrIsEEEENSA_INSB_IiEEEEZNS1_13binary_searchIS3_S5_SD_SD_SF_NS1_21upper_bound_search_opENS9_16wrapped_functionINS0_4lessIvEEbEEEE10hipError_tPvRmT1_T2_T3_mmT4_T5_P12ihipStream_tbEUlRKsE_EESM_SQ_SR_mSS_SV_bEUlT_E_NS1_11comp_targetILNS1_3genE10ELNS1_11target_archE1200ELNS1_3gpuE4ELNS1_3repE0EEENS1_30default_config_static_selectorELNS0_4arch9wavefront6targetE1EEEvSP_,comdat
.Lfunc_end399:
	.size	_ZN7rocprim17ROCPRIM_400000_NS6detail17trampoline_kernelINS0_14default_configENS1_27upper_bound_config_selectorIsiEEZNS1_14transform_implILb0ES3_S5_N6thrust23THRUST_200600_302600_NS6detail15normal_iteratorINS8_10device_ptrIsEEEENSA_INSB_IiEEEEZNS1_13binary_searchIS3_S5_SD_SD_SF_NS1_21upper_bound_search_opENS9_16wrapped_functionINS0_4lessIvEEbEEEE10hipError_tPvRmT1_T2_T3_mmT4_T5_P12ihipStream_tbEUlRKsE_EESM_SQ_SR_mSS_SV_bEUlT_E_NS1_11comp_targetILNS1_3genE10ELNS1_11target_archE1200ELNS1_3gpuE4ELNS1_3repE0EEENS1_30default_config_static_selectorELNS0_4arch9wavefront6targetE1EEEvSP_, .Lfunc_end399-_ZN7rocprim17ROCPRIM_400000_NS6detail17trampoline_kernelINS0_14default_configENS1_27upper_bound_config_selectorIsiEEZNS1_14transform_implILb0ES3_S5_N6thrust23THRUST_200600_302600_NS6detail15normal_iteratorINS8_10device_ptrIsEEEENSA_INSB_IiEEEEZNS1_13binary_searchIS3_S5_SD_SD_SF_NS1_21upper_bound_search_opENS9_16wrapped_functionINS0_4lessIvEEbEEEE10hipError_tPvRmT1_T2_T3_mmT4_T5_P12ihipStream_tbEUlRKsE_EESM_SQ_SR_mSS_SV_bEUlT_E_NS1_11comp_targetILNS1_3genE10ELNS1_11target_archE1200ELNS1_3gpuE4ELNS1_3repE0EEENS1_30default_config_static_selectorELNS0_4arch9wavefront6targetE1EEEvSP_
                                        ; -- End function
	.section	.AMDGPU.csdata,"",@progbits
; Kernel info:
; codeLenInByte = 0
; NumSgprs: 4
; NumVgprs: 0
; NumAgprs: 0
; TotalNumVgprs: 0
; ScratchSize: 0
; MemoryBound: 0
; FloatMode: 240
; IeeeMode: 1
; LDSByteSize: 0 bytes/workgroup (compile time only)
; SGPRBlocks: 0
; VGPRBlocks: 0
; NumSGPRsForWavesPerEU: 4
; NumVGPRsForWavesPerEU: 1
; AccumOffset: 4
; Occupancy: 8
; WaveLimiterHint : 0
; COMPUTE_PGM_RSRC2:SCRATCH_EN: 0
; COMPUTE_PGM_RSRC2:USER_SGPR: 6
; COMPUTE_PGM_RSRC2:TRAP_HANDLER: 0
; COMPUTE_PGM_RSRC2:TGID_X_EN: 1
; COMPUTE_PGM_RSRC2:TGID_Y_EN: 0
; COMPUTE_PGM_RSRC2:TGID_Z_EN: 0
; COMPUTE_PGM_RSRC2:TIDIG_COMP_CNT: 0
; COMPUTE_PGM_RSRC3_GFX90A:ACCUM_OFFSET: 0
; COMPUTE_PGM_RSRC3_GFX90A:TG_SPLIT: 0
	.section	.text._ZN7rocprim17ROCPRIM_400000_NS6detail17trampoline_kernelINS0_14default_configENS1_27upper_bound_config_selectorIsiEEZNS1_14transform_implILb0ES3_S5_N6thrust23THRUST_200600_302600_NS6detail15normal_iteratorINS8_10device_ptrIsEEEENSA_INSB_IiEEEEZNS1_13binary_searchIS3_S5_SD_SD_SF_NS1_21upper_bound_search_opENS9_16wrapped_functionINS0_4lessIvEEbEEEE10hipError_tPvRmT1_T2_T3_mmT4_T5_P12ihipStream_tbEUlRKsE_EESM_SQ_SR_mSS_SV_bEUlT_E_NS1_11comp_targetILNS1_3genE9ELNS1_11target_archE1100ELNS1_3gpuE3ELNS1_3repE0EEENS1_30default_config_static_selectorELNS0_4arch9wavefront6targetE1EEEvSP_,"axG",@progbits,_ZN7rocprim17ROCPRIM_400000_NS6detail17trampoline_kernelINS0_14default_configENS1_27upper_bound_config_selectorIsiEEZNS1_14transform_implILb0ES3_S5_N6thrust23THRUST_200600_302600_NS6detail15normal_iteratorINS8_10device_ptrIsEEEENSA_INSB_IiEEEEZNS1_13binary_searchIS3_S5_SD_SD_SF_NS1_21upper_bound_search_opENS9_16wrapped_functionINS0_4lessIvEEbEEEE10hipError_tPvRmT1_T2_T3_mmT4_T5_P12ihipStream_tbEUlRKsE_EESM_SQ_SR_mSS_SV_bEUlT_E_NS1_11comp_targetILNS1_3genE9ELNS1_11target_archE1100ELNS1_3gpuE3ELNS1_3repE0EEENS1_30default_config_static_selectorELNS0_4arch9wavefront6targetE1EEEvSP_,comdat
	.protected	_ZN7rocprim17ROCPRIM_400000_NS6detail17trampoline_kernelINS0_14default_configENS1_27upper_bound_config_selectorIsiEEZNS1_14transform_implILb0ES3_S5_N6thrust23THRUST_200600_302600_NS6detail15normal_iteratorINS8_10device_ptrIsEEEENSA_INSB_IiEEEEZNS1_13binary_searchIS3_S5_SD_SD_SF_NS1_21upper_bound_search_opENS9_16wrapped_functionINS0_4lessIvEEbEEEE10hipError_tPvRmT1_T2_T3_mmT4_T5_P12ihipStream_tbEUlRKsE_EESM_SQ_SR_mSS_SV_bEUlT_E_NS1_11comp_targetILNS1_3genE9ELNS1_11target_archE1100ELNS1_3gpuE3ELNS1_3repE0EEENS1_30default_config_static_selectorELNS0_4arch9wavefront6targetE1EEEvSP_ ; -- Begin function _ZN7rocprim17ROCPRIM_400000_NS6detail17trampoline_kernelINS0_14default_configENS1_27upper_bound_config_selectorIsiEEZNS1_14transform_implILb0ES3_S5_N6thrust23THRUST_200600_302600_NS6detail15normal_iteratorINS8_10device_ptrIsEEEENSA_INSB_IiEEEEZNS1_13binary_searchIS3_S5_SD_SD_SF_NS1_21upper_bound_search_opENS9_16wrapped_functionINS0_4lessIvEEbEEEE10hipError_tPvRmT1_T2_T3_mmT4_T5_P12ihipStream_tbEUlRKsE_EESM_SQ_SR_mSS_SV_bEUlT_E_NS1_11comp_targetILNS1_3genE9ELNS1_11target_archE1100ELNS1_3gpuE3ELNS1_3repE0EEENS1_30default_config_static_selectorELNS0_4arch9wavefront6targetE1EEEvSP_
	.globl	_ZN7rocprim17ROCPRIM_400000_NS6detail17trampoline_kernelINS0_14default_configENS1_27upper_bound_config_selectorIsiEEZNS1_14transform_implILb0ES3_S5_N6thrust23THRUST_200600_302600_NS6detail15normal_iteratorINS8_10device_ptrIsEEEENSA_INSB_IiEEEEZNS1_13binary_searchIS3_S5_SD_SD_SF_NS1_21upper_bound_search_opENS9_16wrapped_functionINS0_4lessIvEEbEEEE10hipError_tPvRmT1_T2_T3_mmT4_T5_P12ihipStream_tbEUlRKsE_EESM_SQ_SR_mSS_SV_bEUlT_E_NS1_11comp_targetILNS1_3genE9ELNS1_11target_archE1100ELNS1_3gpuE3ELNS1_3repE0EEENS1_30default_config_static_selectorELNS0_4arch9wavefront6targetE1EEEvSP_
	.p2align	8
	.type	_ZN7rocprim17ROCPRIM_400000_NS6detail17trampoline_kernelINS0_14default_configENS1_27upper_bound_config_selectorIsiEEZNS1_14transform_implILb0ES3_S5_N6thrust23THRUST_200600_302600_NS6detail15normal_iteratorINS8_10device_ptrIsEEEENSA_INSB_IiEEEEZNS1_13binary_searchIS3_S5_SD_SD_SF_NS1_21upper_bound_search_opENS9_16wrapped_functionINS0_4lessIvEEbEEEE10hipError_tPvRmT1_T2_T3_mmT4_T5_P12ihipStream_tbEUlRKsE_EESM_SQ_SR_mSS_SV_bEUlT_E_NS1_11comp_targetILNS1_3genE9ELNS1_11target_archE1100ELNS1_3gpuE3ELNS1_3repE0EEENS1_30default_config_static_selectorELNS0_4arch9wavefront6targetE1EEEvSP_,@function
_ZN7rocprim17ROCPRIM_400000_NS6detail17trampoline_kernelINS0_14default_configENS1_27upper_bound_config_selectorIsiEEZNS1_14transform_implILb0ES3_S5_N6thrust23THRUST_200600_302600_NS6detail15normal_iteratorINS8_10device_ptrIsEEEENSA_INSB_IiEEEEZNS1_13binary_searchIS3_S5_SD_SD_SF_NS1_21upper_bound_search_opENS9_16wrapped_functionINS0_4lessIvEEbEEEE10hipError_tPvRmT1_T2_T3_mmT4_T5_P12ihipStream_tbEUlRKsE_EESM_SQ_SR_mSS_SV_bEUlT_E_NS1_11comp_targetILNS1_3genE9ELNS1_11target_archE1100ELNS1_3gpuE3ELNS1_3repE0EEENS1_30default_config_static_selectorELNS0_4arch9wavefront6targetE1EEEvSP_: ; @_ZN7rocprim17ROCPRIM_400000_NS6detail17trampoline_kernelINS0_14default_configENS1_27upper_bound_config_selectorIsiEEZNS1_14transform_implILb0ES3_S5_N6thrust23THRUST_200600_302600_NS6detail15normal_iteratorINS8_10device_ptrIsEEEENSA_INSB_IiEEEEZNS1_13binary_searchIS3_S5_SD_SD_SF_NS1_21upper_bound_search_opENS9_16wrapped_functionINS0_4lessIvEEbEEEE10hipError_tPvRmT1_T2_T3_mmT4_T5_P12ihipStream_tbEUlRKsE_EESM_SQ_SR_mSS_SV_bEUlT_E_NS1_11comp_targetILNS1_3genE9ELNS1_11target_archE1100ELNS1_3gpuE3ELNS1_3repE0EEENS1_30default_config_static_selectorELNS0_4arch9wavefront6targetE1EEEvSP_
; %bb.0:
	.section	.rodata,"a",@progbits
	.p2align	6, 0x0
	.amdhsa_kernel _ZN7rocprim17ROCPRIM_400000_NS6detail17trampoline_kernelINS0_14default_configENS1_27upper_bound_config_selectorIsiEEZNS1_14transform_implILb0ES3_S5_N6thrust23THRUST_200600_302600_NS6detail15normal_iteratorINS8_10device_ptrIsEEEENSA_INSB_IiEEEEZNS1_13binary_searchIS3_S5_SD_SD_SF_NS1_21upper_bound_search_opENS9_16wrapped_functionINS0_4lessIvEEbEEEE10hipError_tPvRmT1_T2_T3_mmT4_T5_P12ihipStream_tbEUlRKsE_EESM_SQ_SR_mSS_SV_bEUlT_E_NS1_11comp_targetILNS1_3genE9ELNS1_11target_archE1100ELNS1_3gpuE3ELNS1_3repE0EEENS1_30default_config_static_selectorELNS0_4arch9wavefront6targetE1EEEvSP_
		.amdhsa_group_segment_fixed_size 0
		.amdhsa_private_segment_fixed_size 0
		.amdhsa_kernarg_size 56
		.amdhsa_user_sgpr_count 6
		.amdhsa_user_sgpr_private_segment_buffer 1
		.amdhsa_user_sgpr_dispatch_ptr 0
		.amdhsa_user_sgpr_queue_ptr 0
		.amdhsa_user_sgpr_kernarg_segment_ptr 1
		.amdhsa_user_sgpr_dispatch_id 0
		.amdhsa_user_sgpr_flat_scratch_init 0
		.amdhsa_user_sgpr_kernarg_preload_length 0
		.amdhsa_user_sgpr_kernarg_preload_offset 0
		.amdhsa_user_sgpr_private_segment_size 0
		.amdhsa_uses_dynamic_stack 0
		.amdhsa_system_sgpr_private_segment_wavefront_offset 0
		.amdhsa_system_sgpr_workgroup_id_x 1
		.amdhsa_system_sgpr_workgroup_id_y 0
		.amdhsa_system_sgpr_workgroup_id_z 0
		.amdhsa_system_sgpr_workgroup_info 0
		.amdhsa_system_vgpr_workitem_id 0
		.amdhsa_next_free_vgpr 1
		.amdhsa_next_free_sgpr 0
		.amdhsa_accum_offset 4
		.amdhsa_reserve_vcc 0
		.amdhsa_reserve_flat_scratch 0
		.amdhsa_float_round_mode_32 0
		.amdhsa_float_round_mode_16_64 0
		.amdhsa_float_denorm_mode_32 3
		.amdhsa_float_denorm_mode_16_64 3
		.amdhsa_dx10_clamp 1
		.amdhsa_ieee_mode 1
		.amdhsa_fp16_overflow 0
		.amdhsa_tg_split 0
		.amdhsa_exception_fp_ieee_invalid_op 0
		.amdhsa_exception_fp_denorm_src 0
		.amdhsa_exception_fp_ieee_div_zero 0
		.amdhsa_exception_fp_ieee_overflow 0
		.amdhsa_exception_fp_ieee_underflow 0
		.amdhsa_exception_fp_ieee_inexact 0
		.amdhsa_exception_int_div_zero 0
	.end_amdhsa_kernel
	.section	.text._ZN7rocprim17ROCPRIM_400000_NS6detail17trampoline_kernelINS0_14default_configENS1_27upper_bound_config_selectorIsiEEZNS1_14transform_implILb0ES3_S5_N6thrust23THRUST_200600_302600_NS6detail15normal_iteratorINS8_10device_ptrIsEEEENSA_INSB_IiEEEEZNS1_13binary_searchIS3_S5_SD_SD_SF_NS1_21upper_bound_search_opENS9_16wrapped_functionINS0_4lessIvEEbEEEE10hipError_tPvRmT1_T2_T3_mmT4_T5_P12ihipStream_tbEUlRKsE_EESM_SQ_SR_mSS_SV_bEUlT_E_NS1_11comp_targetILNS1_3genE9ELNS1_11target_archE1100ELNS1_3gpuE3ELNS1_3repE0EEENS1_30default_config_static_selectorELNS0_4arch9wavefront6targetE1EEEvSP_,"axG",@progbits,_ZN7rocprim17ROCPRIM_400000_NS6detail17trampoline_kernelINS0_14default_configENS1_27upper_bound_config_selectorIsiEEZNS1_14transform_implILb0ES3_S5_N6thrust23THRUST_200600_302600_NS6detail15normal_iteratorINS8_10device_ptrIsEEEENSA_INSB_IiEEEEZNS1_13binary_searchIS3_S5_SD_SD_SF_NS1_21upper_bound_search_opENS9_16wrapped_functionINS0_4lessIvEEbEEEE10hipError_tPvRmT1_T2_T3_mmT4_T5_P12ihipStream_tbEUlRKsE_EESM_SQ_SR_mSS_SV_bEUlT_E_NS1_11comp_targetILNS1_3genE9ELNS1_11target_archE1100ELNS1_3gpuE3ELNS1_3repE0EEENS1_30default_config_static_selectorELNS0_4arch9wavefront6targetE1EEEvSP_,comdat
.Lfunc_end400:
	.size	_ZN7rocprim17ROCPRIM_400000_NS6detail17trampoline_kernelINS0_14default_configENS1_27upper_bound_config_selectorIsiEEZNS1_14transform_implILb0ES3_S5_N6thrust23THRUST_200600_302600_NS6detail15normal_iteratorINS8_10device_ptrIsEEEENSA_INSB_IiEEEEZNS1_13binary_searchIS3_S5_SD_SD_SF_NS1_21upper_bound_search_opENS9_16wrapped_functionINS0_4lessIvEEbEEEE10hipError_tPvRmT1_T2_T3_mmT4_T5_P12ihipStream_tbEUlRKsE_EESM_SQ_SR_mSS_SV_bEUlT_E_NS1_11comp_targetILNS1_3genE9ELNS1_11target_archE1100ELNS1_3gpuE3ELNS1_3repE0EEENS1_30default_config_static_selectorELNS0_4arch9wavefront6targetE1EEEvSP_, .Lfunc_end400-_ZN7rocprim17ROCPRIM_400000_NS6detail17trampoline_kernelINS0_14default_configENS1_27upper_bound_config_selectorIsiEEZNS1_14transform_implILb0ES3_S5_N6thrust23THRUST_200600_302600_NS6detail15normal_iteratorINS8_10device_ptrIsEEEENSA_INSB_IiEEEEZNS1_13binary_searchIS3_S5_SD_SD_SF_NS1_21upper_bound_search_opENS9_16wrapped_functionINS0_4lessIvEEbEEEE10hipError_tPvRmT1_T2_T3_mmT4_T5_P12ihipStream_tbEUlRKsE_EESM_SQ_SR_mSS_SV_bEUlT_E_NS1_11comp_targetILNS1_3genE9ELNS1_11target_archE1100ELNS1_3gpuE3ELNS1_3repE0EEENS1_30default_config_static_selectorELNS0_4arch9wavefront6targetE1EEEvSP_
                                        ; -- End function
	.section	.AMDGPU.csdata,"",@progbits
; Kernel info:
; codeLenInByte = 0
; NumSgprs: 4
; NumVgprs: 0
; NumAgprs: 0
; TotalNumVgprs: 0
; ScratchSize: 0
; MemoryBound: 0
; FloatMode: 240
; IeeeMode: 1
; LDSByteSize: 0 bytes/workgroup (compile time only)
; SGPRBlocks: 0
; VGPRBlocks: 0
; NumSGPRsForWavesPerEU: 4
; NumVGPRsForWavesPerEU: 1
; AccumOffset: 4
; Occupancy: 8
; WaveLimiterHint : 0
; COMPUTE_PGM_RSRC2:SCRATCH_EN: 0
; COMPUTE_PGM_RSRC2:USER_SGPR: 6
; COMPUTE_PGM_RSRC2:TRAP_HANDLER: 0
; COMPUTE_PGM_RSRC2:TGID_X_EN: 1
; COMPUTE_PGM_RSRC2:TGID_Y_EN: 0
; COMPUTE_PGM_RSRC2:TGID_Z_EN: 0
; COMPUTE_PGM_RSRC2:TIDIG_COMP_CNT: 0
; COMPUTE_PGM_RSRC3_GFX90A:ACCUM_OFFSET: 0
; COMPUTE_PGM_RSRC3_GFX90A:TG_SPLIT: 0
	.section	.text._ZN7rocprim17ROCPRIM_400000_NS6detail17trampoline_kernelINS0_14default_configENS1_27upper_bound_config_selectorIsiEEZNS1_14transform_implILb0ES3_S5_N6thrust23THRUST_200600_302600_NS6detail15normal_iteratorINS8_10device_ptrIsEEEENSA_INSB_IiEEEEZNS1_13binary_searchIS3_S5_SD_SD_SF_NS1_21upper_bound_search_opENS9_16wrapped_functionINS0_4lessIvEEbEEEE10hipError_tPvRmT1_T2_T3_mmT4_T5_P12ihipStream_tbEUlRKsE_EESM_SQ_SR_mSS_SV_bEUlT_E_NS1_11comp_targetILNS1_3genE8ELNS1_11target_archE1030ELNS1_3gpuE2ELNS1_3repE0EEENS1_30default_config_static_selectorELNS0_4arch9wavefront6targetE1EEEvSP_,"axG",@progbits,_ZN7rocprim17ROCPRIM_400000_NS6detail17trampoline_kernelINS0_14default_configENS1_27upper_bound_config_selectorIsiEEZNS1_14transform_implILb0ES3_S5_N6thrust23THRUST_200600_302600_NS6detail15normal_iteratorINS8_10device_ptrIsEEEENSA_INSB_IiEEEEZNS1_13binary_searchIS3_S5_SD_SD_SF_NS1_21upper_bound_search_opENS9_16wrapped_functionINS0_4lessIvEEbEEEE10hipError_tPvRmT1_T2_T3_mmT4_T5_P12ihipStream_tbEUlRKsE_EESM_SQ_SR_mSS_SV_bEUlT_E_NS1_11comp_targetILNS1_3genE8ELNS1_11target_archE1030ELNS1_3gpuE2ELNS1_3repE0EEENS1_30default_config_static_selectorELNS0_4arch9wavefront6targetE1EEEvSP_,comdat
	.protected	_ZN7rocprim17ROCPRIM_400000_NS6detail17trampoline_kernelINS0_14default_configENS1_27upper_bound_config_selectorIsiEEZNS1_14transform_implILb0ES3_S5_N6thrust23THRUST_200600_302600_NS6detail15normal_iteratorINS8_10device_ptrIsEEEENSA_INSB_IiEEEEZNS1_13binary_searchIS3_S5_SD_SD_SF_NS1_21upper_bound_search_opENS9_16wrapped_functionINS0_4lessIvEEbEEEE10hipError_tPvRmT1_T2_T3_mmT4_T5_P12ihipStream_tbEUlRKsE_EESM_SQ_SR_mSS_SV_bEUlT_E_NS1_11comp_targetILNS1_3genE8ELNS1_11target_archE1030ELNS1_3gpuE2ELNS1_3repE0EEENS1_30default_config_static_selectorELNS0_4arch9wavefront6targetE1EEEvSP_ ; -- Begin function _ZN7rocprim17ROCPRIM_400000_NS6detail17trampoline_kernelINS0_14default_configENS1_27upper_bound_config_selectorIsiEEZNS1_14transform_implILb0ES3_S5_N6thrust23THRUST_200600_302600_NS6detail15normal_iteratorINS8_10device_ptrIsEEEENSA_INSB_IiEEEEZNS1_13binary_searchIS3_S5_SD_SD_SF_NS1_21upper_bound_search_opENS9_16wrapped_functionINS0_4lessIvEEbEEEE10hipError_tPvRmT1_T2_T3_mmT4_T5_P12ihipStream_tbEUlRKsE_EESM_SQ_SR_mSS_SV_bEUlT_E_NS1_11comp_targetILNS1_3genE8ELNS1_11target_archE1030ELNS1_3gpuE2ELNS1_3repE0EEENS1_30default_config_static_selectorELNS0_4arch9wavefront6targetE1EEEvSP_
	.globl	_ZN7rocprim17ROCPRIM_400000_NS6detail17trampoline_kernelINS0_14default_configENS1_27upper_bound_config_selectorIsiEEZNS1_14transform_implILb0ES3_S5_N6thrust23THRUST_200600_302600_NS6detail15normal_iteratorINS8_10device_ptrIsEEEENSA_INSB_IiEEEEZNS1_13binary_searchIS3_S5_SD_SD_SF_NS1_21upper_bound_search_opENS9_16wrapped_functionINS0_4lessIvEEbEEEE10hipError_tPvRmT1_T2_T3_mmT4_T5_P12ihipStream_tbEUlRKsE_EESM_SQ_SR_mSS_SV_bEUlT_E_NS1_11comp_targetILNS1_3genE8ELNS1_11target_archE1030ELNS1_3gpuE2ELNS1_3repE0EEENS1_30default_config_static_selectorELNS0_4arch9wavefront6targetE1EEEvSP_
	.p2align	8
	.type	_ZN7rocprim17ROCPRIM_400000_NS6detail17trampoline_kernelINS0_14default_configENS1_27upper_bound_config_selectorIsiEEZNS1_14transform_implILb0ES3_S5_N6thrust23THRUST_200600_302600_NS6detail15normal_iteratorINS8_10device_ptrIsEEEENSA_INSB_IiEEEEZNS1_13binary_searchIS3_S5_SD_SD_SF_NS1_21upper_bound_search_opENS9_16wrapped_functionINS0_4lessIvEEbEEEE10hipError_tPvRmT1_T2_T3_mmT4_T5_P12ihipStream_tbEUlRKsE_EESM_SQ_SR_mSS_SV_bEUlT_E_NS1_11comp_targetILNS1_3genE8ELNS1_11target_archE1030ELNS1_3gpuE2ELNS1_3repE0EEENS1_30default_config_static_selectorELNS0_4arch9wavefront6targetE1EEEvSP_,@function
_ZN7rocprim17ROCPRIM_400000_NS6detail17trampoline_kernelINS0_14default_configENS1_27upper_bound_config_selectorIsiEEZNS1_14transform_implILb0ES3_S5_N6thrust23THRUST_200600_302600_NS6detail15normal_iteratorINS8_10device_ptrIsEEEENSA_INSB_IiEEEEZNS1_13binary_searchIS3_S5_SD_SD_SF_NS1_21upper_bound_search_opENS9_16wrapped_functionINS0_4lessIvEEbEEEE10hipError_tPvRmT1_T2_T3_mmT4_T5_P12ihipStream_tbEUlRKsE_EESM_SQ_SR_mSS_SV_bEUlT_E_NS1_11comp_targetILNS1_3genE8ELNS1_11target_archE1030ELNS1_3gpuE2ELNS1_3repE0EEENS1_30default_config_static_selectorELNS0_4arch9wavefront6targetE1EEEvSP_: ; @_ZN7rocprim17ROCPRIM_400000_NS6detail17trampoline_kernelINS0_14default_configENS1_27upper_bound_config_selectorIsiEEZNS1_14transform_implILb0ES3_S5_N6thrust23THRUST_200600_302600_NS6detail15normal_iteratorINS8_10device_ptrIsEEEENSA_INSB_IiEEEEZNS1_13binary_searchIS3_S5_SD_SD_SF_NS1_21upper_bound_search_opENS9_16wrapped_functionINS0_4lessIvEEbEEEE10hipError_tPvRmT1_T2_T3_mmT4_T5_P12ihipStream_tbEUlRKsE_EESM_SQ_SR_mSS_SV_bEUlT_E_NS1_11comp_targetILNS1_3genE8ELNS1_11target_archE1030ELNS1_3gpuE2ELNS1_3repE0EEENS1_30default_config_static_selectorELNS0_4arch9wavefront6targetE1EEEvSP_
; %bb.0:
	.section	.rodata,"a",@progbits
	.p2align	6, 0x0
	.amdhsa_kernel _ZN7rocprim17ROCPRIM_400000_NS6detail17trampoline_kernelINS0_14default_configENS1_27upper_bound_config_selectorIsiEEZNS1_14transform_implILb0ES3_S5_N6thrust23THRUST_200600_302600_NS6detail15normal_iteratorINS8_10device_ptrIsEEEENSA_INSB_IiEEEEZNS1_13binary_searchIS3_S5_SD_SD_SF_NS1_21upper_bound_search_opENS9_16wrapped_functionINS0_4lessIvEEbEEEE10hipError_tPvRmT1_T2_T3_mmT4_T5_P12ihipStream_tbEUlRKsE_EESM_SQ_SR_mSS_SV_bEUlT_E_NS1_11comp_targetILNS1_3genE8ELNS1_11target_archE1030ELNS1_3gpuE2ELNS1_3repE0EEENS1_30default_config_static_selectorELNS0_4arch9wavefront6targetE1EEEvSP_
		.amdhsa_group_segment_fixed_size 0
		.amdhsa_private_segment_fixed_size 0
		.amdhsa_kernarg_size 56
		.amdhsa_user_sgpr_count 6
		.amdhsa_user_sgpr_private_segment_buffer 1
		.amdhsa_user_sgpr_dispatch_ptr 0
		.amdhsa_user_sgpr_queue_ptr 0
		.amdhsa_user_sgpr_kernarg_segment_ptr 1
		.amdhsa_user_sgpr_dispatch_id 0
		.amdhsa_user_sgpr_flat_scratch_init 0
		.amdhsa_user_sgpr_kernarg_preload_length 0
		.amdhsa_user_sgpr_kernarg_preload_offset 0
		.amdhsa_user_sgpr_private_segment_size 0
		.amdhsa_uses_dynamic_stack 0
		.amdhsa_system_sgpr_private_segment_wavefront_offset 0
		.amdhsa_system_sgpr_workgroup_id_x 1
		.amdhsa_system_sgpr_workgroup_id_y 0
		.amdhsa_system_sgpr_workgroup_id_z 0
		.amdhsa_system_sgpr_workgroup_info 0
		.amdhsa_system_vgpr_workitem_id 0
		.amdhsa_next_free_vgpr 1
		.amdhsa_next_free_sgpr 0
		.amdhsa_accum_offset 4
		.amdhsa_reserve_vcc 0
		.amdhsa_reserve_flat_scratch 0
		.amdhsa_float_round_mode_32 0
		.amdhsa_float_round_mode_16_64 0
		.amdhsa_float_denorm_mode_32 3
		.amdhsa_float_denorm_mode_16_64 3
		.amdhsa_dx10_clamp 1
		.amdhsa_ieee_mode 1
		.amdhsa_fp16_overflow 0
		.amdhsa_tg_split 0
		.amdhsa_exception_fp_ieee_invalid_op 0
		.amdhsa_exception_fp_denorm_src 0
		.amdhsa_exception_fp_ieee_div_zero 0
		.amdhsa_exception_fp_ieee_overflow 0
		.amdhsa_exception_fp_ieee_underflow 0
		.amdhsa_exception_fp_ieee_inexact 0
		.amdhsa_exception_int_div_zero 0
	.end_amdhsa_kernel
	.section	.text._ZN7rocprim17ROCPRIM_400000_NS6detail17trampoline_kernelINS0_14default_configENS1_27upper_bound_config_selectorIsiEEZNS1_14transform_implILb0ES3_S5_N6thrust23THRUST_200600_302600_NS6detail15normal_iteratorINS8_10device_ptrIsEEEENSA_INSB_IiEEEEZNS1_13binary_searchIS3_S5_SD_SD_SF_NS1_21upper_bound_search_opENS9_16wrapped_functionINS0_4lessIvEEbEEEE10hipError_tPvRmT1_T2_T3_mmT4_T5_P12ihipStream_tbEUlRKsE_EESM_SQ_SR_mSS_SV_bEUlT_E_NS1_11comp_targetILNS1_3genE8ELNS1_11target_archE1030ELNS1_3gpuE2ELNS1_3repE0EEENS1_30default_config_static_selectorELNS0_4arch9wavefront6targetE1EEEvSP_,"axG",@progbits,_ZN7rocprim17ROCPRIM_400000_NS6detail17trampoline_kernelINS0_14default_configENS1_27upper_bound_config_selectorIsiEEZNS1_14transform_implILb0ES3_S5_N6thrust23THRUST_200600_302600_NS6detail15normal_iteratorINS8_10device_ptrIsEEEENSA_INSB_IiEEEEZNS1_13binary_searchIS3_S5_SD_SD_SF_NS1_21upper_bound_search_opENS9_16wrapped_functionINS0_4lessIvEEbEEEE10hipError_tPvRmT1_T2_T3_mmT4_T5_P12ihipStream_tbEUlRKsE_EESM_SQ_SR_mSS_SV_bEUlT_E_NS1_11comp_targetILNS1_3genE8ELNS1_11target_archE1030ELNS1_3gpuE2ELNS1_3repE0EEENS1_30default_config_static_selectorELNS0_4arch9wavefront6targetE1EEEvSP_,comdat
.Lfunc_end401:
	.size	_ZN7rocprim17ROCPRIM_400000_NS6detail17trampoline_kernelINS0_14default_configENS1_27upper_bound_config_selectorIsiEEZNS1_14transform_implILb0ES3_S5_N6thrust23THRUST_200600_302600_NS6detail15normal_iteratorINS8_10device_ptrIsEEEENSA_INSB_IiEEEEZNS1_13binary_searchIS3_S5_SD_SD_SF_NS1_21upper_bound_search_opENS9_16wrapped_functionINS0_4lessIvEEbEEEE10hipError_tPvRmT1_T2_T3_mmT4_T5_P12ihipStream_tbEUlRKsE_EESM_SQ_SR_mSS_SV_bEUlT_E_NS1_11comp_targetILNS1_3genE8ELNS1_11target_archE1030ELNS1_3gpuE2ELNS1_3repE0EEENS1_30default_config_static_selectorELNS0_4arch9wavefront6targetE1EEEvSP_, .Lfunc_end401-_ZN7rocprim17ROCPRIM_400000_NS6detail17trampoline_kernelINS0_14default_configENS1_27upper_bound_config_selectorIsiEEZNS1_14transform_implILb0ES3_S5_N6thrust23THRUST_200600_302600_NS6detail15normal_iteratorINS8_10device_ptrIsEEEENSA_INSB_IiEEEEZNS1_13binary_searchIS3_S5_SD_SD_SF_NS1_21upper_bound_search_opENS9_16wrapped_functionINS0_4lessIvEEbEEEE10hipError_tPvRmT1_T2_T3_mmT4_T5_P12ihipStream_tbEUlRKsE_EESM_SQ_SR_mSS_SV_bEUlT_E_NS1_11comp_targetILNS1_3genE8ELNS1_11target_archE1030ELNS1_3gpuE2ELNS1_3repE0EEENS1_30default_config_static_selectorELNS0_4arch9wavefront6targetE1EEEvSP_
                                        ; -- End function
	.section	.AMDGPU.csdata,"",@progbits
; Kernel info:
; codeLenInByte = 0
; NumSgprs: 4
; NumVgprs: 0
; NumAgprs: 0
; TotalNumVgprs: 0
; ScratchSize: 0
; MemoryBound: 0
; FloatMode: 240
; IeeeMode: 1
; LDSByteSize: 0 bytes/workgroup (compile time only)
; SGPRBlocks: 0
; VGPRBlocks: 0
; NumSGPRsForWavesPerEU: 4
; NumVGPRsForWavesPerEU: 1
; AccumOffset: 4
; Occupancy: 8
; WaveLimiterHint : 0
; COMPUTE_PGM_RSRC2:SCRATCH_EN: 0
; COMPUTE_PGM_RSRC2:USER_SGPR: 6
; COMPUTE_PGM_RSRC2:TRAP_HANDLER: 0
; COMPUTE_PGM_RSRC2:TGID_X_EN: 1
; COMPUTE_PGM_RSRC2:TGID_Y_EN: 0
; COMPUTE_PGM_RSRC2:TGID_Z_EN: 0
; COMPUTE_PGM_RSRC2:TIDIG_COMP_CNT: 0
; COMPUTE_PGM_RSRC3_GFX90A:ACCUM_OFFSET: 0
; COMPUTE_PGM_RSRC3_GFX90A:TG_SPLIT: 0
	.section	.text._ZN7rocprim17ROCPRIM_400000_NS6detail17trampoline_kernelINS0_14default_configENS1_29binary_search_config_selectorIdbEEZNS1_14transform_implILb0ES3_S5_N6thrust23THRUST_200600_302600_NS6detail15normal_iteratorINS8_10device_ptrIdEEEENSA_INSB_IbEEEEZNS1_13binary_searchIS3_S5_SD_SD_SF_NS1_16binary_search_opENS9_16wrapped_functionINS0_4lessIvEEbEEEE10hipError_tPvRmT1_T2_T3_mmT4_T5_P12ihipStream_tbEUlRKdE_EESM_SQ_SR_mSS_SV_bEUlT_E_NS1_11comp_targetILNS1_3genE0ELNS1_11target_archE4294967295ELNS1_3gpuE0ELNS1_3repE0EEENS1_30default_config_static_selectorELNS0_4arch9wavefront6targetE1EEEvSP_,"axG",@progbits,_ZN7rocprim17ROCPRIM_400000_NS6detail17trampoline_kernelINS0_14default_configENS1_29binary_search_config_selectorIdbEEZNS1_14transform_implILb0ES3_S5_N6thrust23THRUST_200600_302600_NS6detail15normal_iteratorINS8_10device_ptrIdEEEENSA_INSB_IbEEEEZNS1_13binary_searchIS3_S5_SD_SD_SF_NS1_16binary_search_opENS9_16wrapped_functionINS0_4lessIvEEbEEEE10hipError_tPvRmT1_T2_T3_mmT4_T5_P12ihipStream_tbEUlRKdE_EESM_SQ_SR_mSS_SV_bEUlT_E_NS1_11comp_targetILNS1_3genE0ELNS1_11target_archE4294967295ELNS1_3gpuE0ELNS1_3repE0EEENS1_30default_config_static_selectorELNS0_4arch9wavefront6targetE1EEEvSP_,comdat
	.protected	_ZN7rocprim17ROCPRIM_400000_NS6detail17trampoline_kernelINS0_14default_configENS1_29binary_search_config_selectorIdbEEZNS1_14transform_implILb0ES3_S5_N6thrust23THRUST_200600_302600_NS6detail15normal_iteratorINS8_10device_ptrIdEEEENSA_INSB_IbEEEEZNS1_13binary_searchIS3_S5_SD_SD_SF_NS1_16binary_search_opENS9_16wrapped_functionINS0_4lessIvEEbEEEE10hipError_tPvRmT1_T2_T3_mmT4_T5_P12ihipStream_tbEUlRKdE_EESM_SQ_SR_mSS_SV_bEUlT_E_NS1_11comp_targetILNS1_3genE0ELNS1_11target_archE4294967295ELNS1_3gpuE0ELNS1_3repE0EEENS1_30default_config_static_selectorELNS0_4arch9wavefront6targetE1EEEvSP_ ; -- Begin function _ZN7rocprim17ROCPRIM_400000_NS6detail17trampoline_kernelINS0_14default_configENS1_29binary_search_config_selectorIdbEEZNS1_14transform_implILb0ES3_S5_N6thrust23THRUST_200600_302600_NS6detail15normal_iteratorINS8_10device_ptrIdEEEENSA_INSB_IbEEEEZNS1_13binary_searchIS3_S5_SD_SD_SF_NS1_16binary_search_opENS9_16wrapped_functionINS0_4lessIvEEbEEEE10hipError_tPvRmT1_T2_T3_mmT4_T5_P12ihipStream_tbEUlRKdE_EESM_SQ_SR_mSS_SV_bEUlT_E_NS1_11comp_targetILNS1_3genE0ELNS1_11target_archE4294967295ELNS1_3gpuE0ELNS1_3repE0EEENS1_30default_config_static_selectorELNS0_4arch9wavefront6targetE1EEEvSP_
	.globl	_ZN7rocprim17ROCPRIM_400000_NS6detail17trampoline_kernelINS0_14default_configENS1_29binary_search_config_selectorIdbEEZNS1_14transform_implILb0ES3_S5_N6thrust23THRUST_200600_302600_NS6detail15normal_iteratorINS8_10device_ptrIdEEEENSA_INSB_IbEEEEZNS1_13binary_searchIS3_S5_SD_SD_SF_NS1_16binary_search_opENS9_16wrapped_functionINS0_4lessIvEEbEEEE10hipError_tPvRmT1_T2_T3_mmT4_T5_P12ihipStream_tbEUlRKdE_EESM_SQ_SR_mSS_SV_bEUlT_E_NS1_11comp_targetILNS1_3genE0ELNS1_11target_archE4294967295ELNS1_3gpuE0ELNS1_3repE0EEENS1_30default_config_static_selectorELNS0_4arch9wavefront6targetE1EEEvSP_
	.p2align	8
	.type	_ZN7rocprim17ROCPRIM_400000_NS6detail17trampoline_kernelINS0_14default_configENS1_29binary_search_config_selectorIdbEEZNS1_14transform_implILb0ES3_S5_N6thrust23THRUST_200600_302600_NS6detail15normal_iteratorINS8_10device_ptrIdEEEENSA_INSB_IbEEEEZNS1_13binary_searchIS3_S5_SD_SD_SF_NS1_16binary_search_opENS9_16wrapped_functionINS0_4lessIvEEbEEEE10hipError_tPvRmT1_T2_T3_mmT4_T5_P12ihipStream_tbEUlRKdE_EESM_SQ_SR_mSS_SV_bEUlT_E_NS1_11comp_targetILNS1_3genE0ELNS1_11target_archE4294967295ELNS1_3gpuE0ELNS1_3repE0EEENS1_30default_config_static_selectorELNS0_4arch9wavefront6targetE1EEEvSP_,@function
_ZN7rocprim17ROCPRIM_400000_NS6detail17trampoline_kernelINS0_14default_configENS1_29binary_search_config_selectorIdbEEZNS1_14transform_implILb0ES3_S5_N6thrust23THRUST_200600_302600_NS6detail15normal_iteratorINS8_10device_ptrIdEEEENSA_INSB_IbEEEEZNS1_13binary_searchIS3_S5_SD_SD_SF_NS1_16binary_search_opENS9_16wrapped_functionINS0_4lessIvEEbEEEE10hipError_tPvRmT1_T2_T3_mmT4_T5_P12ihipStream_tbEUlRKdE_EESM_SQ_SR_mSS_SV_bEUlT_E_NS1_11comp_targetILNS1_3genE0ELNS1_11target_archE4294967295ELNS1_3gpuE0ELNS1_3repE0EEENS1_30default_config_static_selectorELNS0_4arch9wavefront6targetE1EEEvSP_: ; @_ZN7rocprim17ROCPRIM_400000_NS6detail17trampoline_kernelINS0_14default_configENS1_29binary_search_config_selectorIdbEEZNS1_14transform_implILb0ES3_S5_N6thrust23THRUST_200600_302600_NS6detail15normal_iteratorINS8_10device_ptrIdEEEENSA_INSB_IbEEEEZNS1_13binary_searchIS3_S5_SD_SD_SF_NS1_16binary_search_opENS9_16wrapped_functionINS0_4lessIvEEbEEEE10hipError_tPvRmT1_T2_T3_mmT4_T5_P12ihipStream_tbEUlRKdE_EESM_SQ_SR_mSS_SV_bEUlT_E_NS1_11comp_targetILNS1_3genE0ELNS1_11target_archE4294967295ELNS1_3gpuE0ELNS1_3repE0EEENS1_30default_config_static_selectorELNS0_4arch9wavefront6targetE1EEEvSP_
; %bb.0:
	.section	.rodata,"a",@progbits
	.p2align	6, 0x0
	.amdhsa_kernel _ZN7rocprim17ROCPRIM_400000_NS6detail17trampoline_kernelINS0_14default_configENS1_29binary_search_config_selectorIdbEEZNS1_14transform_implILb0ES3_S5_N6thrust23THRUST_200600_302600_NS6detail15normal_iteratorINS8_10device_ptrIdEEEENSA_INSB_IbEEEEZNS1_13binary_searchIS3_S5_SD_SD_SF_NS1_16binary_search_opENS9_16wrapped_functionINS0_4lessIvEEbEEEE10hipError_tPvRmT1_T2_T3_mmT4_T5_P12ihipStream_tbEUlRKdE_EESM_SQ_SR_mSS_SV_bEUlT_E_NS1_11comp_targetILNS1_3genE0ELNS1_11target_archE4294967295ELNS1_3gpuE0ELNS1_3repE0EEENS1_30default_config_static_selectorELNS0_4arch9wavefront6targetE1EEEvSP_
		.amdhsa_group_segment_fixed_size 0
		.amdhsa_private_segment_fixed_size 0
		.amdhsa_kernarg_size 56
		.amdhsa_user_sgpr_count 6
		.amdhsa_user_sgpr_private_segment_buffer 1
		.amdhsa_user_sgpr_dispatch_ptr 0
		.amdhsa_user_sgpr_queue_ptr 0
		.amdhsa_user_sgpr_kernarg_segment_ptr 1
		.amdhsa_user_sgpr_dispatch_id 0
		.amdhsa_user_sgpr_flat_scratch_init 0
		.amdhsa_user_sgpr_kernarg_preload_length 0
		.amdhsa_user_sgpr_kernarg_preload_offset 0
		.amdhsa_user_sgpr_private_segment_size 0
		.amdhsa_uses_dynamic_stack 0
		.amdhsa_system_sgpr_private_segment_wavefront_offset 0
		.amdhsa_system_sgpr_workgroup_id_x 1
		.amdhsa_system_sgpr_workgroup_id_y 0
		.amdhsa_system_sgpr_workgroup_id_z 0
		.amdhsa_system_sgpr_workgroup_info 0
		.amdhsa_system_vgpr_workitem_id 0
		.amdhsa_next_free_vgpr 1
		.amdhsa_next_free_sgpr 0
		.amdhsa_accum_offset 4
		.amdhsa_reserve_vcc 0
		.amdhsa_reserve_flat_scratch 0
		.amdhsa_float_round_mode_32 0
		.amdhsa_float_round_mode_16_64 0
		.amdhsa_float_denorm_mode_32 3
		.amdhsa_float_denorm_mode_16_64 3
		.amdhsa_dx10_clamp 1
		.amdhsa_ieee_mode 1
		.amdhsa_fp16_overflow 0
		.amdhsa_tg_split 0
		.amdhsa_exception_fp_ieee_invalid_op 0
		.amdhsa_exception_fp_denorm_src 0
		.amdhsa_exception_fp_ieee_div_zero 0
		.amdhsa_exception_fp_ieee_overflow 0
		.amdhsa_exception_fp_ieee_underflow 0
		.amdhsa_exception_fp_ieee_inexact 0
		.amdhsa_exception_int_div_zero 0
	.end_amdhsa_kernel
	.section	.text._ZN7rocprim17ROCPRIM_400000_NS6detail17trampoline_kernelINS0_14default_configENS1_29binary_search_config_selectorIdbEEZNS1_14transform_implILb0ES3_S5_N6thrust23THRUST_200600_302600_NS6detail15normal_iteratorINS8_10device_ptrIdEEEENSA_INSB_IbEEEEZNS1_13binary_searchIS3_S5_SD_SD_SF_NS1_16binary_search_opENS9_16wrapped_functionINS0_4lessIvEEbEEEE10hipError_tPvRmT1_T2_T3_mmT4_T5_P12ihipStream_tbEUlRKdE_EESM_SQ_SR_mSS_SV_bEUlT_E_NS1_11comp_targetILNS1_3genE0ELNS1_11target_archE4294967295ELNS1_3gpuE0ELNS1_3repE0EEENS1_30default_config_static_selectorELNS0_4arch9wavefront6targetE1EEEvSP_,"axG",@progbits,_ZN7rocprim17ROCPRIM_400000_NS6detail17trampoline_kernelINS0_14default_configENS1_29binary_search_config_selectorIdbEEZNS1_14transform_implILb0ES3_S5_N6thrust23THRUST_200600_302600_NS6detail15normal_iteratorINS8_10device_ptrIdEEEENSA_INSB_IbEEEEZNS1_13binary_searchIS3_S5_SD_SD_SF_NS1_16binary_search_opENS9_16wrapped_functionINS0_4lessIvEEbEEEE10hipError_tPvRmT1_T2_T3_mmT4_T5_P12ihipStream_tbEUlRKdE_EESM_SQ_SR_mSS_SV_bEUlT_E_NS1_11comp_targetILNS1_3genE0ELNS1_11target_archE4294967295ELNS1_3gpuE0ELNS1_3repE0EEENS1_30default_config_static_selectorELNS0_4arch9wavefront6targetE1EEEvSP_,comdat
.Lfunc_end402:
	.size	_ZN7rocprim17ROCPRIM_400000_NS6detail17trampoline_kernelINS0_14default_configENS1_29binary_search_config_selectorIdbEEZNS1_14transform_implILb0ES3_S5_N6thrust23THRUST_200600_302600_NS6detail15normal_iteratorINS8_10device_ptrIdEEEENSA_INSB_IbEEEEZNS1_13binary_searchIS3_S5_SD_SD_SF_NS1_16binary_search_opENS9_16wrapped_functionINS0_4lessIvEEbEEEE10hipError_tPvRmT1_T2_T3_mmT4_T5_P12ihipStream_tbEUlRKdE_EESM_SQ_SR_mSS_SV_bEUlT_E_NS1_11comp_targetILNS1_3genE0ELNS1_11target_archE4294967295ELNS1_3gpuE0ELNS1_3repE0EEENS1_30default_config_static_selectorELNS0_4arch9wavefront6targetE1EEEvSP_, .Lfunc_end402-_ZN7rocprim17ROCPRIM_400000_NS6detail17trampoline_kernelINS0_14default_configENS1_29binary_search_config_selectorIdbEEZNS1_14transform_implILb0ES3_S5_N6thrust23THRUST_200600_302600_NS6detail15normal_iteratorINS8_10device_ptrIdEEEENSA_INSB_IbEEEEZNS1_13binary_searchIS3_S5_SD_SD_SF_NS1_16binary_search_opENS9_16wrapped_functionINS0_4lessIvEEbEEEE10hipError_tPvRmT1_T2_T3_mmT4_T5_P12ihipStream_tbEUlRKdE_EESM_SQ_SR_mSS_SV_bEUlT_E_NS1_11comp_targetILNS1_3genE0ELNS1_11target_archE4294967295ELNS1_3gpuE0ELNS1_3repE0EEENS1_30default_config_static_selectorELNS0_4arch9wavefront6targetE1EEEvSP_
                                        ; -- End function
	.section	.AMDGPU.csdata,"",@progbits
; Kernel info:
; codeLenInByte = 0
; NumSgprs: 4
; NumVgprs: 0
; NumAgprs: 0
; TotalNumVgprs: 0
; ScratchSize: 0
; MemoryBound: 0
; FloatMode: 240
; IeeeMode: 1
; LDSByteSize: 0 bytes/workgroup (compile time only)
; SGPRBlocks: 0
; VGPRBlocks: 0
; NumSGPRsForWavesPerEU: 4
; NumVGPRsForWavesPerEU: 1
; AccumOffset: 4
; Occupancy: 8
; WaveLimiterHint : 0
; COMPUTE_PGM_RSRC2:SCRATCH_EN: 0
; COMPUTE_PGM_RSRC2:USER_SGPR: 6
; COMPUTE_PGM_RSRC2:TRAP_HANDLER: 0
; COMPUTE_PGM_RSRC2:TGID_X_EN: 1
; COMPUTE_PGM_RSRC2:TGID_Y_EN: 0
; COMPUTE_PGM_RSRC2:TGID_Z_EN: 0
; COMPUTE_PGM_RSRC2:TIDIG_COMP_CNT: 0
; COMPUTE_PGM_RSRC3_GFX90A:ACCUM_OFFSET: 0
; COMPUTE_PGM_RSRC3_GFX90A:TG_SPLIT: 0
	.section	.text._ZN7rocprim17ROCPRIM_400000_NS6detail17trampoline_kernelINS0_14default_configENS1_29binary_search_config_selectorIdbEEZNS1_14transform_implILb0ES3_S5_N6thrust23THRUST_200600_302600_NS6detail15normal_iteratorINS8_10device_ptrIdEEEENSA_INSB_IbEEEEZNS1_13binary_searchIS3_S5_SD_SD_SF_NS1_16binary_search_opENS9_16wrapped_functionINS0_4lessIvEEbEEEE10hipError_tPvRmT1_T2_T3_mmT4_T5_P12ihipStream_tbEUlRKdE_EESM_SQ_SR_mSS_SV_bEUlT_E_NS1_11comp_targetILNS1_3genE5ELNS1_11target_archE942ELNS1_3gpuE9ELNS1_3repE0EEENS1_30default_config_static_selectorELNS0_4arch9wavefront6targetE1EEEvSP_,"axG",@progbits,_ZN7rocprim17ROCPRIM_400000_NS6detail17trampoline_kernelINS0_14default_configENS1_29binary_search_config_selectorIdbEEZNS1_14transform_implILb0ES3_S5_N6thrust23THRUST_200600_302600_NS6detail15normal_iteratorINS8_10device_ptrIdEEEENSA_INSB_IbEEEEZNS1_13binary_searchIS3_S5_SD_SD_SF_NS1_16binary_search_opENS9_16wrapped_functionINS0_4lessIvEEbEEEE10hipError_tPvRmT1_T2_T3_mmT4_T5_P12ihipStream_tbEUlRKdE_EESM_SQ_SR_mSS_SV_bEUlT_E_NS1_11comp_targetILNS1_3genE5ELNS1_11target_archE942ELNS1_3gpuE9ELNS1_3repE0EEENS1_30default_config_static_selectorELNS0_4arch9wavefront6targetE1EEEvSP_,comdat
	.protected	_ZN7rocprim17ROCPRIM_400000_NS6detail17trampoline_kernelINS0_14default_configENS1_29binary_search_config_selectorIdbEEZNS1_14transform_implILb0ES3_S5_N6thrust23THRUST_200600_302600_NS6detail15normal_iteratorINS8_10device_ptrIdEEEENSA_INSB_IbEEEEZNS1_13binary_searchIS3_S5_SD_SD_SF_NS1_16binary_search_opENS9_16wrapped_functionINS0_4lessIvEEbEEEE10hipError_tPvRmT1_T2_T3_mmT4_T5_P12ihipStream_tbEUlRKdE_EESM_SQ_SR_mSS_SV_bEUlT_E_NS1_11comp_targetILNS1_3genE5ELNS1_11target_archE942ELNS1_3gpuE9ELNS1_3repE0EEENS1_30default_config_static_selectorELNS0_4arch9wavefront6targetE1EEEvSP_ ; -- Begin function _ZN7rocprim17ROCPRIM_400000_NS6detail17trampoline_kernelINS0_14default_configENS1_29binary_search_config_selectorIdbEEZNS1_14transform_implILb0ES3_S5_N6thrust23THRUST_200600_302600_NS6detail15normal_iteratorINS8_10device_ptrIdEEEENSA_INSB_IbEEEEZNS1_13binary_searchIS3_S5_SD_SD_SF_NS1_16binary_search_opENS9_16wrapped_functionINS0_4lessIvEEbEEEE10hipError_tPvRmT1_T2_T3_mmT4_T5_P12ihipStream_tbEUlRKdE_EESM_SQ_SR_mSS_SV_bEUlT_E_NS1_11comp_targetILNS1_3genE5ELNS1_11target_archE942ELNS1_3gpuE9ELNS1_3repE0EEENS1_30default_config_static_selectorELNS0_4arch9wavefront6targetE1EEEvSP_
	.globl	_ZN7rocprim17ROCPRIM_400000_NS6detail17trampoline_kernelINS0_14default_configENS1_29binary_search_config_selectorIdbEEZNS1_14transform_implILb0ES3_S5_N6thrust23THRUST_200600_302600_NS6detail15normal_iteratorINS8_10device_ptrIdEEEENSA_INSB_IbEEEEZNS1_13binary_searchIS3_S5_SD_SD_SF_NS1_16binary_search_opENS9_16wrapped_functionINS0_4lessIvEEbEEEE10hipError_tPvRmT1_T2_T3_mmT4_T5_P12ihipStream_tbEUlRKdE_EESM_SQ_SR_mSS_SV_bEUlT_E_NS1_11comp_targetILNS1_3genE5ELNS1_11target_archE942ELNS1_3gpuE9ELNS1_3repE0EEENS1_30default_config_static_selectorELNS0_4arch9wavefront6targetE1EEEvSP_
	.p2align	8
	.type	_ZN7rocprim17ROCPRIM_400000_NS6detail17trampoline_kernelINS0_14default_configENS1_29binary_search_config_selectorIdbEEZNS1_14transform_implILb0ES3_S5_N6thrust23THRUST_200600_302600_NS6detail15normal_iteratorINS8_10device_ptrIdEEEENSA_INSB_IbEEEEZNS1_13binary_searchIS3_S5_SD_SD_SF_NS1_16binary_search_opENS9_16wrapped_functionINS0_4lessIvEEbEEEE10hipError_tPvRmT1_T2_T3_mmT4_T5_P12ihipStream_tbEUlRKdE_EESM_SQ_SR_mSS_SV_bEUlT_E_NS1_11comp_targetILNS1_3genE5ELNS1_11target_archE942ELNS1_3gpuE9ELNS1_3repE0EEENS1_30default_config_static_selectorELNS0_4arch9wavefront6targetE1EEEvSP_,@function
_ZN7rocprim17ROCPRIM_400000_NS6detail17trampoline_kernelINS0_14default_configENS1_29binary_search_config_selectorIdbEEZNS1_14transform_implILb0ES3_S5_N6thrust23THRUST_200600_302600_NS6detail15normal_iteratorINS8_10device_ptrIdEEEENSA_INSB_IbEEEEZNS1_13binary_searchIS3_S5_SD_SD_SF_NS1_16binary_search_opENS9_16wrapped_functionINS0_4lessIvEEbEEEE10hipError_tPvRmT1_T2_T3_mmT4_T5_P12ihipStream_tbEUlRKdE_EESM_SQ_SR_mSS_SV_bEUlT_E_NS1_11comp_targetILNS1_3genE5ELNS1_11target_archE942ELNS1_3gpuE9ELNS1_3repE0EEENS1_30default_config_static_selectorELNS0_4arch9wavefront6targetE1EEEvSP_: ; @_ZN7rocprim17ROCPRIM_400000_NS6detail17trampoline_kernelINS0_14default_configENS1_29binary_search_config_selectorIdbEEZNS1_14transform_implILb0ES3_S5_N6thrust23THRUST_200600_302600_NS6detail15normal_iteratorINS8_10device_ptrIdEEEENSA_INSB_IbEEEEZNS1_13binary_searchIS3_S5_SD_SD_SF_NS1_16binary_search_opENS9_16wrapped_functionINS0_4lessIvEEbEEEE10hipError_tPvRmT1_T2_T3_mmT4_T5_P12ihipStream_tbEUlRKdE_EESM_SQ_SR_mSS_SV_bEUlT_E_NS1_11comp_targetILNS1_3genE5ELNS1_11target_archE942ELNS1_3gpuE9ELNS1_3repE0EEENS1_30default_config_static_selectorELNS0_4arch9wavefront6targetE1EEEvSP_
; %bb.0:
	.section	.rodata,"a",@progbits
	.p2align	6, 0x0
	.amdhsa_kernel _ZN7rocprim17ROCPRIM_400000_NS6detail17trampoline_kernelINS0_14default_configENS1_29binary_search_config_selectorIdbEEZNS1_14transform_implILb0ES3_S5_N6thrust23THRUST_200600_302600_NS6detail15normal_iteratorINS8_10device_ptrIdEEEENSA_INSB_IbEEEEZNS1_13binary_searchIS3_S5_SD_SD_SF_NS1_16binary_search_opENS9_16wrapped_functionINS0_4lessIvEEbEEEE10hipError_tPvRmT1_T2_T3_mmT4_T5_P12ihipStream_tbEUlRKdE_EESM_SQ_SR_mSS_SV_bEUlT_E_NS1_11comp_targetILNS1_3genE5ELNS1_11target_archE942ELNS1_3gpuE9ELNS1_3repE0EEENS1_30default_config_static_selectorELNS0_4arch9wavefront6targetE1EEEvSP_
		.amdhsa_group_segment_fixed_size 0
		.amdhsa_private_segment_fixed_size 0
		.amdhsa_kernarg_size 56
		.amdhsa_user_sgpr_count 6
		.amdhsa_user_sgpr_private_segment_buffer 1
		.amdhsa_user_sgpr_dispatch_ptr 0
		.amdhsa_user_sgpr_queue_ptr 0
		.amdhsa_user_sgpr_kernarg_segment_ptr 1
		.amdhsa_user_sgpr_dispatch_id 0
		.amdhsa_user_sgpr_flat_scratch_init 0
		.amdhsa_user_sgpr_kernarg_preload_length 0
		.amdhsa_user_sgpr_kernarg_preload_offset 0
		.amdhsa_user_sgpr_private_segment_size 0
		.amdhsa_uses_dynamic_stack 0
		.amdhsa_system_sgpr_private_segment_wavefront_offset 0
		.amdhsa_system_sgpr_workgroup_id_x 1
		.amdhsa_system_sgpr_workgroup_id_y 0
		.amdhsa_system_sgpr_workgroup_id_z 0
		.amdhsa_system_sgpr_workgroup_info 0
		.amdhsa_system_vgpr_workitem_id 0
		.amdhsa_next_free_vgpr 1
		.amdhsa_next_free_sgpr 0
		.amdhsa_accum_offset 4
		.amdhsa_reserve_vcc 0
		.amdhsa_reserve_flat_scratch 0
		.amdhsa_float_round_mode_32 0
		.amdhsa_float_round_mode_16_64 0
		.amdhsa_float_denorm_mode_32 3
		.amdhsa_float_denorm_mode_16_64 3
		.amdhsa_dx10_clamp 1
		.amdhsa_ieee_mode 1
		.amdhsa_fp16_overflow 0
		.amdhsa_tg_split 0
		.amdhsa_exception_fp_ieee_invalid_op 0
		.amdhsa_exception_fp_denorm_src 0
		.amdhsa_exception_fp_ieee_div_zero 0
		.amdhsa_exception_fp_ieee_overflow 0
		.amdhsa_exception_fp_ieee_underflow 0
		.amdhsa_exception_fp_ieee_inexact 0
		.amdhsa_exception_int_div_zero 0
	.end_amdhsa_kernel
	.section	.text._ZN7rocprim17ROCPRIM_400000_NS6detail17trampoline_kernelINS0_14default_configENS1_29binary_search_config_selectorIdbEEZNS1_14transform_implILb0ES3_S5_N6thrust23THRUST_200600_302600_NS6detail15normal_iteratorINS8_10device_ptrIdEEEENSA_INSB_IbEEEEZNS1_13binary_searchIS3_S5_SD_SD_SF_NS1_16binary_search_opENS9_16wrapped_functionINS0_4lessIvEEbEEEE10hipError_tPvRmT1_T2_T3_mmT4_T5_P12ihipStream_tbEUlRKdE_EESM_SQ_SR_mSS_SV_bEUlT_E_NS1_11comp_targetILNS1_3genE5ELNS1_11target_archE942ELNS1_3gpuE9ELNS1_3repE0EEENS1_30default_config_static_selectorELNS0_4arch9wavefront6targetE1EEEvSP_,"axG",@progbits,_ZN7rocprim17ROCPRIM_400000_NS6detail17trampoline_kernelINS0_14default_configENS1_29binary_search_config_selectorIdbEEZNS1_14transform_implILb0ES3_S5_N6thrust23THRUST_200600_302600_NS6detail15normal_iteratorINS8_10device_ptrIdEEEENSA_INSB_IbEEEEZNS1_13binary_searchIS3_S5_SD_SD_SF_NS1_16binary_search_opENS9_16wrapped_functionINS0_4lessIvEEbEEEE10hipError_tPvRmT1_T2_T3_mmT4_T5_P12ihipStream_tbEUlRKdE_EESM_SQ_SR_mSS_SV_bEUlT_E_NS1_11comp_targetILNS1_3genE5ELNS1_11target_archE942ELNS1_3gpuE9ELNS1_3repE0EEENS1_30default_config_static_selectorELNS0_4arch9wavefront6targetE1EEEvSP_,comdat
.Lfunc_end403:
	.size	_ZN7rocprim17ROCPRIM_400000_NS6detail17trampoline_kernelINS0_14default_configENS1_29binary_search_config_selectorIdbEEZNS1_14transform_implILb0ES3_S5_N6thrust23THRUST_200600_302600_NS6detail15normal_iteratorINS8_10device_ptrIdEEEENSA_INSB_IbEEEEZNS1_13binary_searchIS3_S5_SD_SD_SF_NS1_16binary_search_opENS9_16wrapped_functionINS0_4lessIvEEbEEEE10hipError_tPvRmT1_T2_T3_mmT4_T5_P12ihipStream_tbEUlRKdE_EESM_SQ_SR_mSS_SV_bEUlT_E_NS1_11comp_targetILNS1_3genE5ELNS1_11target_archE942ELNS1_3gpuE9ELNS1_3repE0EEENS1_30default_config_static_selectorELNS0_4arch9wavefront6targetE1EEEvSP_, .Lfunc_end403-_ZN7rocprim17ROCPRIM_400000_NS6detail17trampoline_kernelINS0_14default_configENS1_29binary_search_config_selectorIdbEEZNS1_14transform_implILb0ES3_S5_N6thrust23THRUST_200600_302600_NS6detail15normal_iteratorINS8_10device_ptrIdEEEENSA_INSB_IbEEEEZNS1_13binary_searchIS3_S5_SD_SD_SF_NS1_16binary_search_opENS9_16wrapped_functionINS0_4lessIvEEbEEEE10hipError_tPvRmT1_T2_T3_mmT4_T5_P12ihipStream_tbEUlRKdE_EESM_SQ_SR_mSS_SV_bEUlT_E_NS1_11comp_targetILNS1_3genE5ELNS1_11target_archE942ELNS1_3gpuE9ELNS1_3repE0EEENS1_30default_config_static_selectorELNS0_4arch9wavefront6targetE1EEEvSP_
                                        ; -- End function
	.section	.AMDGPU.csdata,"",@progbits
; Kernel info:
; codeLenInByte = 0
; NumSgprs: 4
; NumVgprs: 0
; NumAgprs: 0
; TotalNumVgprs: 0
; ScratchSize: 0
; MemoryBound: 0
; FloatMode: 240
; IeeeMode: 1
; LDSByteSize: 0 bytes/workgroup (compile time only)
; SGPRBlocks: 0
; VGPRBlocks: 0
; NumSGPRsForWavesPerEU: 4
; NumVGPRsForWavesPerEU: 1
; AccumOffset: 4
; Occupancy: 8
; WaveLimiterHint : 0
; COMPUTE_PGM_RSRC2:SCRATCH_EN: 0
; COMPUTE_PGM_RSRC2:USER_SGPR: 6
; COMPUTE_PGM_RSRC2:TRAP_HANDLER: 0
; COMPUTE_PGM_RSRC2:TGID_X_EN: 1
; COMPUTE_PGM_RSRC2:TGID_Y_EN: 0
; COMPUTE_PGM_RSRC2:TGID_Z_EN: 0
; COMPUTE_PGM_RSRC2:TIDIG_COMP_CNT: 0
; COMPUTE_PGM_RSRC3_GFX90A:ACCUM_OFFSET: 0
; COMPUTE_PGM_RSRC3_GFX90A:TG_SPLIT: 0
	.section	.text._ZN7rocprim17ROCPRIM_400000_NS6detail17trampoline_kernelINS0_14default_configENS1_29binary_search_config_selectorIdbEEZNS1_14transform_implILb0ES3_S5_N6thrust23THRUST_200600_302600_NS6detail15normal_iteratorINS8_10device_ptrIdEEEENSA_INSB_IbEEEEZNS1_13binary_searchIS3_S5_SD_SD_SF_NS1_16binary_search_opENS9_16wrapped_functionINS0_4lessIvEEbEEEE10hipError_tPvRmT1_T2_T3_mmT4_T5_P12ihipStream_tbEUlRKdE_EESM_SQ_SR_mSS_SV_bEUlT_E_NS1_11comp_targetILNS1_3genE4ELNS1_11target_archE910ELNS1_3gpuE8ELNS1_3repE0EEENS1_30default_config_static_selectorELNS0_4arch9wavefront6targetE1EEEvSP_,"axG",@progbits,_ZN7rocprim17ROCPRIM_400000_NS6detail17trampoline_kernelINS0_14default_configENS1_29binary_search_config_selectorIdbEEZNS1_14transform_implILb0ES3_S5_N6thrust23THRUST_200600_302600_NS6detail15normal_iteratorINS8_10device_ptrIdEEEENSA_INSB_IbEEEEZNS1_13binary_searchIS3_S5_SD_SD_SF_NS1_16binary_search_opENS9_16wrapped_functionINS0_4lessIvEEbEEEE10hipError_tPvRmT1_T2_T3_mmT4_T5_P12ihipStream_tbEUlRKdE_EESM_SQ_SR_mSS_SV_bEUlT_E_NS1_11comp_targetILNS1_3genE4ELNS1_11target_archE910ELNS1_3gpuE8ELNS1_3repE0EEENS1_30default_config_static_selectorELNS0_4arch9wavefront6targetE1EEEvSP_,comdat
	.protected	_ZN7rocprim17ROCPRIM_400000_NS6detail17trampoline_kernelINS0_14default_configENS1_29binary_search_config_selectorIdbEEZNS1_14transform_implILb0ES3_S5_N6thrust23THRUST_200600_302600_NS6detail15normal_iteratorINS8_10device_ptrIdEEEENSA_INSB_IbEEEEZNS1_13binary_searchIS3_S5_SD_SD_SF_NS1_16binary_search_opENS9_16wrapped_functionINS0_4lessIvEEbEEEE10hipError_tPvRmT1_T2_T3_mmT4_T5_P12ihipStream_tbEUlRKdE_EESM_SQ_SR_mSS_SV_bEUlT_E_NS1_11comp_targetILNS1_3genE4ELNS1_11target_archE910ELNS1_3gpuE8ELNS1_3repE0EEENS1_30default_config_static_selectorELNS0_4arch9wavefront6targetE1EEEvSP_ ; -- Begin function _ZN7rocprim17ROCPRIM_400000_NS6detail17trampoline_kernelINS0_14default_configENS1_29binary_search_config_selectorIdbEEZNS1_14transform_implILb0ES3_S5_N6thrust23THRUST_200600_302600_NS6detail15normal_iteratorINS8_10device_ptrIdEEEENSA_INSB_IbEEEEZNS1_13binary_searchIS3_S5_SD_SD_SF_NS1_16binary_search_opENS9_16wrapped_functionINS0_4lessIvEEbEEEE10hipError_tPvRmT1_T2_T3_mmT4_T5_P12ihipStream_tbEUlRKdE_EESM_SQ_SR_mSS_SV_bEUlT_E_NS1_11comp_targetILNS1_3genE4ELNS1_11target_archE910ELNS1_3gpuE8ELNS1_3repE0EEENS1_30default_config_static_selectorELNS0_4arch9wavefront6targetE1EEEvSP_
	.globl	_ZN7rocprim17ROCPRIM_400000_NS6detail17trampoline_kernelINS0_14default_configENS1_29binary_search_config_selectorIdbEEZNS1_14transform_implILb0ES3_S5_N6thrust23THRUST_200600_302600_NS6detail15normal_iteratorINS8_10device_ptrIdEEEENSA_INSB_IbEEEEZNS1_13binary_searchIS3_S5_SD_SD_SF_NS1_16binary_search_opENS9_16wrapped_functionINS0_4lessIvEEbEEEE10hipError_tPvRmT1_T2_T3_mmT4_T5_P12ihipStream_tbEUlRKdE_EESM_SQ_SR_mSS_SV_bEUlT_E_NS1_11comp_targetILNS1_3genE4ELNS1_11target_archE910ELNS1_3gpuE8ELNS1_3repE0EEENS1_30default_config_static_selectorELNS0_4arch9wavefront6targetE1EEEvSP_
	.p2align	8
	.type	_ZN7rocprim17ROCPRIM_400000_NS6detail17trampoline_kernelINS0_14default_configENS1_29binary_search_config_selectorIdbEEZNS1_14transform_implILb0ES3_S5_N6thrust23THRUST_200600_302600_NS6detail15normal_iteratorINS8_10device_ptrIdEEEENSA_INSB_IbEEEEZNS1_13binary_searchIS3_S5_SD_SD_SF_NS1_16binary_search_opENS9_16wrapped_functionINS0_4lessIvEEbEEEE10hipError_tPvRmT1_T2_T3_mmT4_T5_P12ihipStream_tbEUlRKdE_EESM_SQ_SR_mSS_SV_bEUlT_E_NS1_11comp_targetILNS1_3genE4ELNS1_11target_archE910ELNS1_3gpuE8ELNS1_3repE0EEENS1_30default_config_static_selectorELNS0_4arch9wavefront6targetE1EEEvSP_,@function
_ZN7rocprim17ROCPRIM_400000_NS6detail17trampoline_kernelINS0_14default_configENS1_29binary_search_config_selectorIdbEEZNS1_14transform_implILb0ES3_S5_N6thrust23THRUST_200600_302600_NS6detail15normal_iteratorINS8_10device_ptrIdEEEENSA_INSB_IbEEEEZNS1_13binary_searchIS3_S5_SD_SD_SF_NS1_16binary_search_opENS9_16wrapped_functionINS0_4lessIvEEbEEEE10hipError_tPvRmT1_T2_T3_mmT4_T5_P12ihipStream_tbEUlRKdE_EESM_SQ_SR_mSS_SV_bEUlT_E_NS1_11comp_targetILNS1_3genE4ELNS1_11target_archE910ELNS1_3gpuE8ELNS1_3repE0EEENS1_30default_config_static_selectorELNS0_4arch9wavefront6targetE1EEEvSP_: ; @_ZN7rocprim17ROCPRIM_400000_NS6detail17trampoline_kernelINS0_14default_configENS1_29binary_search_config_selectorIdbEEZNS1_14transform_implILb0ES3_S5_N6thrust23THRUST_200600_302600_NS6detail15normal_iteratorINS8_10device_ptrIdEEEENSA_INSB_IbEEEEZNS1_13binary_searchIS3_S5_SD_SD_SF_NS1_16binary_search_opENS9_16wrapped_functionINS0_4lessIvEEbEEEE10hipError_tPvRmT1_T2_T3_mmT4_T5_P12ihipStream_tbEUlRKdE_EESM_SQ_SR_mSS_SV_bEUlT_E_NS1_11comp_targetILNS1_3genE4ELNS1_11target_archE910ELNS1_3gpuE8ELNS1_3repE0EEENS1_30default_config_static_selectorELNS0_4arch9wavefront6targetE1EEEvSP_
; %bb.0:
	s_load_dwordx4 s[12:15], s[4:5], 0x0
	s_load_dwordx4 s[0:3], s[4:5], 0x18
	s_load_dwordx2 s[10:11], s[4:5], 0x28
	s_load_dword s7, s[4:5], 0x38
	s_waitcnt lgkmcnt(0)
	s_lshl_b64 s[8:9], s[14:15], 3
	s_add_u32 s16, s12, s8
	s_addc_u32 s17, s13, s9
	s_add_u32 s14, s0, s14
	s_addc_u32 s15, s1, s15
	s_lshl_b32 s8, s6, 6
	s_add_i32 s7, s7, -1
	s_mov_b32 s9, 0
	s_cmp_lg_u32 s6, s7
	s_mov_b64 s[0:1], -1
	s_cbranch_scc0 .LBB404_8
; %bb.1:
	s_lshl_b64 s[0:1], s[8:9], 3
	s_add_u32 s0, s16, s0
	s_addc_u32 s1, s17, s1
	v_lshlrev_b32_e32 v1, 3, v0
	v_mov_b32_e32 v3, s1
	v_add_co_u32_e32 v2, vcc, s0, v1
	v_addc_co_u32_e32 v3, vcc, 0, v3, vcc
	flat_load_dwordx2 v[2:3], v[2:3]
	s_mov_b64 s[0:1], 0
	s_cmp_eq_u64 s[10:11], 0
	v_pk_mov_b32 v[4:5], 0, 0
	s_cbranch_scc1 .LBB404_5
; %bb.2:
	v_pk_mov_b32 v[4:5], 0, 0
	v_pk_mov_b32 v[6:7], s[10:11], s[10:11] op_sel:[0,1]
	v_mov_b32_e32 v1, s3
.LBB404_3:                              ; =>This Inner Loop Header: Depth=1
	v_sub_co_u32_e32 v8, vcc, v6, v4
	v_subb_co_u32_e32 v9, vcc, v7, v5, vcc
	v_lshrrev_b64 v[10:11], 1, v[8:9]
	v_add_co_u32_e32 v10, vcc, v10, v4
	v_lshrrev_b64 v[8:9], 6, v[8:9]
	v_addc_co_u32_e32 v11, vcc, v11, v5, vcc
	v_add_co_u32_e32 v8, vcc, v10, v8
	v_addc_co_u32_e32 v9, vcc, v11, v9, vcc
	v_lshlrev_b64 v[10:11], 3, v[8:9]
	v_add_co_u32_e32 v10, vcc, s2, v10
	v_addc_co_u32_e32 v11, vcc, v1, v11, vcc
	global_load_dwordx2 v[10:11], v[10:11], off
	v_add_co_u32_e32 v12, vcc, 1, v8
	v_addc_co_u32_e32 v13, vcc, 0, v9, vcc
	s_waitcnt vmcnt(0) lgkmcnt(0)
	v_cmp_lt_f64_e32 vcc, v[10:11], v[2:3]
	v_cndmask_b32_e32 v7, v9, v7, vcc
	v_cndmask_b32_e32 v6, v8, v6, vcc
	;; [unrolled: 1-line block ×4, first 2 shown]
	v_cmp_ge_u64_e32 vcc, v[4:5], v[6:7]
	s_or_b64 s[0:1], vcc, s[0:1]
	s_andn2_b64 exec, exec, s[0:1]
	s_cbranch_execnz .LBB404_3
; %bb.4:
	s_or_b64 exec, exec, s[0:1]
.LBB404_5:
	v_cmp_ne_u64_e32 vcc, s[10:11], v[4:5]
	s_mov_b64 s[0:1], 0
	s_mov_b64 s[12:13], 0
	s_and_saveexec_b64 s[6:7], vcc
	s_cbranch_execz .LBB404_7
; %bb.6:
	v_lshlrev_b64 v[4:5], 3, v[4:5]
	v_mov_b32_e32 v1, s3
	v_add_co_u32_e32 v4, vcc, s2, v4
	v_addc_co_u32_e32 v5, vcc, v1, v5, vcc
	global_load_dwordx2 v[4:5], v[4:5], off
	s_waitcnt vmcnt(0) lgkmcnt(0)
	v_cmp_ngt_f64_e32 vcc, v[4:5], v[2:3]
	s_and_b64 s[12:13], vcc, exec
.LBB404_7:
	s_or_b64 exec, exec, s[6:7]
	s_add_u32 s6, s14, s8
	s_addc_u32 s7, s15, 0
	s_waitcnt vmcnt(0) lgkmcnt(0)
	v_mov_b32_e32 v3, s7
	v_add_co_u32_e32 v2, vcc, s6, v0
	v_cndmask_b32_e64 v1, 0, 1, s[12:13]
	v_addc_co_u32_e32 v3, vcc, 0, v3, vcc
	flat_store_byte v[2:3], v1
.LBB404_8:
	s_and_b64 vcc, exec, s[0:1]
	s_cbranch_vccz .LBB404_13
; %bb.9:
	s_load_dword s0, s[4:5], 0x10
                                        ; implicit-def: $vgpr2_vgpr3
	s_waitcnt lgkmcnt(0)
	s_sub_i32 s0, s0, s8
	v_cmp_gt_u32_e32 vcc, s0, v0
	s_and_saveexec_b64 s[4:5], vcc
	s_cbranch_execnz .LBB404_14
; %bb.10:
	s_or_b64 exec, exec, s[4:5]
                                        ; implicit-def: $vgpr1
	s_and_saveexec_b64 s[4:5], vcc
	s_cbranch_execnz .LBB404_15
.LBB404_11:
	s_or_b64 exec, exec, s[4:5]
	s_and_saveexec_b64 s[0:1], vcc
	s_cbranch_execz .LBB404_13
.LBB404_12:
	s_add_u32 s0, s14, s8
	s_addc_u32 s1, s15, 0
	s_waitcnt vmcnt(0) lgkmcnt(0)
	v_mov_b32_e32 v3, s1
	v_add_co_u32_e32 v2, vcc, s0, v0
	v_addc_co_u32_e32 v3, vcc, 0, v3, vcc
	flat_store_byte v[2:3], v1
.LBB404_13:
	s_endpgm
.LBB404_14:
	s_lshl_b64 s[0:1], s[8:9], 3
	s_add_u32 s0, s16, s0
	s_addc_u32 s1, s17, s1
	v_lshlrev_b32_e32 v1, 3, v0
	v_mov_b32_e32 v3, s1
	v_add_co_u32_e64 v2, s[0:1], s0, v1
	v_addc_co_u32_e64 v3, s[0:1], 0, v3, s[0:1]
	flat_load_dwordx2 v[2:3], v[2:3]
	s_or_b64 exec, exec, s[4:5]
                                        ; implicit-def: $vgpr1
	s_and_saveexec_b64 s[4:5], vcc
	s_cbranch_execz .LBB404_11
.LBB404_15:
	s_mov_b64 s[6:7], 0
	s_cmp_eq_u64 s[10:11], 0
	v_pk_mov_b32 v[4:5], 0, 0
	s_cbranch_scc1 .LBB404_19
; %bb.16:
	v_pk_mov_b32 v[4:5], 0, 0
	v_pk_mov_b32 v[6:7], s[10:11], s[10:11] op_sel:[0,1]
	v_mov_b32_e32 v1, s3
.LBB404_17:                             ; =>This Inner Loop Header: Depth=1
	v_sub_co_u32_e64 v8, s[0:1], v6, v4
	v_subb_co_u32_e64 v9, s[0:1], v7, v5, s[0:1]
	v_lshrrev_b64 v[10:11], 1, v[8:9]
	v_add_co_u32_e64 v10, s[0:1], v10, v4
	v_lshrrev_b64 v[8:9], 6, v[8:9]
	v_addc_co_u32_e64 v11, s[0:1], v11, v5, s[0:1]
	v_add_co_u32_e64 v8, s[0:1], v10, v8
	v_addc_co_u32_e64 v9, s[0:1], v11, v9, s[0:1]
	v_lshlrev_b64 v[10:11], 3, v[8:9]
	v_add_co_u32_e64 v10, s[0:1], s2, v10
	v_addc_co_u32_e64 v11, s[0:1], v1, v11, s[0:1]
	global_load_dwordx2 v[10:11], v[10:11], off
	v_add_co_u32_e64 v12, s[0:1], 1, v8
	v_addc_co_u32_e64 v13, s[0:1], 0, v9, s[0:1]
	s_waitcnt vmcnt(0) lgkmcnt(0)
	v_cmp_lt_f64_e64 s[0:1], v[10:11], v[2:3]
	v_cndmask_b32_e64 v7, v9, v7, s[0:1]
	v_cndmask_b32_e64 v6, v8, v6, s[0:1]
	;; [unrolled: 1-line block ×4, first 2 shown]
	v_cmp_ge_u64_e64 s[0:1], v[4:5], v[6:7]
	s_or_b64 s[6:7], s[0:1], s[6:7]
	s_andn2_b64 exec, exec, s[6:7]
	s_cbranch_execnz .LBB404_17
; %bb.18:
	s_or_b64 exec, exec, s[6:7]
.LBB404_19:
	v_cmp_ne_u64_e64 s[0:1], s[10:11], v[4:5]
	s_mov_b64 s[10:11], 0
	s_and_saveexec_b64 s[6:7], s[0:1]
	s_cbranch_execz .LBB404_21
; %bb.20:
	v_lshlrev_b64 v[4:5], 3, v[4:5]
	v_mov_b32_e32 v1, s3
	v_add_co_u32_e64 v4, s[0:1], s2, v4
	v_addc_co_u32_e64 v5, s[0:1], v1, v5, s[0:1]
	global_load_dwordx2 v[4:5], v[4:5], off
	s_waitcnt vmcnt(0) lgkmcnt(0)
	v_cmp_ngt_f64_e64 s[0:1], v[4:5], v[2:3]
	s_and_b64 s[10:11], s[0:1], exec
.LBB404_21:
	s_or_b64 exec, exec, s[6:7]
	v_cndmask_b32_e64 v1, 0, 1, s[10:11]
	s_or_b64 exec, exec, s[4:5]
	s_and_saveexec_b64 s[0:1], vcc
	s_cbranch_execnz .LBB404_12
	s_branch .LBB404_13
	.section	.rodata,"a",@progbits
	.p2align	6, 0x0
	.amdhsa_kernel _ZN7rocprim17ROCPRIM_400000_NS6detail17trampoline_kernelINS0_14default_configENS1_29binary_search_config_selectorIdbEEZNS1_14transform_implILb0ES3_S5_N6thrust23THRUST_200600_302600_NS6detail15normal_iteratorINS8_10device_ptrIdEEEENSA_INSB_IbEEEEZNS1_13binary_searchIS3_S5_SD_SD_SF_NS1_16binary_search_opENS9_16wrapped_functionINS0_4lessIvEEbEEEE10hipError_tPvRmT1_T2_T3_mmT4_T5_P12ihipStream_tbEUlRKdE_EESM_SQ_SR_mSS_SV_bEUlT_E_NS1_11comp_targetILNS1_3genE4ELNS1_11target_archE910ELNS1_3gpuE8ELNS1_3repE0EEENS1_30default_config_static_selectorELNS0_4arch9wavefront6targetE1EEEvSP_
		.amdhsa_group_segment_fixed_size 0
		.amdhsa_private_segment_fixed_size 0
		.amdhsa_kernarg_size 312
		.amdhsa_user_sgpr_count 6
		.amdhsa_user_sgpr_private_segment_buffer 1
		.amdhsa_user_sgpr_dispatch_ptr 0
		.amdhsa_user_sgpr_queue_ptr 0
		.amdhsa_user_sgpr_kernarg_segment_ptr 1
		.amdhsa_user_sgpr_dispatch_id 0
		.amdhsa_user_sgpr_flat_scratch_init 0
		.amdhsa_user_sgpr_kernarg_preload_length 0
		.amdhsa_user_sgpr_kernarg_preload_offset 0
		.amdhsa_user_sgpr_private_segment_size 0
		.amdhsa_uses_dynamic_stack 0
		.amdhsa_system_sgpr_private_segment_wavefront_offset 0
		.amdhsa_system_sgpr_workgroup_id_x 1
		.amdhsa_system_sgpr_workgroup_id_y 0
		.amdhsa_system_sgpr_workgroup_id_z 0
		.amdhsa_system_sgpr_workgroup_info 0
		.amdhsa_system_vgpr_workitem_id 0
		.amdhsa_next_free_vgpr 14
		.amdhsa_next_free_sgpr 18
		.amdhsa_accum_offset 16
		.amdhsa_reserve_vcc 1
		.amdhsa_reserve_flat_scratch 0
		.amdhsa_float_round_mode_32 0
		.amdhsa_float_round_mode_16_64 0
		.amdhsa_float_denorm_mode_32 3
		.amdhsa_float_denorm_mode_16_64 3
		.amdhsa_dx10_clamp 1
		.amdhsa_ieee_mode 1
		.amdhsa_fp16_overflow 0
		.amdhsa_tg_split 0
		.amdhsa_exception_fp_ieee_invalid_op 0
		.amdhsa_exception_fp_denorm_src 0
		.amdhsa_exception_fp_ieee_div_zero 0
		.amdhsa_exception_fp_ieee_overflow 0
		.amdhsa_exception_fp_ieee_underflow 0
		.amdhsa_exception_fp_ieee_inexact 0
		.amdhsa_exception_int_div_zero 0
	.end_amdhsa_kernel
	.section	.text._ZN7rocprim17ROCPRIM_400000_NS6detail17trampoline_kernelINS0_14default_configENS1_29binary_search_config_selectorIdbEEZNS1_14transform_implILb0ES3_S5_N6thrust23THRUST_200600_302600_NS6detail15normal_iteratorINS8_10device_ptrIdEEEENSA_INSB_IbEEEEZNS1_13binary_searchIS3_S5_SD_SD_SF_NS1_16binary_search_opENS9_16wrapped_functionINS0_4lessIvEEbEEEE10hipError_tPvRmT1_T2_T3_mmT4_T5_P12ihipStream_tbEUlRKdE_EESM_SQ_SR_mSS_SV_bEUlT_E_NS1_11comp_targetILNS1_3genE4ELNS1_11target_archE910ELNS1_3gpuE8ELNS1_3repE0EEENS1_30default_config_static_selectorELNS0_4arch9wavefront6targetE1EEEvSP_,"axG",@progbits,_ZN7rocprim17ROCPRIM_400000_NS6detail17trampoline_kernelINS0_14default_configENS1_29binary_search_config_selectorIdbEEZNS1_14transform_implILb0ES3_S5_N6thrust23THRUST_200600_302600_NS6detail15normal_iteratorINS8_10device_ptrIdEEEENSA_INSB_IbEEEEZNS1_13binary_searchIS3_S5_SD_SD_SF_NS1_16binary_search_opENS9_16wrapped_functionINS0_4lessIvEEbEEEE10hipError_tPvRmT1_T2_T3_mmT4_T5_P12ihipStream_tbEUlRKdE_EESM_SQ_SR_mSS_SV_bEUlT_E_NS1_11comp_targetILNS1_3genE4ELNS1_11target_archE910ELNS1_3gpuE8ELNS1_3repE0EEENS1_30default_config_static_selectorELNS0_4arch9wavefront6targetE1EEEvSP_,comdat
.Lfunc_end404:
	.size	_ZN7rocprim17ROCPRIM_400000_NS6detail17trampoline_kernelINS0_14default_configENS1_29binary_search_config_selectorIdbEEZNS1_14transform_implILb0ES3_S5_N6thrust23THRUST_200600_302600_NS6detail15normal_iteratorINS8_10device_ptrIdEEEENSA_INSB_IbEEEEZNS1_13binary_searchIS3_S5_SD_SD_SF_NS1_16binary_search_opENS9_16wrapped_functionINS0_4lessIvEEbEEEE10hipError_tPvRmT1_T2_T3_mmT4_T5_P12ihipStream_tbEUlRKdE_EESM_SQ_SR_mSS_SV_bEUlT_E_NS1_11comp_targetILNS1_3genE4ELNS1_11target_archE910ELNS1_3gpuE8ELNS1_3repE0EEENS1_30default_config_static_selectorELNS0_4arch9wavefront6targetE1EEEvSP_, .Lfunc_end404-_ZN7rocprim17ROCPRIM_400000_NS6detail17trampoline_kernelINS0_14default_configENS1_29binary_search_config_selectorIdbEEZNS1_14transform_implILb0ES3_S5_N6thrust23THRUST_200600_302600_NS6detail15normal_iteratorINS8_10device_ptrIdEEEENSA_INSB_IbEEEEZNS1_13binary_searchIS3_S5_SD_SD_SF_NS1_16binary_search_opENS9_16wrapped_functionINS0_4lessIvEEbEEEE10hipError_tPvRmT1_T2_T3_mmT4_T5_P12ihipStream_tbEUlRKdE_EESM_SQ_SR_mSS_SV_bEUlT_E_NS1_11comp_targetILNS1_3genE4ELNS1_11target_archE910ELNS1_3gpuE8ELNS1_3repE0EEENS1_30default_config_static_selectorELNS0_4arch9wavefront6targetE1EEEvSP_
                                        ; -- End function
	.section	.AMDGPU.csdata,"",@progbits
; Kernel info:
; codeLenInByte = 848
; NumSgprs: 22
; NumVgprs: 14
; NumAgprs: 0
; TotalNumVgprs: 14
; ScratchSize: 0
; MemoryBound: 0
; FloatMode: 240
; IeeeMode: 1
; LDSByteSize: 0 bytes/workgroup (compile time only)
; SGPRBlocks: 2
; VGPRBlocks: 1
; NumSGPRsForWavesPerEU: 22
; NumVGPRsForWavesPerEU: 14
; AccumOffset: 16
; Occupancy: 8
; WaveLimiterHint : 0
; COMPUTE_PGM_RSRC2:SCRATCH_EN: 0
; COMPUTE_PGM_RSRC2:USER_SGPR: 6
; COMPUTE_PGM_RSRC2:TRAP_HANDLER: 0
; COMPUTE_PGM_RSRC2:TGID_X_EN: 1
; COMPUTE_PGM_RSRC2:TGID_Y_EN: 0
; COMPUTE_PGM_RSRC2:TGID_Z_EN: 0
; COMPUTE_PGM_RSRC2:TIDIG_COMP_CNT: 0
; COMPUTE_PGM_RSRC3_GFX90A:ACCUM_OFFSET: 3
; COMPUTE_PGM_RSRC3_GFX90A:TG_SPLIT: 0
	.section	.text._ZN7rocprim17ROCPRIM_400000_NS6detail17trampoline_kernelINS0_14default_configENS1_29binary_search_config_selectorIdbEEZNS1_14transform_implILb0ES3_S5_N6thrust23THRUST_200600_302600_NS6detail15normal_iteratorINS8_10device_ptrIdEEEENSA_INSB_IbEEEEZNS1_13binary_searchIS3_S5_SD_SD_SF_NS1_16binary_search_opENS9_16wrapped_functionINS0_4lessIvEEbEEEE10hipError_tPvRmT1_T2_T3_mmT4_T5_P12ihipStream_tbEUlRKdE_EESM_SQ_SR_mSS_SV_bEUlT_E_NS1_11comp_targetILNS1_3genE3ELNS1_11target_archE908ELNS1_3gpuE7ELNS1_3repE0EEENS1_30default_config_static_selectorELNS0_4arch9wavefront6targetE1EEEvSP_,"axG",@progbits,_ZN7rocprim17ROCPRIM_400000_NS6detail17trampoline_kernelINS0_14default_configENS1_29binary_search_config_selectorIdbEEZNS1_14transform_implILb0ES3_S5_N6thrust23THRUST_200600_302600_NS6detail15normal_iteratorINS8_10device_ptrIdEEEENSA_INSB_IbEEEEZNS1_13binary_searchIS3_S5_SD_SD_SF_NS1_16binary_search_opENS9_16wrapped_functionINS0_4lessIvEEbEEEE10hipError_tPvRmT1_T2_T3_mmT4_T5_P12ihipStream_tbEUlRKdE_EESM_SQ_SR_mSS_SV_bEUlT_E_NS1_11comp_targetILNS1_3genE3ELNS1_11target_archE908ELNS1_3gpuE7ELNS1_3repE0EEENS1_30default_config_static_selectorELNS0_4arch9wavefront6targetE1EEEvSP_,comdat
	.protected	_ZN7rocprim17ROCPRIM_400000_NS6detail17trampoline_kernelINS0_14default_configENS1_29binary_search_config_selectorIdbEEZNS1_14transform_implILb0ES3_S5_N6thrust23THRUST_200600_302600_NS6detail15normal_iteratorINS8_10device_ptrIdEEEENSA_INSB_IbEEEEZNS1_13binary_searchIS3_S5_SD_SD_SF_NS1_16binary_search_opENS9_16wrapped_functionINS0_4lessIvEEbEEEE10hipError_tPvRmT1_T2_T3_mmT4_T5_P12ihipStream_tbEUlRKdE_EESM_SQ_SR_mSS_SV_bEUlT_E_NS1_11comp_targetILNS1_3genE3ELNS1_11target_archE908ELNS1_3gpuE7ELNS1_3repE0EEENS1_30default_config_static_selectorELNS0_4arch9wavefront6targetE1EEEvSP_ ; -- Begin function _ZN7rocprim17ROCPRIM_400000_NS6detail17trampoline_kernelINS0_14default_configENS1_29binary_search_config_selectorIdbEEZNS1_14transform_implILb0ES3_S5_N6thrust23THRUST_200600_302600_NS6detail15normal_iteratorINS8_10device_ptrIdEEEENSA_INSB_IbEEEEZNS1_13binary_searchIS3_S5_SD_SD_SF_NS1_16binary_search_opENS9_16wrapped_functionINS0_4lessIvEEbEEEE10hipError_tPvRmT1_T2_T3_mmT4_T5_P12ihipStream_tbEUlRKdE_EESM_SQ_SR_mSS_SV_bEUlT_E_NS1_11comp_targetILNS1_3genE3ELNS1_11target_archE908ELNS1_3gpuE7ELNS1_3repE0EEENS1_30default_config_static_selectorELNS0_4arch9wavefront6targetE1EEEvSP_
	.globl	_ZN7rocprim17ROCPRIM_400000_NS6detail17trampoline_kernelINS0_14default_configENS1_29binary_search_config_selectorIdbEEZNS1_14transform_implILb0ES3_S5_N6thrust23THRUST_200600_302600_NS6detail15normal_iteratorINS8_10device_ptrIdEEEENSA_INSB_IbEEEEZNS1_13binary_searchIS3_S5_SD_SD_SF_NS1_16binary_search_opENS9_16wrapped_functionINS0_4lessIvEEbEEEE10hipError_tPvRmT1_T2_T3_mmT4_T5_P12ihipStream_tbEUlRKdE_EESM_SQ_SR_mSS_SV_bEUlT_E_NS1_11comp_targetILNS1_3genE3ELNS1_11target_archE908ELNS1_3gpuE7ELNS1_3repE0EEENS1_30default_config_static_selectorELNS0_4arch9wavefront6targetE1EEEvSP_
	.p2align	8
	.type	_ZN7rocprim17ROCPRIM_400000_NS6detail17trampoline_kernelINS0_14default_configENS1_29binary_search_config_selectorIdbEEZNS1_14transform_implILb0ES3_S5_N6thrust23THRUST_200600_302600_NS6detail15normal_iteratorINS8_10device_ptrIdEEEENSA_INSB_IbEEEEZNS1_13binary_searchIS3_S5_SD_SD_SF_NS1_16binary_search_opENS9_16wrapped_functionINS0_4lessIvEEbEEEE10hipError_tPvRmT1_T2_T3_mmT4_T5_P12ihipStream_tbEUlRKdE_EESM_SQ_SR_mSS_SV_bEUlT_E_NS1_11comp_targetILNS1_3genE3ELNS1_11target_archE908ELNS1_3gpuE7ELNS1_3repE0EEENS1_30default_config_static_selectorELNS0_4arch9wavefront6targetE1EEEvSP_,@function
_ZN7rocprim17ROCPRIM_400000_NS6detail17trampoline_kernelINS0_14default_configENS1_29binary_search_config_selectorIdbEEZNS1_14transform_implILb0ES3_S5_N6thrust23THRUST_200600_302600_NS6detail15normal_iteratorINS8_10device_ptrIdEEEENSA_INSB_IbEEEEZNS1_13binary_searchIS3_S5_SD_SD_SF_NS1_16binary_search_opENS9_16wrapped_functionINS0_4lessIvEEbEEEE10hipError_tPvRmT1_T2_T3_mmT4_T5_P12ihipStream_tbEUlRKdE_EESM_SQ_SR_mSS_SV_bEUlT_E_NS1_11comp_targetILNS1_3genE3ELNS1_11target_archE908ELNS1_3gpuE7ELNS1_3repE0EEENS1_30default_config_static_selectorELNS0_4arch9wavefront6targetE1EEEvSP_: ; @_ZN7rocprim17ROCPRIM_400000_NS6detail17trampoline_kernelINS0_14default_configENS1_29binary_search_config_selectorIdbEEZNS1_14transform_implILb0ES3_S5_N6thrust23THRUST_200600_302600_NS6detail15normal_iteratorINS8_10device_ptrIdEEEENSA_INSB_IbEEEEZNS1_13binary_searchIS3_S5_SD_SD_SF_NS1_16binary_search_opENS9_16wrapped_functionINS0_4lessIvEEbEEEE10hipError_tPvRmT1_T2_T3_mmT4_T5_P12ihipStream_tbEUlRKdE_EESM_SQ_SR_mSS_SV_bEUlT_E_NS1_11comp_targetILNS1_3genE3ELNS1_11target_archE908ELNS1_3gpuE7ELNS1_3repE0EEENS1_30default_config_static_selectorELNS0_4arch9wavefront6targetE1EEEvSP_
; %bb.0:
	.section	.rodata,"a",@progbits
	.p2align	6, 0x0
	.amdhsa_kernel _ZN7rocprim17ROCPRIM_400000_NS6detail17trampoline_kernelINS0_14default_configENS1_29binary_search_config_selectorIdbEEZNS1_14transform_implILb0ES3_S5_N6thrust23THRUST_200600_302600_NS6detail15normal_iteratorINS8_10device_ptrIdEEEENSA_INSB_IbEEEEZNS1_13binary_searchIS3_S5_SD_SD_SF_NS1_16binary_search_opENS9_16wrapped_functionINS0_4lessIvEEbEEEE10hipError_tPvRmT1_T2_T3_mmT4_T5_P12ihipStream_tbEUlRKdE_EESM_SQ_SR_mSS_SV_bEUlT_E_NS1_11comp_targetILNS1_3genE3ELNS1_11target_archE908ELNS1_3gpuE7ELNS1_3repE0EEENS1_30default_config_static_selectorELNS0_4arch9wavefront6targetE1EEEvSP_
		.amdhsa_group_segment_fixed_size 0
		.amdhsa_private_segment_fixed_size 0
		.amdhsa_kernarg_size 56
		.amdhsa_user_sgpr_count 6
		.amdhsa_user_sgpr_private_segment_buffer 1
		.amdhsa_user_sgpr_dispatch_ptr 0
		.amdhsa_user_sgpr_queue_ptr 0
		.amdhsa_user_sgpr_kernarg_segment_ptr 1
		.amdhsa_user_sgpr_dispatch_id 0
		.amdhsa_user_sgpr_flat_scratch_init 0
		.amdhsa_user_sgpr_kernarg_preload_length 0
		.amdhsa_user_sgpr_kernarg_preload_offset 0
		.amdhsa_user_sgpr_private_segment_size 0
		.amdhsa_uses_dynamic_stack 0
		.amdhsa_system_sgpr_private_segment_wavefront_offset 0
		.amdhsa_system_sgpr_workgroup_id_x 1
		.amdhsa_system_sgpr_workgroup_id_y 0
		.amdhsa_system_sgpr_workgroup_id_z 0
		.amdhsa_system_sgpr_workgroup_info 0
		.amdhsa_system_vgpr_workitem_id 0
		.amdhsa_next_free_vgpr 1
		.amdhsa_next_free_sgpr 0
		.amdhsa_accum_offset 4
		.amdhsa_reserve_vcc 0
		.amdhsa_reserve_flat_scratch 0
		.amdhsa_float_round_mode_32 0
		.amdhsa_float_round_mode_16_64 0
		.amdhsa_float_denorm_mode_32 3
		.amdhsa_float_denorm_mode_16_64 3
		.amdhsa_dx10_clamp 1
		.amdhsa_ieee_mode 1
		.amdhsa_fp16_overflow 0
		.amdhsa_tg_split 0
		.amdhsa_exception_fp_ieee_invalid_op 0
		.amdhsa_exception_fp_denorm_src 0
		.amdhsa_exception_fp_ieee_div_zero 0
		.amdhsa_exception_fp_ieee_overflow 0
		.amdhsa_exception_fp_ieee_underflow 0
		.amdhsa_exception_fp_ieee_inexact 0
		.amdhsa_exception_int_div_zero 0
	.end_amdhsa_kernel
	.section	.text._ZN7rocprim17ROCPRIM_400000_NS6detail17trampoline_kernelINS0_14default_configENS1_29binary_search_config_selectorIdbEEZNS1_14transform_implILb0ES3_S5_N6thrust23THRUST_200600_302600_NS6detail15normal_iteratorINS8_10device_ptrIdEEEENSA_INSB_IbEEEEZNS1_13binary_searchIS3_S5_SD_SD_SF_NS1_16binary_search_opENS9_16wrapped_functionINS0_4lessIvEEbEEEE10hipError_tPvRmT1_T2_T3_mmT4_T5_P12ihipStream_tbEUlRKdE_EESM_SQ_SR_mSS_SV_bEUlT_E_NS1_11comp_targetILNS1_3genE3ELNS1_11target_archE908ELNS1_3gpuE7ELNS1_3repE0EEENS1_30default_config_static_selectorELNS0_4arch9wavefront6targetE1EEEvSP_,"axG",@progbits,_ZN7rocprim17ROCPRIM_400000_NS6detail17trampoline_kernelINS0_14default_configENS1_29binary_search_config_selectorIdbEEZNS1_14transform_implILb0ES3_S5_N6thrust23THRUST_200600_302600_NS6detail15normal_iteratorINS8_10device_ptrIdEEEENSA_INSB_IbEEEEZNS1_13binary_searchIS3_S5_SD_SD_SF_NS1_16binary_search_opENS9_16wrapped_functionINS0_4lessIvEEbEEEE10hipError_tPvRmT1_T2_T3_mmT4_T5_P12ihipStream_tbEUlRKdE_EESM_SQ_SR_mSS_SV_bEUlT_E_NS1_11comp_targetILNS1_3genE3ELNS1_11target_archE908ELNS1_3gpuE7ELNS1_3repE0EEENS1_30default_config_static_selectorELNS0_4arch9wavefront6targetE1EEEvSP_,comdat
.Lfunc_end405:
	.size	_ZN7rocprim17ROCPRIM_400000_NS6detail17trampoline_kernelINS0_14default_configENS1_29binary_search_config_selectorIdbEEZNS1_14transform_implILb0ES3_S5_N6thrust23THRUST_200600_302600_NS6detail15normal_iteratorINS8_10device_ptrIdEEEENSA_INSB_IbEEEEZNS1_13binary_searchIS3_S5_SD_SD_SF_NS1_16binary_search_opENS9_16wrapped_functionINS0_4lessIvEEbEEEE10hipError_tPvRmT1_T2_T3_mmT4_T5_P12ihipStream_tbEUlRKdE_EESM_SQ_SR_mSS_SV_bEUlT_E_NS1_11comp_targetILNS1_3genE3ELNS1_11target_archE908ELNS1_3gpuE7ELNS1_3repE0EEENS1_30default_config_static_selectorELNS0_4arch9wavefront6targetE1EEEvSP_, .Lfunc_end405-_ZN7rocprim17ROCPRIM_400000_NS6detail17trampoline_kernelINS0_14default_configENS1_29binary_search_config_selectorIdbEEZNS1_14transform_implILb0ES3_S5_N6thrust23THRUST_200600_302600_NS6detail15normal_iteratorINS8_10device_ptrIdEEEENSA_INSB_IbEEEEZNS1_13binary_searchIS3_S5_SD_SD_SF_NS1_16binary_search_opENS9_16wrapped_functionINS0_4lessIvEEbEEEE10hipError_tPvRmT1_T2_T3_mmT4_T5_P12ihipStream_tbEUlRKdE_EESM_SQ_SR_mSS_SV_bEUlT_E_NS1_11comp_targetILNS1_3genE3ELNS1_11target_archE908ELNS1_3gpuE7ELNS1_3repE0EEENS1_30default_config_static_selectorELNS0_4arch9wavefront6targetE1EEEvSP_
                                        ; -- End function
	.section	.AMDGPU.csdata,"",@progbits
; Kernel info:
; codeLenInByte = 0
; NumSgprs: 4
; NumVgprs: 0
; NumAgprs: 0
; TotalNumVgprs: 0
; ScratchSize: 0
; MemoryBound: 0
; FloatMode: 240
; IeeeMode: 1
; LDSByteSize: 0 bytes/workgroup (compile time only)
; SGPRBlocks: 0
; VGPRBlocks: 0
; NumSGPRsForWavesPerEU: 4
; NumVGPRsForWavesPerEU: 1
; AccumOffset: 4
; Occupancy: 8
; WaveLimiterHint : 0
; COMPUTE_PGM_RSRC2:SCRATCH_EN: 0
; COMPUTE_PGM_RSRC2:USER_SGPR: 6
; COMPUTE_PGM_RSRC2:TRAP_HANDLER: 0
; COMPUTE_PGM_RSRC2:TGID_X_EN: 1
; COMPUTE_PGM_RSRC2:TGID_Y_EN: 0
; COMPUTE_PGM_RSRC2:TGID_Z_EN: 0
; COMPUTE_PGM_RSRC2:TIDIG_COMP_CNT: 0
; COMPUTE_PGM_RSRC3_GFX90A:ACCUM_OFFSET: 0
; COMPUTE_PGM_RSRC3_GFX90A:TG_SPLIT: 0
	.section	.text._ZN7rocprim17ROCPRIM_400000_NS6detail17trampoline_kernelINS0_14default_configENS1_29binary_search_config_selectorIdbEEZNS1_14transform_implILb0ES3_S5_N6thrust23THRUST_200600_302600_NS6detail15normal_iteratorINS8_10device_ptrIdEEEENSA_INSB_IbEEEEZNS1_13binary_searchIS3_S5_SD_SD_SF_NS1_16binary_search_opENS9_16wrapped_functionINS0_4lessIvEEbEEEE10hipError_tPvRmT1_T2_T3_mmT4_T5_P12ihipStream_tbEUlRKdE_EESM_SQ_SR_mSS_SV_bEUlT_E_NS1_11comp_targetILNS1_3genE2ELNS1_11target_archE906ELNS1_3gpuE6ELNS1_3repE0EEENS1_30default_config_static_selectorELNS0_4arch9wavefront6targetE1EEEvSP_,"axG",@progbits,_ZN7rocprim17ROCPRIM_400000_NS6detail17trampoline_kernelINS0_14default_configENS1_29binary_search_config_selectorIdbEEZNS1_14transform_implILb0ES3_S5_N6thrust23THRUST_200600_302600_NS6detail15normal_iteratorINS8_10device_ptrIdEEEENSA_INSB_IbEEEEZNS1_13binary_searchIS3_S5_SD_SD_SF_NS1_16binary_search_opENS9_16wrapped_functionINS0_4lessIvEEbEEEE10hipError_tPvRmT1_T2_T3_mmT4_T5_P12ihipStream_tbEUlRKdE_EESM_SQ_SR_mSS_SV_bEUlT_E_NS1_11comp_targetILNS1_3genE2ELNS1_11target_archE906ELNS1_3gpuE6ELNS1_3repE0EEENS1_30default_config_static_selectorELNS0_4arch9wavefront6targetE1EEEvSP_,comdat
	.protected	_ZN7rocprim17ROCPRIM_400000_NS6detail17trampoline_kernelINS0_14default_configENS1_29binary_search_config_selectorIdbEEZNS1_14transform_implILb0ES3_S5_N6thrust23THRUST_200600_302600_NS6detail15normal_iteratorINS8_10device_ptrIdEEEENSA_INSB_IbEEEEZNS1_13binary_searchIS3_S5_SD_SD_SF_NS1_16binary_search_opENS9_16wrapped_functionINS0_4lessIvEEbEEEE10hipError_tPvRmT1_T2_T3_mmT4_T5_P12ihipStream_tbEUlRKdE_EESM_SQ_SR_mSS_SV_bEUlT_E_NS1_11comp_targetILNS1_3genE2ELNS1_11target_archE906ELNS1_3gpuE6ELNS1_3repE0EEENS1_30default_config_static_selectorELNS0_4arch9wavefront6targetE1EEEvSP_ ; -- Begin function _ZN7rocprim17ROCPRIM_400000_NS6detail17trampoline_kernelINS0_14default_configENS1_29binary_search_config_selectorIdbEEZNS1_14transform_implILb0ES3_S5_N6thrust23THRUST_200600_302600_NS6detail15normal_iteratorINS8_10device_ptrIdEEEENSA_INSB_IbEEEEZNS1_13binary_searchIS3_S5_SD_SD_SF_NS1_16binary_search_opENS9_16wrapped_functionINS0_4lessIvEEbEEEE10hipError_tPvRmT1_T2_T3_mmT4_T5_P12ihipStream_tbEUlRKdE_EESM_SQ_SR_mSS_SV_bEUlT_E_NS1_11comp_targetILNS1_3genE2ELNS1_11target_archE906ELNS1_3gpuE6ELNS1_3repE0EEENS1_30default_config_static_selectorELNS0_4arch9wavefront6targetE1EEEvSP_
	.globl	_ZN7rocprim17ROCPRIM_400000_NS6detail17trampoline_kernelINS0_14default_configENS1_29binary_search_config_selectorIdbEEZNS1_14transform_implILb0ES3_S5_N6thrust23THRUST_200600_302600_NS6detail15normal_iteratorINS8_10device_ptrIdEEEENSA_INSB_IbEEEEZNS1_13binary_searchIS3_S5_SD_SD_SF_NS1_16binary_search_opENS9_16wrapped_functionINS0_4lessIvEEbEEEE10hipError_tPvRmT1_T2_T3_mmT4_T5_P12ihipStream_tbEUlRKdE_EESM_SQ_SR_mSS_SV_bEUlT_E_NS1_11comp_targetILNS1_3genE2ELNS1_11target_archE906ELNS1_3gpuE6ELNS1_3repE0EEENS1_30default_config_static_selectorELNS0_4arch9wavefront6targetE1EEEvSP_
	.p2align	8
	.type	_ZN7rocprim17ROCPRIM_400000_NS6detail17trampoline_kernelINS0_14default_configENS1_29binary_search_config_selectorIdbEEZNS1_14transform_implILb0ES3_S5_N6thrust23THRUST_200600_302600_NS6detail15normal_iteratorINS8_10device_ptrIdEEEENSA_INSB_IbEEEEZNS1_13binary_searchIS3_S5_SD_SD_SF_NS1_16binary_search_opENS9_16wrapped_functionINS0_4lessIvEEbEEEE10hipError_tPvRmT1_T2_T3_mmT4_T5_P12ihipStream_tbEUlRKdE_EESM_SQ_SR_mSS_SV_bEUlT_E_NS1_11comp_targetILNS1_3genE2ELNS1_11target_archE906ELNS1_3gpuE6ELNS1_3repE0EEENS1_30default_config_static_selectorELNS0_4arch9wavefront6targetE1EEEvSP_,@function
_ZN7rocprim17ROCPRIM_400000_NS6detail17trampoline_kernelINS0_14default_configENS1_29binary_search_config_selectorIdbEEZNS1_14transform_implILb0ES3_S5_N6thrust23THRUST_200600_302600_NS6detail15normal_iteratorINS8_10device_ptrIdEEEENSA_INSB_IbEEEEZNS1_13binary_searchIS3_S5_SD_SD_SF_NS1_16binary_search_opENS9_16wrapped_functionINS0_4lessIvEEbEEEE10hipError_tPvRmT1_T2_T3_mmT4_T5_P12ihipStream_tbEUlRKdE_EESM_SQ_SR_mSS_SV_bEUlT_E_NS1_11comp_targetILNS1_3genE2ELNS1_11target_archE906ELNS1_3gpuE6ELNS1_3repE0EEENS1_30default_config_static_selectorELNS0_4arch9wavefront6targetE1EEEvSP_: ; @_ZN7rocprim17ROCPRIM_400000_NS6detail17trampoline_kernelINS0_14default_configENS1_29binary_search_config_selectorIdbEEZNS1_14transform_implILb0ES3_S5_N6thrust23THRUST_200600_302600_NS6detail15normal_iteratorINS8_10device_ptrIdEEEENSA_INSB_IbEEEEZNS1_13binary_searchIS3_S5_SD_SD_SF_NS1_16binary_search_opENS9_16wrapped_functionINS0_4lessIvEEbEEEE10hipError_tPvRmT1_T2_T3_mmT4_T5_P12ihipStream_tbEUlRKdE_EESM_SQ_SR_mSS_SV_bEUlT_E_NS1_11comp_targetILNS1_3genE2ELNS1_11target_archE906ELNS1_3gpuE6ELNS1_3repE0EEENS1_30default_config_static_selectorELNS0_4arch9wavefront6targetE1EEEvSP_
; %bb.0:
	.section	.rodata,"a",@progbits
	.p2align	6, 0x0
	.amdhsa_kernel _ZN7rocprim17ROCPRIM_400000_NS6detail17trampoline_kernelINS0_14default_configENS1_29binary_search_config_selectorIdbEEZNS1_14transform_implILb0ES3_S5_N6thrust23THRUST_200600_302600_NS6detail15normal_iteratorINS8_10device_ptrIdEEEENSA_INSB_IbEEEEZNS1_13binary_searchIS3_S5_SD_SD_SF_NS1_16binary_search_opENS9_16wrapped_functionINS0_4lessIvEEbEEEE10hipError_tPvRmT1_T2_T3_mmT4_T5_P12ihipStream_tbEUlRKdE_EESM_SQ_SR_mSS_SV_bEUlT_E_NS1_11comp_targetILNS1_3genE2ELNS1_11target_archE906ELNS1_3gpuE6ELNS1_3repE0EEENS1_30default_config_static_selectorELNS0_4arch9wavefront6targetE1EEEvSP_
		.amdhsa_group_segment_fixed_size 0
		.amdhsa_private_segment_fixed_size 0
		.amdhsa_kernarg_size 56
		.amdhsa_user_sgpr_count 6
		.amdhsa_user_sgpr_private_segment_buffer 1
		.amdhsa_user_sgpr_dispatch_ptr 0
		.amdhsa_user_sgpr_queue_ptr 0
		.amdhsa_user_sgpr_kernarg_segment_ptr 1
		.amdhsa_user_sgpr_dispatch_id 0
		.amdhsa_user_sgpr_flat_scratch_init 0
		.amdhsa_user_sgpr_kernarg_preload_length 0
		.amdhsa_user_sgpr_kernarg_preload_offset 0
		.amdhsa_user_sgpr_private_segment_size 0
		.amdhsa_uses_dynamic_stack 0
		.amdhsa_system_sgpr_private_segment_wavefront_offset 0
		.amdhsa_system_sgpr_workgroup_id_x 1
		.amdhsa_system_sgpr_workgroup_id_y 0
		.amdhsa_system_sgpr_workgroup_id_z 0
		.amdhsa_system_sgpr_workgroup_info 0
		.amdhsa_system_vgpr_workitem_id 0
		.amdhsa_next_free_vgpr 1
		.amdhsa_next_free_sgpr 0
		.amdhsa_accum_offset 4
		.amdhsa_reserve_vcc 0
		.amdhsa_reserve_flat_scratch 0
		.amdhsa_float_round_mode_32 0
		.amdhsa_float_round_mode_16_64 0
		.amdhsa_float_denorm_mode_32 3
		.amdhsa_float_denorm_mode_16_64 3
		.amdhsa_dx10_clamp 1
		.amdhsa_ieee_mode 1
		.amdhsa_fp16_overflow 0
		.amdhsa_tg_split 0
		.amdhsa_exception_fp_ieee_invalid_op 0
		.amdhsa_exception_fp_denorm_src 0
		.amdhsa_exception_fp_ieee_div_zero 0
		.amdhsa_exception_fp_ieee_overflow 0
		.amdhsa_exception_fp_ieee_underflow 0
		.amdhsa_exception_fp_ieee_inexact 0
		.amdhsa_exception_int_div_zero 0
	.end_amdhsa_kernel
	.section	.text._ZN7rocprim17ROCPRIM_400000_NS6detail17trampoline_kernelINS0_14default_configENS1_29binary_search_config_selectorIdbEEZNS1_14transform_implILb0ES3_S5_N6thrust23THRUST_200600_302600_NS6detail15normal_iteratorINS8_10device_ptrIdEEEENSA_INSB_IbEEEEZNS1_13binary_searchIS3_S5_SD_SD_SF_NS1_16binary_search_opENS9_16wrapped_functionINS0_4lessIvEEbEEEE10hipError_tPvRmT1_T2_T3_mmT4_T5_P12ihipStream_tbEUlRKdE_EESM_SQ_SR_mSS_SV_bEUlT_E_NS1_11comp_targetILNS1_3genE2ELNS1_11target_archE906ELNS1_3gpuE6ELNS1_3repE0EEENS1_30default_config_static_selectorELNS0_4arch9wavefront6targetE1EEEvSP_,"axG",@progbits,_ZN7rocprim17ROCPRIM_400000_NS6detail17trampoline_kernelINS0_14default_configENS1_29binary_search_config_selectorIdbEEZNS1_14transform_implILb0ES3_S5_N6thrust23THRUST_200600_302600_NS6detail15normal_iteratorINS8_10device_ptrIdEEEENSA_INSB_IbEEEEZNS1_13binary_searchIS3_S5_SD_SD_SF_NS1_16binary_search_opENS9_16wrapped_functionINS0_4lessIvEEbEEEE10hipError_tPvRmT1_T2_T3_mmT4_T5_P12ihipStream_tbEUlRKdE_EESM_SQ_SR_mSS_SV_bEUlT_E_NS1_11comp_targetILNS1_3genE2ELNS1_11target_archE906ELNS1_3gpuE6ELNS1_3repE0EEENS1_30default_config_static_selectorELNS0_4arch9wavefront6targetE1EEEvSP_,comdat
.Lfunc_end406:
	.size	_ZN7rocprim17ROCPRIM_400000_NS6detail17trampoline_kernelINS0_14default_configENS1_29binary_search_config_selectorIdbEEZNS1_14transform_implILb0ES3_S5_N6thrust23THRUST_200600_302600_NS6detail15normal_iteratorINS8_10device_ptrIdEEEENSA_INSB_IbEEEEZNS1_13binary_searchIS3_S5_SD_SD_SF_NS1_16binary_search_opENS9_16wrapped_functionINS0_4lessIvEEbEEEE10hipError_tPvRmT1_T2_T3_mmT4_T5_P12ihipStream_tbEUlRKdE_EESM_SQ_SR_mSS_SV_bEUlT_E_NS1_11comp_targetILNS1_3genE2ELNS1_11target_archE906ELNS1_3gpuE6ELNS1_3repE0EEENS1_30default_config_static_selectorELNS0_4arch9wavefront6targetE1EEEvSP_, .Lfunc_end406-_ZN7rocprim17ROCPRIM_400000_NS6detail17trampoline_kernelINS0_14default_configENS1_29binary_search_config_selectorIdbEEZNS1_14transform_implILb0ES3_S5_N6thrust23THRUST_200600_302600_NS6detail15normal_iteratorINS8_10device_ptrIdEEEENSA_INSB_IbEEEEZNS1_13binary_searchIS3_S5_SD_SD_SF_NS1_16binary_search_opENS9_16wrapped_functionINS0_4lessIvEEbEEEE10hipError_tPvRmT1_T2_T3_mmT4_T5_P12ihipStream_tbEUlRKdE_EESM_SQ_SR_mSS_SV_bEUlT_E_NS1_11comp_targetILNS1_3genE2ELNS1_11target_archE906ELNS1_3gpuE6ELNS1_3repE0EEENS1_30default_config_static_selectorELNS0_4arch9wavefront6targetE1EEEvSP_
                                        ; -- End function
	.section	.AMDGPU.csdata,"",@progbits
; Kernel info:
; codeLenInByte = 0
; NumSgprs: 4
; NumVgprs: 0
; NumAgprs: 0
; TotalNumVgprs: 0
; ScratchSize: 0
; MemoryBound: 0
; FloatMode: 240
; IeeeMode: 1
; LDSByteSize: 0 bytes/workgroup (compile time only)
; SGPRBlocks: 0
; VGPRBlocks: 0
; NumSGPRsForWavesPerEU: 4
; NumVGPRsForWavesPerEU: 1
; AccumOffset: 4
; Occupancy: 8
; WaveLimiterHint : 0
; COMPUTE_PGM_RSRC2:SCRATCH_EN: 0
; COMPUTE_PGM_RSRC2:USER_SGPR: 6
; COMPUTE_PGM_RSRC2:TRAP_HANDLER: 0
; COMPUTE_PGM_RSRC2:TGID_X_EN: 1
; COMPUTE_PGM_RSRC2:TGID_Y_EN: 0
; COMPUTE_PGM_RSRC2:TGID_Z_EN: 0
; COMPUTE_PGM_RSRC2:TIDIG_COMP_CNT: 0
; COMPUTE_PGM_RSRC3_GFX90A:ACCUM_OFFSET: 0
; COMPUTE_PGM_RSRC3_GFX90A:TG_SPLIT: 0
	.section	.text._ZN7rocprim17ROCPRIM_400000_NS6detail17trampoline_kernelINS0_14default_configENS1_29binary_search_config_selectorIdbEEZNS1_14transform_implILb0ES3_S5_N6thrust23THRUST_200600_302600_NS6detail15normal_iteratorINS8_10device_ptrIdEEEENSA_INSB_IbEEEEZNS1_13binary_searchIS3_S5_SD_SD_SF_NS1_16binary_search_opENS9_16wrapped_functionINS0_4lessIvEEbEEEE10hipError_tPvRmT1_T2_T3_mmT4_T5_P12ihipStream_tbEUlRKdE_EESM_SQ_SR_mSS_SV_bEUlT_E_NS1_11comp_targetILNS1_3genE10ELNS1_11target_archE1201ELNS1_3gpuE5ELNS1_3repE0EEENS1_30default_config_static_selectorELNS0_4arch9wavefront6targetE1EEEvSP_,"axG",@progbits,_ZN7rocprim17ROCPRIM_400000_NS6detail17trampoline_kernelINS0_14default_configENS1_29binary_search_config_selectorIdbEEZNS1_14transform_implILb0ES3_S5_N6thrust23THRUST_200600_302600_NS6detail15normal_iteratorINS8_10device_ptrIdEEEENSA_INSB_IbEEEEZNS1_13binary_searchIS3_S5_SD_SD_SF_NS1_16binary_search_opENS9_16wrapped_functionINS0_4lessIvEEbEEEE10hipError_tPvRmT1_T2_T3_mmT4_T5_P12ihipStream_tbEUlRKdE_EESM_SQ_SR_mSS_SV_bEUlT_E_NS1_11comp_targetILNS1_3genE10ELNS1_11target_archE1201ELNS1_3gpuE5ELNS1_3repE0EEENS1_30default_config_static_selectorELNS0_4arch9wavefront6targetE1EEEvSP_,comdat
	.protected	_ZN7rocprim17ROCPRIM_400000_NS6detail17trampoline_kernelINS0_14default_configENS1_29binary_search_config_selectorIdbEEZNS1_14transform_implILb0ES3_S5_N6thrust23THRUST_200600_302600_NS6detail15normal_iteratorINS8_10device_ptrIdEEEENSA_INSB_IbEEEEZNS1_13binary_searchIS3_S5_SD_SD_SF_NS1_16binary_search_opENS9_16wrapped_functionINS0_4lessIvEEbEEEE10hipError_tPvRmT1_T2_T3_mmT4_T5_P12ihipStream_tbEUlRKdE_EESM_SQ_SR_mSS_SV_bEUlT_E_NS1_11comp_targetILNS1_3genE10ELNS1_11target_archE1201ELNS1_3gpuE5ELNS1_3repE0EEENS1_30default_config_static_selectorELNS0_4arch9wavefront6targetE1EEEvSP_ ; -- Begin function _ZN7rocprim17ROCPRIM_400000_NS6detail17trampoline_kernelINS0_14default_configENS1_29binary_search_config_selectorIdbEEZNS1_14transform_implILb0ES3_S5_N6thrust23THRUST_200600_302600_NS6detail15normal_iteratorINS8_10device_ptrIdEEEENSA_INSB_IbEEEEZNS1_13binary_searchIS3_S5_SD_SD_SF_NS1_16binary_search_opENS9_16wrapped_functionINS0_4lessIvEEbEEEE10hipError_tPvRmT1_T2_T3_mmT4_T5_P12ihipStream_tbEUlRKdE_EESM_SQ_SR_mSS_SV_bEUlT_E_NS1_11comp_targetILNS1_3genE10ELNS1_11target_archE1201ELNS1_3gpuE5ELNS1_3repE0EEENS1_30default_config_static_selectorELNS0_4arch9wavefront6targetE1EEEvSP_
	.globl	_ZN7rocprim17ROCPRIM_400000_NS6detail17trampoline_kernelINS0_14default_configENS1_29binary_search_config_selectorIdbEEZNS1_14transform_implILb0ES3_S5_N6thrust23THRUST_200600_302600_NS6detail15normal_iteratorINS8_10device_ptrIdEEEENSA_INSB_IbEEEEZNS1_13binary_searchIS3_S5_SD_SD_SF_NS1_16binary_search_opENS9_16wrapped_functionINS0_4lessIvEEbEEEE10hipError_tPvRmT1_T2_T3_mmT4_T5_P12ihipStream_tbEUlRKdE_EESM_SQ_SR_mSS_SV_bEUlT_E_NS1_11comp_targetILNS1_3genE10ELNS1_11target_archE1201ELNS1_3gpuE5ELNS1_3repE0EEENS1_30default_config_static_selectorELNS0_4arch9wavefront6targetE1EEEvSP_
	.p2align	8
	.type	_ZN7rocprim17ROCPRIM_400000_NS6detail17trampoline_kernelINS0_14default_configENS1_29binary_search_config_selectorIdbEEZNS1_14transform_implILb0ES3_S5_N6thrust23THRUST_200600_302600_NS6detail15normal_iteratorINS8_10device_ptrIdEEEENSA_INSB_IbEEEEZNS1_13binary_searchIS3_S5_SD_SD_SF_NS1_16binary_search_opENS9_16wrapped_functionINS0_4lessIvEEbEEEE10hipError_tPvRmT1_T2_T3_mmT4_T5_P12ihipStream_tbEUlRKdE_EESM_SQ_SR_mSS_SV_bEUlT_E_NS1_11comp_targetILNS1_3genE10ELNS1_11target_archE1201ELNS1_3gpuE5ELNS1_3repE0EEENS1_30default_config_static_selectorELNS0_4arch9wavefront6targetE1EEEvSP_,@function
_ZN7rocprim17ROCPRIM_400000_NS6detail17trampoline_kernelINS0_14default_configENS1_29binary_search_config_selectorIdbEEZNS1_14transform_implILb0ES3_S5_N6thrust23THRUST_200600_302600_NS6detail15normal_iteratorINS8_10device_ptrIdEEEENSA_INSB_IbEEEEZNS1_13binary_searchIS3_S5_SD_SD_SF_NS1_16binary_search_opENS9_16wrapped_functionINS0_4lessIvEEbEEEE10hipError_tPvRmT1_T2_T3_mmT4_T5_P12ihipStream_tbEUlRKdE_EESM_SQ_SR_mSS_SV_bEUlT_E_NS1_11comp_targetILNS1_3genE10ELNS1_11target_archE1201ELNS1_3gpuE5ELNS1_3repE0EEENS1_30default_config_static_selectorELNS0_4arch9wavefront6targetE1EEEvSP_: ; @_ZN7rocprim17ROCPRIM_400000_NS6detail17trampoline_kernelINS0_14default_configENS1_29binary_search_config_selectorIdbEEZNS1_14transform_implILb0ES3_S5_N6thrust23THRUST_200600_302600_NS6detail15normal_iteratorINS8_10device_ptrIdEEEENSA_INSB_IbEEEEZNS1_13binary_searchIS3_S5_SD_SD_SF_NS1_16binary_search_opENS9_16wrapped_functionINS0_4lessIvEEbEEEE10hipError_tPvRmT1_T2_T3_mmT4_T5_P12ihipStream_tbEUlRKdE_EESM_SQ_SR_mSS_SV_bEUlT_E_NS1_11comp_targetILNS1_3genE10ELNS1_11target_archE1201ELNS1_3gpuE5ELNS1_3repE0EEENS1_30default_config_static_selectorELNS0_4arch9wavefront6targetE1EEEvSP_
; %bb.0:
	.section	.rodata,"a",@progbits
	.p2align	6, 0x0
	.amdhsa_kernel _ZN7rocprim17ROCPRIM_400000_NS6detail17trampoline_kernelINS0_14default_configENS1_29binary_search_config_selectorIdbEEZNS1_14transform_implILb0ES3_S5_N6thrust23THRUST_200600_302600_NS6detail15normal_iteratorINS8_10device_ptrIdEEEENSA_INSB_IbEEEEZNS1_13binary_searchIS3_S5_SD_SD_SF_NS1_16binary_search_opENS9_16wrapped_functionINS0_4lessIvEEbEEEE10hipError_tPvRmT1_T2_T3_mmT4_T5_P12ihipStream_tbEUlRKdE_EESM_SQ_SR_mSS_SV_bEUlT_E_NS1_11comp_targetILNS1_3genE10ELNS1_11target_archE1201ELNS1_3gpuE5ELNS1_3repE0EEENS1_30default_config_static_selectorELNS0_4arch9wavefront6targetE1EEEvSP_
		.amdhsa_group_segment_fixed_size 0
		.amdhsa_private_segment_fixed_size 0
		.amdhsa_kernarg_size 56
		.amdhsa_user_sgpr_count 6
		.amdhsa_user_sgpr_private_segment_buffer 1
		.amdhsa_user_sgpr_dispatch_ptr 0
		.amdhsa_user_sgpr_queue_ptr 0
		.amdhsa_user_sgpr_kernarg_segment_ptr 1
		.amdhsa_user_sgpr_dispatch_id 0
		.amdhsa_user_sgpr_flat_scratch_init 0
		.amdhsa_user_sgpr_kernarg_preload_length 0
		.amdhsa_user_sgpr_kernarg_preload_offset 0
		.amdhsa_user_sgpr_private_segment_size 0
		.amdhsa_uses_dynamic_stack 0
		.amdhsa_system_sgpr_private_segment_wavefront_offset 0
		.amdhsa_system_sgpr_workgroup_id_x 1
		.amdhsa_system_sgpr_workgroup_id_y 0
		.amdhsa_system_sgpr_workgroup_id_z 0
		.amdhsa_system_sgpr_workgroup_info 0
		.amdhsa_system_vgpr_workitem_id 0
		.amdhsa_next_free_vgpr 1
		.amdhsa_next_free_sgpr 0
		.amdhsa_accum_offset 4
		.amdhsa_reserve_vcc 0
		.amdhsa_reserve_flat_scratch 0
		.amdhsa_float_round_mode_32 0
		.amdhsa_float_round_mode_16_64 0
		.amdhsa_float_denorm_mode_32 3
		.amdhsa_float_denorm_mode_16_64 3
		.amdhsa_dx10_clamp 1
		.amdhsa_ieee_mode 1
		.amdhsa_fp16_overflow 0
		.amdhsa_tg_split 0
		.amdhsa_exception_fp_ieee_invalid_op 0
		.amdhsa_exception_fp_denorm_src 0
		.amdhsa_exception_fp_ieee_div_zero 0
		.amdhsa_exception_fp_ieee_overflow 0
		.amdhsa_exception_fp_ieee_underflow 0
		.amdhsa_exception_fp_ieee_inexact 0
		.amdhsa_exception_int_div_zero 0
	.end_amdhsa_kernel
	.section	.text._ZN7rocprim17ROCPRIM_400000_NS6detail17trampoline_kernelINS0_14default_configENS1_29binary_search_config_selectorIdbEEZNS1_14transform_implILb0ES3_S5_N6thrust23THRUST_200600_302600_NS6detail15normal_iteratorINS8_10device_ptrIdEEEENSA_INSB_IbEEEEZNS1_13binary_searchIS3_S5_SD_SD_SF_NS1_16binary_search_opENS9_16wrapped_functionINS0_4lessIvEEbEEEE10hipError_tPvRmT1_T2_T3_mmT4_T5_P12ihipStream_tbEUlRKdE_EESM_SQ_SR_mSS_SV_bEUlT_E_NS1_11comp_targetILNS1_3genE10ELNS1_11target_archE1201ELNS1_3gpuE5ELNS1_3repE0EEENS1_30default_config_static_selectorELNS0_4arch9wavefront6targetE1EEEvSP_,"axG",@progbits,_ZN7rocprim17ROCPRIM_400000_NS6detail17trampoline_kernelINS0_14default_configENS1_29binary_search_config_selectorIdbEEZNS1_14transform_implILb0ES3_S5_N6thrust23THRUST_200600_302600_NS6detail15normal_iteratorINS8_10device_ptrIdEEEENSA_INSB_IbEEEEZNS1_13binary_searchIS3_S5_SD_SD_SF_NS1_16binary_search_opENS9_16wrapped_functionINS0_4lessIvEEbEEEE10hipError_tPvRmT1_T2_T3_mmT4_T5_P12ihipStream_tbEUlRKdE_EESM_SQ_SR_mSS_SV_bEUlT_E_NS1_11comp_targetILNS1_3genE10ELNS1_11target_archE1201ELNS1_3gpuE5ELNS1_3repE0EEENS1_30default_config_static_selectorELNS0_4arch9wavefront6targetE1EEEvSP_,comdat
.Lfunc_end407:
	.size	_ZN7rocprim17ROCPRIM_400000_NS6detail17trampoline_kernelINS0_14default_configENS1_29binary_search_config_selectorIdbEEZNS1_14transform_implILb0ES3_S5_N6thrust23THRUST_200600_302600_NS6detail15normal_iteratorINS8_10device_ptrIdEEEENSA_INSB_IbEEEEZNS1_13binary_searchIS3_S5_SD_SD_SF_NS1_16binary_search_opENS9_16wrapped_functionINS0_4lessIvEEbEEEE10hipError_tPvRmT1_T2_T3_mmT4_T5_P12ihipStream_tbEUlRKdE_EESM_SQ_SR_mSS_SV_bEUlT_E_NS1_11comp_targetILNS1_3genE10ELNS1_11target_archE1201ELNS1_3gpuE5ELNS1_3repE0EEENS1_30default_config_static_selectorELNS0_4arch9wavefront6targetE1EEEvSP_, .Lfunc_end407-_ZN7rocprim17ROCPRIM_400000_NS6detail17trampoline_kernelINS0_14default_configENS1_29binary_search_config_selectorIdbEEZNS1_14transform_implILb0ES3_S5_N6thrust23THRUST_200600_302600_NS6detail15normal_iteratorINS8_10device_ptrIdEEEENSA_INSB_IbEEEEZNS1_13binary_searchIS3_S5_SD_SD_SF_NS1_16binary_search_opENS9_16wrapped_functionINS0_4lessIvEEbEEEE10hipError_tPvRmT1_T2_T3_mmT4_T5_P12ihipStream_tbEUlRKdE_EESM_SQ_SR_mSS_SV_bEUlT_E_NS1_11comp_targetILNS1_3genE10ELNS1_11target_archE1201ELNS1_3gpuE5ELNS1_3repE0EEENS1_30default_config_static_selectorELNS0_4arch9wavefront6targetE1EEEvSP_
                                        ; -- End function
	.section	.AMDGPU.csdata,"",@progbits
; Kernel info:
; codeLenInByte = 0
; NumSgprs: 4
; NumVgprs: 0
; NumAgprs: 0
; TotalNumVgprs: 0
; ScratchSize: 0
; MemoryBound: 0
; FloatMode: 240
; IeeeMode: 1
; LDSByteSize: 0 bytes/workgroup (compile time only)
; SGPRBlocks: 0
; VGPRBlocks: 0
; NumSGPRsForWavesPerEU: 4
; NumVGPRsForWavesPerEU: 1
; AccumOffset: 4
; Occupancy: 8
; WaveLimiterHint : 0
; COMPUTE_PGM_RSRC2:SCRATCH_EN: 0
; COMPUTE_PGM_RSRC2:USER_SGPR: 6
; COMPUTE_PGM_RSRC2:TRAP_HANDLER: 0
; COMPUTE_PGM_RSRC2:TGID_X_EN: 1
; COMPUTE_PGM_RSRC2:TGID_Y_EN: 0
; COMPUTE_PGM_RSRC2:TGID_Z_EN: 0
; COMPUTE_PGM_RSRC2:TIDIG_COMP_CNT: 0
; COMPUTE_PGM_RSRC3_GFX90A:ACCUM_OFFSET: 0
; COMPUTE_PGM_RSRC3_GFX90A:TG_SPLIT: 0
	.section	.text._ZN7rocprim17ROCPRIM_400000_NS6detail17trampoline_kernelINS0_14default_configENS1_29binary_search_config_selectorIdbEEZNS1_14transform_implILb0ES3_S5_N6thrust23THRUST_200600_302600_NS6detail15normal_iteratorINS8_10device_ptrIdEEEENSA_INSB_IbEEEEZNS1_13binary_searchIS3_S5_SD_SD_SF_NS1_16binary_search_opENS9_16wrapped_functionINS0_4lessIvEEbEEEE10hipError_tPvRmT1_T2_T3_mmT4_T5_P12ihipStream_tbEUlRKdE_EESM_SQ_SR_mSS_SV_bEUlT_E_NS1_11comp_targetILNS1_3genE10ELNS1_11target_archE1200ELNS1_3gpuE4ELNS1_3repE0EEENS1_30default_config_static_selectorELNS0_4arch9wavefront6targetE1EEEvSP_,"axG",@progbits,_ZN7rocprim17ROCPRIM_400000_NS6detail17trampoline_kernelINS0_14default_configENS1_29binary_search_config_selectorIdbEEZNS1_14transform_implILb0ES3_S5_N6thrust23THRUST_200600_302600_NS6detail15normal_iteratorINS8_10device_ptrIdEEEENSA_INSB_IbEEEEZNS1_13binary_searchIS3_S5_SD_SD_SF_NS1_16binary_search_opENS9_16wrapped_functionINS0_4lessIvEEbEEEE10hipError_tPvRmT1_T2_T3_mmT4_T5_P12ihipStream_tbEUlRKdE_EESM_SQ_SR_mSS_SV_bEUlT_E_NS1_11comp_targetILNS1_3genE10ELNS1_11target_archE1200ELNS1_3gpuE4ELNS1_3repE0EEENS1_30default_config_static_selectorELNS0_4arch9wavefront6targetE1EEEvSP_,comdat
	.protected	_ZN7rocprim17ROCPRIM_400000_NS6detail17trampoline_kernelINS0_14default_configENS1_29binary_search_config_selectorIdbEEZNS1_14transform_implILb0ES3_S5_N6thrust23THRUST_200600_302600_NS6detail15normal_iteratorINS8_10device_ptrIdEEEENSA_INSB_IbEEEEZNS1_13binary_searchIS3_S5_SD_SD_SF_NS1_16binary_search_opENS9_16wrapped_functionINS0_4lessIvEEbEEEE10hipError_tPvRmT1_T2_T3_mmT4_T5_P12ihipStream_tbEUlRKdE_EESM_SQ_SR_mSS_SV_bEUlT_E_NS1_11comp_targetILNS1_3genE10ELNS1_11target_archE1200ELNS1_3gpuE4ELNS1_3repE0EEENS1_30default_config_static_selectorELNS0_4arch9wavefront6targetE1EEEvSP_ ; -- Begin function _ZN7rocprim17ROCPRIM_400000_NS6detail17trampoline_kernelINS0_14default_configENS1_29binary_search_config_selectorIdbEEZNS1_14transform_implILb0ES3_S5_N6thrust23THRUST_200600_302600_NS6detail15normal_iteratorINS8_10device_ptrIdEEEENSA_INSB_IbEEEEZNS1_13binary_searchIS3_S5_SD_SD_SF_NS1_16binary_search_opENS9_16wrapped_functionINS0_4lessIvEEbEEEE10hipError_tPvRmT1_T2_T3_mmT4_T5_P12ihipStream_tbEUlRKdE_EESM_SQ_SR_mSS_SV_bEUlT_E_NS1_11comp_targetILNS1_3genE10ELNS1_11target_archE1200ELNS1_3gpuE4ELNS1_3repE0EEENS1_30default_config_static_selectorELNS0_4arch9wavefront6targetE1EEEvSP_
	.globl	_ZN7rocprim17ROCPRIM_400000_NS6detail17trampoline_kernelINS0_14default_configENS1_29binary_search_config_selectorIdbEEZNS1_14transform_implILb0ES3_S5_N6thrust23THRUST_200600_302600_NS6detail15normal_iteratorINS8_10device_ptrIdEEEENSA_INSB_IbEEEEZNS1_13binary_searchIS3_S5_SD_SD_SF_NS1_16binary_search_opENS9_16wrapped_functionINS0_4lessIvEEbEEEE10hipError_tPvRmT1_T2_T3_mmT4_T5_P12ihipStream_tbEUlRKdE_EESM_SQ_SR_mSS_SV_bEUlT_E_NS1_11comp_targetILNS1_3genE10ELNS1_11target_archE1200ELNS1_3gpuE4ELNS1_3repE0EEENS1_30default_config_static_selectorELNS0_4arch9wavefront6targetE1EEEvSP_
	.p2align	8
	.type	_ZN7rocprim17ROCPRIM_400000_NS6detail17trampoline_kernelINS0_14default_configENS1_29binary_search_config_selectorIdbEEZNS1_14transform_implILb0ES3_S5_N6thrust23THRUST_200600_302600_NS6detail15normal_iteratorINS8_10device_ptrIdEEEENSA_INSB_IbEEEEZNS1_13binary_searchIS3_S5_SD_SD_SF_NS1_16binary_search_opENS9_16wrapped_functionINS0_4lessIvEEbEEEE10hipError_tPvRmT1_T2_T3_mmT4_T5_P12ihipStream_tbEUlRKdE_EESM_SQ_SR_mSS_SV_bEUlT_E_NS1_11comp_targetILNS1_3genE10ELNS1_11target_archE1200ELNS1_3gpuE4ELNS1_3repE0EEENS1_30default_config_static_selectorELNS0_4arch9wavefront6targetE1EEEvSP_,@function
_ZN7rocprim17ROCPRIM_400000_NS6detail17trampoline_kernelINS0_14default_configENS1_29binary_search_config_selectorIdbEEZNS1_14transform_implILb0ES3_S5_N6thrust23THRUST_200600_302600_NS6detail15normal_iteratorINS8_10device_ptrIdEEEENSA_INSB_IbEEEEZNS1_13binary_searchIS3_S5_SD_SD_SF_NS1_16binary_search_opENS9_16wrapped_functionINS0_4lessIvEEbEEEE10hipError_tPvRmT1_T2_T3_mmT4_T5_P12ihipStream_tbEUlRKdE_EESM_SQ_SR_mSS_SV_bEUlT_E_NS1_11comp_targetILNS1_3genE10ELNS1_11target_archE1200ELNS1_3gpuE4ELNS1_3repE0EEENS1_30default_config_static_selectorELNS0_4arch9wavefront6targetE1EEEvSP_: ; @_ZN7rocprim17ROCPRIM_400000_NS6detail17trampoline_kernelINS0_14default_configENS1_29binary_search_config_selectorIdbEEZNS1_14transform_implILb0ES3_S5_N6thrust23THRUST_200600_302600_NS6detail15normal_iteratorINS8_10device_ptrIdEEEENSA_INSB_IbEEEEZNS1_13binary_searchIS3_S5_SD_SD_SF_NS1_16binary_search_opENS9_16wrapped_functionINS0_4lessIvEEbEEEE10hipError_tPvRmT1_T2_T3_mmT4_T5_P12ihipStream_tbEUlRKdE_EESM_SQ_SR_mSS_SV_bEUlT_E_NS1_11comp_targetILNS1_3genE10ELNS1_11target_archE1200ELNS1_3gpuE4ELNS1_3repE0EEENS1_30default_config_static_selectorELNS0_4arch9wavefront6targetE1EEEvSP_
; %bb.0:
	.section	.rodata,"a",@progbits
	.p2align	6, 0x0
	.amdhsa_kernel _ZN7rocprim17ROCPRIM_400000_NS6detail17trampoline_kernelINS0_14default_configENS1_29binary_search_config_selectorIdbEEZNS1_14transform_implILb0ES3_S5_N6thrust23THRUST_200600_302600_NS6detail15normal_iteratorINS8_10device_ptrIdEEEENSA_INSB_IbEEEEZNS1_13binary_searchIS3_S5_SD_SD_SF_NS1_16binary_search_opENS9_16wrapped_functionINS0_4lessIvEEbEEEE10hipError_tPvRmT1_T2_T3_mmT4_T5_P12ihipStream_tbEUlRKdE_EESM_SQ_SR_mSS_SV_bEUlT_E_NS1_11comp_targetILNS1_3genE10ELNS1_11target_archE1200ELNS1_3gpuE4ELNS1_3repE0EEENS1_30default_config_static_selectorELNS0_4arch9wavefront6targetE1EEEvSP_
		.amdhsa_group_segment_fixed_size 0
		.amdhsa_private_segment_fixed_size 0
		.amdhsa_kernarg_size 56
		.amdhsa_user_sgpr_count 6
		.amdhsa_user_sgpr_private_segment_buffer 1
		.amdhsa_user_sgpr_dispatch_ptr 0
		.amdhsa_user_sgpr_queue_ptr 0
		.amdhsa_user_sgpr_kernarg_segment_ptr 1
		.amdhsa_user_sgpr_dispatch_id 0
		.amdhsa_user_sgpr_flat_scratch_init 0
		.amdhsa_user_sgpr_kernarg_preload_length 0
		.amdhsa_user_sgpr_kernarg_preload_offset 0
		.amdhsa_user_sgpr_private_segment_size 0
		.amdhsa_uses_dynamic_stack 0
		.amdhsa_system_sgpr_private_segment_wavefront_offset 0
		.amdhsa_system_sgpr_workgroup_id_x 1
		.amdhsa_system_sgpr_workgroup_id_y 0
		.amdhsa_system_sgpr_workgroup_id_z 0
		.amdhsa_system_sgpr_workgroup_info 0
		.amdhsa_system_vgpr_workitem_id 0
		.amdhsa_next_free_vgpr 1
		.amdhsa_next_free_sgpr 0
		.amdhsa_accum_offset 4
		.amdhsa_reserve_vcc 0
		.amdhsa_reserve_flat_scratch 0
		.amdhsa_float_round_mode_32 0
		.amdhsa_float_round_mode_16_64 0
		.amdhsa_float_denorm_mode_32 3
		.amdhsa_float_denorm_mode_16_64 3
		.amdhsa_dx10_clamp 1
		.amdhsa_ieee_mode 1
		.amdhsa_fp16_overflow 0
		.amdhsa_tg_split 0
		.amdhsa_exception_fp_ieee_invalid_op 0
		.amdhsa_exception_fp_denorm_src 0
		.amdhsa_exception_fp_ieee_div_zero 0
		.amdhsa_exception_fp_ieee_overflow 0
		.amdhsa_exception_fp_ieee_underflow 0
		.amdhsa_exception_fp_ieee_inexact 0
		.amdhsa_exception_int_div_zero 0
	.end_amdhsa_kernel
	.section	.text._ZN7rocprim17ROCPRIM_400000_NS6detail17trampoline_kernelINS0_14default_configENS1_29binary_search_config_selectorIdbEEZNS1_14transform_implILb0ES3_S5_N6thrust23THRUST_200600_302600_NS6detail15normal_iteratorINS8_10device_ptrIdEEEENSA_INSB_IbEEEEZNS1_13binary_searchIS3_S5_SD_SD_SF_NS1_16binary_search_opENS9_16wrapped_functionINS0_4lessIvEEbEEEE10hipError_tPvRmT1_T2_T3_mmT4_T5_P12ihipStream_tbEUlRKdE_EESM_SQ_SR_mSS_SV_bEUlT_E_NS1_11comp_targetILNS1_3genE10ELNS1_11target_archE1200ELNS1_3gpuE4ELNS1_3repE0EEENS1_30default_config_static_selectorELNS0_4arch9wavefront6targetE1EEEvSP_,"axG",@progbits,_ZN7rocprim17ROCPRIM_400000_NS6detail17trampoline_kernelINS0_14default_configENS1_29binary_search_config_selectorIdbEEZNS1_14transform_implILb0ES3_S5_N6thrust23THRUST_200600_302600_NS6detail15normal_iteratorINS8_10device_ptrIdEEEENSA_INSB_IbEEEEZNS1_13binary_searchIS3_S5_SD_SD_SF_NS1_16binary_search_opENS9_16wrapped_functionINS0_4lessIvEEbEEEE10hipError_tPvRmT1_T2_T3_mmT4_T5_P12ihipStream_tbEUlRKdE_EESM_SQ_SR_mSS_SV_bEUlT_E_NS1_11comp_targetILNS1_3genE10ELNS1_11target_archE1200ELNS1_3gpuE4ELNS1_3repE0EEENS1_30default_config_static_selectorELNS0_4arch9wavefront6targetE1EEEvSP_,comdat
.Lfunc_end408:
	.size	_ZN7rocprim17ROCPRIM_400000_NS6detail17trampoline_kernelINS0_14default_configENS1_29binary_search_config_selectorIdbEEZNS1_14transform_implILb0ES3_S5_N6thrust23THRUST_200600_302600_NS6detail15normal_iteratorINS8_10device_ptrIdEEEENSA_INSB_IbEEEEZNS1_13binary_searchIS3_S5_SD_SD_SF_NS1_16binary_search_opENS9_16wrapped_functionINS0_4lessIvEEbEEEE10hipError_tPvRmT1_T2_T3_mmT4_T5_P12ihipStream_tbEUlRKdE_EESM_SQ_SR_mSS_SV_bEUlT_E_NS1_11comp_targetILNS1_3genE10ELNS1_11target_archE1200ELNS1_3gpuE4ELNS1_3repE0EEENS1_30default_config_static_selectorELNS0_4arch9wavefront6targetE1EEEvSP_, .Lfunc_end408-_ZN7rocprim17ROCPRIM_400000_NS6detail17trampoline_kernelINS0_14default_configENS1_29binary_search_config_selectorIdbEEZNS1_14transform_implILb0ES3_S5_N6thrust23THRUST_200600_302600_NS6detail15normal_iteratorINS8_10device_ptrIdEEEENSA_INSB_IbEEEEZNS1_13binary_searchIS3_S5_SD_SD_SF_NS1_16binary_search_opENS9_16wrapped_functionINS0_4lessIvEEbEEEE10hipError_tPvRmT1_T2_T3_mmT4_T5_P12ihipStream_tbEUlRKdE_EESM_SQ_SR_mSS_SV_bEUlT_E_NS1_11comp_targetILNS1_3genE10ELNS1_11target_archE1200ELNS1_3gpuE4ELNS1_3repE0EEENS1_30default_config_static_selectorELNS0_4arch9wavefront6targetE1EEEvSP_
                                        ; -- End function
	.section	.AMDGPU.csdata,"",@progbits
; Kernel info:
; codeLenInByte = 0
; NumSgprs: 4
; NumVgprs: 0
; NumAgprs: 0
; TotalNumVgprs: 0
; ScratchSize: 0
; MemoryBound: 0
; FloatMode: 240
; IeeeMode: 1
; LDSByteSize: 0 bytes/workgroup (compile time only)
; SGPRBlocks: 0
; VGPRBlocks: 0
; NumSGPRsForWavesPerEU: 4
; NumVGPRsForWavesPerEU: 1
; AccumOffset: 4
; Occupancy: 8
; WaveLimiterHint : 0
; COMPUTE_PGM_RSRC2:SCRATCH_EN: 0
; COMPUTE_PGM_RSRC2:USER_SGPR: 6
; COMPUTE_PGM_RSRC2:TRAP_HANDLER: 0
; COMPUTE_PGM_RSRC2:TGID_X_EN: 1
; COMPUTE_PGM_RSRC2:TGID_Y_EN: 0
; COMPUTE_PGM_RSRC2:TGID_Z_EN: 0
; COMPUTE_PGM_RSRC2:TIDIG_COMP_CNT: 0
; COMPUTE_PGM_RSRC3_GFX90A:ACCUM_OFFSET: 0
; COMPUTE_PGM_RSRC3_GFX90A:TG_SPLIT: 0
	.section	.text._ZN7rocprim17ROCPRIM_400000_NS6detail17trampoline_kernelINS0_14default_configENS1_29binary_search_config_selectorIdbEEZNS1_14transform_implILb0ES3_S5_N6thrust23THRUST_200600_302600_NS6detail15normal_iteratorINS8_10device_ptrIdEEEENSA_INSB_IbEEEEZNS1_13binary_searchIS3_S5_SD_SD_SF_NS1_16binary_search_opENS9_16wrapped_functionINS0_4lessIvEEbEEEE10hipError_tPvRmT1_T2_T3_mmT4_T5_P12ihipStream_tbEUlRKdE_EESM_SQ_SR_mSS_SV_bEUlT_E_NS1_11comp_targetILNS1_3genE9ELNS1_11target_archE1100ELNS1_3gpuE3ELNS1_3repE0EEENS1_30default_config_static_selectorELNS0_4arch9wavefront6targetE1EEEvSP_,"axG",@progbits,_ZN7rocprim17ROCPRIM_400000_NS6detail17trampoline_kernelINS0_14default_configENS1_29binary_search_config_selectorIdbEEZNS1_14transform_implILb0ES3_S5_N6thrust23THRUST_200600_302600_NS6detail15normal_iteratorINS8_10device_ptrIdEEEENSA_INSB_IbEEEEZNS1_13binary_searchIS3_S5_SD_SD_SF_NS1_16binary_search_opENS9_16wrapped_functionINS0_4lessIvEEbEEEE10hipError_tPvRmT1_T2_T3_mmT4_T5_P12ihipStream_tbEUlRKdE_EESM_SQ_SR_mSS_SV_bEUlT_E_NS1_11comp_targetILNS1_3genE9ELNS1_11target_archE1100ELNS1_3gpuE3ELNS1_3repE0EEENS1_30default_config_static_selectorELNS0_4arch9wavefront6targetE1EEEvSP_,comdat
	.protected	_ZN7rocprim17ROCPRIM_400000_NS6detail17trampoline_kernelINS0_14default_configENS1_29binary_search_config_selectorIdbEEZNS1_14transform_implILb0ES3_S5_N6thrust23THRUST_200600_302600_NS6detail15normal_iteratorINS8_10device_ptrIdEEEENSA_INSB_IbEEEEZNS1_13binary_searchIS3_S5_SD_SD_SF_NS1_16binary_search_opENS9_16wrapped_functionINS0_4lessIvEEbEEEE10hipError_tPvRmT1_T2_T3_mmT4_T5_P12ihipStream_tbEUlRKdE_EESM_SQ_SR_mSS_SV_bEUlT_E_NS1_11comp_targetILNS1_3genE9ELNS1_11target_archE1100ELNS1_3gpuE3ELNS1_3repE0EEENS1_30default_config_static_selectorELNS0_4arch9wavefront6targetE1EEEvSP_ ; -- Begin function _ZN7rocprim17ROCPRIM_400000_NS6detail17trampoline_kernelINS0_14default_configENS1_29binary_search_config_selectorIdbEEZNS1_14transform_implILb0ES3_S5_N6thrust23THRUST_200600_302600_NS6detail15normal_iteratorINS8_10device_ptrIdEEEENSA_INSB_IbEEEEZNS1_13binary_searchIS3_S5_SD_SD_SF_NS1_16binary_search_opENS9_16wrapped_functionINS0_4lessIvEEbEEEE10hipError_tPvRmT1_T2_T3_mmT4_T5_P12ihipStream_tbEUlRKdE_EESM_SQ_SR_mSS_SV_bEUlT_E_NS1_11comp_targetILNS1_3genE9ELNS1_11target_archE1100ELNS1_3gpuE3ELNS1_3repE0EEENS1_30default_config_static_selectorELNS0_4arch9wavefront6targetE1EEEvSP_
	.globl	_ZN7rocprim17ROCPRIM_400000_NS6detail17trampoline_kernelINS0_14default_configENS1_29binary_search_config_selectorIdbEEZNS1_14transform_implILb0ES3_S5_N6thrust23THRUST_200600_302600_NS6detail15normal_iteratorINS8_10device_ptrIdEEEENSA_INSB_IbEEEEZNS1_13binary_searchIS3_S5_SD_SD_SF_NS1_16binary_search_opENS9_16wrapped_functionINS0_4lessIvEEbEEEE10hipError_tPvRmT1_T2_T3_mmT4_T5_P12ihipStream_tbEUlRKdE_EESM_SQ_SR_mSS_SV_bEUlT_E_NS1_11comp_targetILNS1_3genE9ELNS1_11target_archE1100ELNS1_3gpuE3ELNS1_3repE0EEENS1_30default_config_static_selectorELNS0_4arch9wavefront6targetE1EEEvSP_
	.p2align	8
	.type	_ZN7rocprim17ROCPRIM_400000_NS6detail17trampoline_kernelINS0_14default_configENS1_29binary_search_config_selectorIdbEEZNS1_14transform_implILb0ES3_S5_N6thrust23THRUST_200600_302600_NS6detail15normal_iteratorINS8_10device_ptrIdEEEENSA_INSB_IbEEEEZNS1_13binary_searchIS3_S5_SD_SD_SF_NS1_16binary_search_opENS9_16wrapped_functionINS0_4lessIvEEbEEEE10hipError_tPvRmT1_T2_T3_mmT4_T5_P12ihipStream_tbEUlRKdE_EESM_SQ_SR_mSS_SV_bEUlT_E_NS1_11comp_targetILNS1_3genE9ELNS1_11target_archE1100ELNS1_3gpuE3ELNS1_3repE0EEENS1_30default_config_static_selectorELNS0_4arch9wavefront6targetE1EEEvSP_,@function
_ZN7rocprim17ROCPRIM_400000_NS6detail17trampoline_kernelINS0_14default_configENS1_29binary_search_config_selectorIdbEEZNS1_14transform_implILb0ES3_S5_N6thrust23THRUST_200600_302600_NS6detail15normal_iteratorINS8_10device_ptrIdEEEENSA_INSB_IbEEEEZNS1_13binary_searchIS3_S5_SD_SD_SF_NS1_16binary_search_opENS9_16wrapped_functionINS0_4lessIvEEbEEEE10hipError_tPvRmT1_T2_T3_mmT4_T5_P12ihipStream_tbEUlRKdE_EESM_SQ_SR_mSS_SV_bEUlT_E_NS1_11comp_targetILNS1_3genE9ELNS1_11target_archE1100ELNS1_3gpuE3ELNS1_3repE0EEENS1_30default_config_static_selectorELNS0_4arch9wavefront6targetE1EEEvSP_: ; @_ZN7rocprim17ROCPRIM_400000_NS6detail17trampoline_kernelINS0_14default_configENS1_29binary_search_config_selectorIdbEEZNS1_14transform_implILb0ES3_S5_N6thrust23THRUST_200600_302600_NS6detail15normal_iteratorINS8_10device_ptrIdEEEENSA_INSB_IbEEEEZNS1_13binary_searchIS3_S5_SD_SD_SF_NS1_16binary_search_opENS9_16wrapped_functionINS0_4lessIvEEbEEEE10hipError_tPvRmT1_T2_T3_mmT4_T5_P12ihipStream_tbEUlRKdE_EESM_SQ_SR_mSS_SV_bEUlT_E_NS1_11comp_targetILNS1_3genE9ELNS1_11target_archE1100ELNS1_3gpuE3ELNS1_3repE0EEENS1_30default_config_static_selectorELNS0_4arch9wavefront6targetE1EEEvSP_
; %bb.0:
	.section	.rodata,"a",@progbits
	.p2align	6, 0x0
	.amdhsa_kernel _ZN7rocprim17ROCPRIM_400000_NS6detail17trampoline_kernelINS0_14default_configENS1_29binary_search_config_selectorIdbEEZNS1_14transform_implILb0ES3_S5_N6thrust23THRUST_200600_302600_NS6detail15normal_iteratorINS8_10device_ptrIdEEEENSA_INSB_IbEEEEZNS1_13binary_searchIS3_S5_SD_SD_SF_NS1_16binary_search_opENS9_16wrapped_functionINS0_4lessIvEEbEEEE10hipError_tPvRmT1_T2_T3_mmT4_T5_P12ihipStream_tbEUlRKdE_EESM_SQ_SR_mSS_SV_bEUlT_E_NS1_11comp_targetILNS1_3genE9ELNS1_11target_archE1100ELNS1_3gpuE3ELNS1_3repE0EEENS1_30default_config_static_selectorELNS0_4arch9wavefront6targetE1EEEvSP_
		.amdhsa_group_segment_fixed_size 0
		.amdhsa_private_segment_fixed_size 0
		.amdhsa_kernarg_size 56
		.amdhsa_user_sgpr_count 6
		.amdhsa_user_sgpr_private_segment_buffer 1
		.amdhsa_user_sgpr_dispatch_ptr 0
		.amdhsa_user_sgpr_queue_ptr 0
		.amdhsa_user_sgpr_kernarg_segment_ptr 1
		.amdhsa_user_sgpr_dispatch_id 0
		.amdhsa_user_sgpr_flat_scratch_init 0
		.amdhsa_user_sgpr_kernarg_preload_length 0
		.amdhsa_user_sgpr_kernarg_preload_offset 0
		.amdhsa_user_sgpr_private_segment_size 0
		.amdhsa_uses_dynamic_stack 0
		.amdhsa_system_sgpr_private_segment_wavefront_offset 0
		.amdhsa_system_sgpr_workgroup_id_x 1
		.amdhsa_system_sgpr_workgroup_id_y 0
		.amdhsa_system_sgpr_workgroup_id_z 0
		.amdhsa_system_sgpr_workgroup_info 0
		.amdhsa_system_vgpr_workitem_id 0
		.amdhsa_next_free_vgpr 1
		.amdhsa_next_free_sgpr 0
		.amdhsa_accum_offset 4
		.amdhsa_reserve_vcc 0
		.amdhsa_reserve_flat_scratch 0
		.amdhsa_float_round_mode_32 0
		.amdhsa_float_round_mode_16_64 0
		.amdhsa_float_denorm_mode_32 3
		.amdhsa_float_denorm_mode_16_64 3
		.amdhsa_dx10_clamp 1
		.amdhsa_ieee_mode 1
		.amdhsa_fp16_overflow 0
		.amdhsa_tg_split 0
		.amdhsa_exception_fp_ieee_invalid_op 0
		.amdhsa_exception_fp_denorm_src 0
		.amdhsa_exception_fp_ieee_div_zero 0
		.amdhsa_exception_fp_ieee_overflow 0
		.amdhsa_exception_fp_ieee_underflow 0
		.amdhsa_exception_fp_ieee_inexact 0
		.amdhsa_exception_int_div_zero 0
	.end_amdhsa_kernel
	.section	.text._ZN7rocprim17ROCPRIM_400000_NS6detail17trampoline_kernelINS0_14default_configENS1_29binary_search_config_selectorIdbEEZNS1_14transform_implILb0ES3_S5_N6thrust23THRUST_200600_302600_NS6detail15normal_iteratorINS8_10device_ptrIdEEEENSA_INSB_IbEEEEZNS1_13binary_searchIS3_S5_SD_SD_SF_NS1_16binary_search_opENS9_16wrapped_functionINS0_4lessIvEEbEEEE10hipError_tPvRmT1_T2_T3_mmT4_T5_P12ihipStream_tbEUlRKdE_EESM_SQ_SR_mSS_SV_bEUlT_E_NS1_11comp_targetILNS1_3genE9ELNS1_11target_archE1100ELNS1_3gpuE3ELNS1_3repE0EEENS1_30default_config_static_selectorELNS0_4arch9wavefront6targetE1EEEvSP_,"axG",@progbits,_ZN7rocprim17ROCPRIM_400000_NS6detail17trampoline_kernelINS0_14default_configENS1_29binary_search_config_selectorIdbEEZNS1_14transform_implILb0ES3_S5_N6thrust23THRUST_200600_302600_NS6detail15normal_iteratorINS8_10device_ptrIdEEEENSA_INSB_IbEEEEZNS1_13binary_searchIS3_S5_SD_SD_SF_NS1_16binary_search_opENS9_16wrapped_functionINS0_4lessIvEEbEEEE10hipError_tPvRmT1_T2_T3_mmT4_T5_P12ihipStream_tbEUlRKdE_EESM_SQ_SR_mSS_SV_bEUlT_E_NS1_11comp_targetILNS1_3genE9ELNS1_11target_archE1100ELNS1_3gpuE3ELNS1_3repE0EEENS1_30default_config_static_selectorELNS0_4arch9wavefront6targetE1EEEvSP_,comdat
.Lfunc_end409:
	.size	_ZN7rocprim17ROCPRIM_400000_NS6detail17trampoline_kernelINS0_14default_configENS1_29binary_search_config_selectorIdbEEZNS1_14transform_implILb0ES3_S5_N6thrust23THRUST_200600_302600_NS6detail15normal_iteratorINS8_10device_ptrIdEEEENSA_INSB_IbEEEEZNS1_13binary_searchIS3_S5_SD_SD_SF_NS1_16binary_search_opENS9_16wrapped_functionINS0_4lessIvEEbEEEE10hipError_tPvRmT1_T2_T3_mmT4_T5_P12ihipStream_tbEUlRKdE_EESM_SQ_SR_mSS_SV_bEUlT_E_NS1_11comp_targetILNS1_3genE9ELNS1_11target_archE1100ELNS1_3gpuE3ELNS1_3repE0EEENS1_30default_config_static_selectorELNS0_4arch9wavefront6targetE1EEEvSP_, .Lfunc_end409-_ZN7rocprim17ROCPRIM_400000_NS6detail17trampoline_kernelINS0_14default_configENS1_29binary_search_config_selectorIdbEEZNS1_14transform_implILb0ES3_S5_N6thrust23THRUST_200600_302600_NS6detail15normal_iteratorINS8_10device_ptrIdEEEENSA_INSB_IbEEEEZNS1_13binary_searchIS3_S5_SD_SD_SF_NS1_16binary_search_opENS9_16wrapped_functionINS0_4lessIvEEbEEEE10hipError_tPvRmT1_T2_T3_mmT4_T5_P12ihipStream_tbEUlRKdE_EESM_SQ_SR_mSS_SV_bEUlT_E_NS1_11comp_targetILNS1_3genE9ELNS1_11target_archE1100ELNS1_3gpuE3ELNS1_3repE0EEENS1_30default_config_static_selectorELNS0_4arch9wavefront6targetE1EEEvSP_
                                        ; -- End function
	.section	.AMDGPU.csdata,"",@progbits
; Kernel info:
; codeLenInByte = 0
; NumSgprs: 4
; NumVgprs: 0
; NumAgprs: 0
; TotalNumVgprs: 0
; ScratchSize: 0
; MemoryBound: 0
; FloatMode: 240
; IeeeMode: 1
; LDSByteSize: 0 bytes/workgroup (compile time only)
; SGPRBlocks: 0
; VGPRBlocks: 0
; NumSGPRsForWavesPerEU: 4
; NumVGPRsForWavesPerEU: 1
; AccumOffset: 4
; Occupancy: 8
; WaveLimiterHint : 0
; COMPUTE_PGM_RSRC2:SCRATCH_EN: 0
; COMPUTE_PGM_RSRC2:USER_SGPR: 6
; COMPUTE_PGM_RSRC2:TRAP_HANDLER: 0
; COMPUTE_PGM_RSRC2:TGID_X_EN: 1
; COMPUTE_PGM_RSRC2:TGID_Y_EN: 0
; COMPUTE_PGM_RSRC2:TGID_Z_EN: 0
; COMPUTE_PGM_RSRC2:TIDIG_COMP_CNT: 0
; COMPUTE_PGM_RSRC3_GFX90A:ACCUM_OFFSET: 0
; COMPUTE_PGM_RSRC3_GFX90A:TG_SPLIT: 0
	.section	.text._ZN7rocprim17ROCPRIM_400000_NS6detail17trampoline_kernelINS0_14default_configENS1_29binary_search_config_selectorIdbEEZNS1_14transform_implILb0ES3_S5_N6thrust23THRUST_200600_302600_NS6detail15normal_iteratorINS8_10device_ptrIdEEEENSA_INSB_IbEEEEZNS1_13binary_searchIS3_S5_SD_SD_SF_NS1_16binary_search_opENS9_16wrapped_functionINS0_4lessIvEEbEEEE10hipError_tPvRmT1_T2_T3_mmT4_T5_P12ihipStream_tbEUlRKdE_EESM_SQ_SR_mSS_SV_bEUlT_E_NS1_11comp_targetILNS1_3genE8ELNS1_11target_archE1030ELNS1_3gpuE2ELNS1_3repE0EEENS1_30default_config_static_selectorELNS0_4arch9wavefront6targetE1EEEvSP_,"axG",@progbits,_ZN7rocprim17ROCPRIM_400000_NS6detail17trampoline_kernelINS0_14default_configENS1_29binary_search_config_selectorIdbEEZNS1_14transform_implILb0ES3_S5_N6thrust23THRUST_200600_302600_NS6detail15normal_iteratorINS8_10device_ptrIdEEEENSA_INSB_IbEEEEZNS1_13binary_searchIS3_S5_SD_SD_SF_NS1_16binary_search_opENS9_16wrapped_functionINS0_4lessIvEEbEEEE10hipError_tPvRmT1_T2_T3_mmT4_T5_P12ihipStream_tbEUlRKdE_EESM_SQ_SR_mSS_SV_bEUlT_E_NS1_11comp_targetILNS1_3genE8ELNS1_11target_archE1030ELNS1_3gpuE2ELNS1_3repE0EEENS1_30default_config_static_selectorELNS0_4arch9wavefront6targetE1EEEvSP_,comdat
	.protected	_ZN7rocprim17ROCPRIM_400000_NS6detail17trampoline_kernelINS0_14default_configENS1_29binary_search_config_selectorIdbEEZNS1_14transform_implILb0ES3_S5_N6thrust23THRUST_200600_302600_NS6detail15normal_iteratorINS8_10device_ptrIdEEEENSA_INSB_IbEEEEZNS1_13binary_searchIS3_S5_SD_SD_SF_NS1_16binary_search_opENS9_16wrapped_functionINS0_4lessIvEEbEEEE10hipError_tPvRmT1_T2_T3_mmT4_T5_P12ihipStream_tbEUlRKdE_EESM_SQ_SR_mSS_SV_bEUlT_E_NS1_11comp_targetILNS1_3genE8ELNS1_11target_archE1030ELNS1_3gpuE2ELNS1_3repE0EEENS1_30default_config_static_selectorELNS0_4arch9wavefront6targetE1EEEvSP_ ; -- Begin function _ZN7rocprim17ROCPRIM_400000_NS6detail17trampoline_kernelINS0_14default_configENS1_29binary_search_config_selectorIdbEEZNS1_14transform_implILb0ES3_S5_N6thrust23THRUST_200600_302600_NS6detail15normal_iteratorINS8_10device_ptrIdEEEENSA_INSB_IbEEEEZNS1_13binary_searchIS3_S5_SD_SD_SF_NS1_16binary_search_opENS9_16wrapped_functionINS0_4lessIvEEbEEEE10hipError_tPvRmT1_T2_T3_mmT4_T5_P12ihipStream_tbEUlRKdE_EESM_SQ_SR_mSS_SV_bEUlT_E_NS1_11comp_targetILNS1_3genE8ELNS1_11target_archE1030ELNS1_3gpuE2ELNS1_3repE0EEENS1_30default_config_static_selectorELNS0_4arch9wavefront6targetE1EEEvSP_
	.globl	_ZN7rocprim17ROCPRIM_400000_NS6detail17trampoline_kernelINS0_14default_configENS1_29binary_search_config_selectorIdbEEZNS1_14transform_implILb0ES3_S5_N6thrust23THRUST_200600_302600_NS6detail15normal_iteratorINS8_10device_ptrIdEEEENSA_INSB_IbEEEEZNS1_13binary_searchIS3_S5_SD_SD_SF_NS1_16binary_search_opENS9_16wrapped_functionINS0_4lessIvEEbEEEE10hipError_tPvRmT1_T2_T3_mmT4_T5_P12ihipStream_tbEUlRKdE_EESM_SQ_SR_mSS_SV_bEUlT_E_NS1_11comp_targetILNS1_3genE8ELNS1_11target_archE1030ELNS1_3gpuE2ELNS1_3repE0EEENS1_30default_config_static_selectorELNS0_4arch9wavefront6targetE1EEEvSP_
	.p2align	8
	.type	_ZN7rocprim17ROCPRIM_400000_NS6detail17trampoline_kernelINS0_14default_configENS1_29binary_search_config_selectorIdbEEZNS1_14transform_implILb0ES3_S5_N6thrust23THRUST_200600_302600_NS6detail15normal_iteratorINS8_10device_ptrIdEEEENSA_INSB_IbEEEEZNS1_13binary_searchIS3_S5_SD_SD_SF_NS1_16binary_search_opENS9_16wrapped_functionINS0_4lessIvEEbEEEE10hipError_tPvRmT1_T2_T3_mmT4_T5_P12ihipStream_tbEUlRKdE_EESM_SQ_SR_mSS_SV_bEUlT_E_NS1_11comp_targetILNS1_3genE8ELNS1_11target_archE1030ELNS1_3gpuE2ELNS1_3repE0EEENS1_30default_config_static_selectorELNS0_4arch9wavefront6targetE1EEEvSP_,@function
_ZN7rocprim17ROCPRIM_400000_NS6detail17trampoline_kernelINS0_14default_configENS1_29binary_search_config_selectorIdbEEZNS1_14transform_implILb0ES3_S5_N6thrust23THRUST_200600_302600_NS6detail15normal_iteratorINS8_10device_ptrIdEEEENSA_INSB_IbEEEEZNS1_13binary_searchIS3_S5_SD_SD_SF_NS1_16binary_search_opENS9_16wrapped_functionINS0_4lessIvEEbEEEE10hipError_tPvRmT1_T2_T3_mmT4_T5_P12ihipStream_tbEUlRKdE_EESM_SQ_SR_mSS_SV_bEUlT_E_NS1_11comp_targetILNS1_3genE8ELNS1_11target_archE1030ELNS1_3gpuE2ELNS1_3repE0EEENS1_30default_config_static_selectorELNS0_4arch9wavefront6targetE1EEEvSP_: ; @_ZN7rocprim17ROCPRIM_400000_NS6detail17trampoline_kernelINS0_14default_configENS1_29binary_search_config_selectorIdbEEZNS1_14transform_implILb0ES3_S5_N6thrust23THRUST_200600_302600_NS6detail15normal_iteratorINS8_10device_ptrIdEEEENSA_INSB_IbEEEEZNS1_13binary_searchIS3_S5_SD_SD_SF_NS1_16binary_search_opENS9_16wrapped_functionINS0_4lessIvEEbEEEE10hipError_tPvRmT1_T2_T3_mmT4_T5_P12ihipStream_tbEUlRKdE_EESM_SQ_SR_mSS_SV_bEUlT_E_NS1_11comp_targetILNS1_3genE8ELNS1_11target_archE1030ELNS1_3gpuE2ELNS1_3repE0EEENS1_30default_config_static_selectorELNS0_4arch9wavefront6targetE1EEEvSP_
; %bb.0:
	.section	.rodata,"a",@progbits
	.p2align	6, 0x0
	.amdhsa_kernel _ZN7rocprim17ROCPRIM_400000_NS6detail17trampoline_kernelINS0_14default_configENS1_29binary_search_config_selectorIdbEEZNS1_14transform_implILb0ES3_S5_N6thrust23THRUST_200600_302600_NS6detail15normal_iteratorINS8_10device_ptrIdEEEENSA_INSB_IbEEEEZNS1_13binary_searchIS3_S5_SD_SD_SF_NS1_16binary_search_opENS9_16wrapped_functionINS0_4lessIvEEbEEEE10hipError_tPvRmT1_T2_T3_mmT4_T5_P12ihipStream_tbEUlRKdE_EESM_SQ_SR_mSS_SV_bEUlT_E_NS1_11comp_targetILNS1_3genE8ELNS1_11target_archE1030ELNS1_3gpuE2ELNS1_3repE0EEENS1_30default_config_static_selectorELNS0_4arch9wavefront6targetE1EEEvSP_
		.amdhsa_group_segment_fixed_size 0
		.amdhsa_private_segment_fixed_size 0
		.amdhsa_kernarg_size 56
		.amdhsa_user_sgpr_count 6
		.amdhsa_user_sgpr_private_segment_buffer 1
		.amdhsa_user_sgpr_dispatch_ptr 0
		.amdhsa_user_sgpr_queue_ptr 0
		.amdhsa_user_sgpr_kernarg_segment_ptr 1
		.amdhsa_user_sgpr_dispatch_id 0
		.amdhsa_user_sgpr_flat_scratch_init 0
		.amdhsa_user_sgpr_kernarg_preload_length 0
		.amdhsa_user_sgpr_kernarg_preload_offset 0
		.amdhsa_user_sgpr_private_segment_size 0
		.amdhsa_uses_dynamic_stack 0
		.amdhsa_system_sgpr_private_segment_wavefront_offset 0
		.amdhsa_system_sgpr_workgroup_id_x 1
		.amdhsa_system_sgpr_workgroup_id_y 0
		.amdhsa_system_sgpr_workgroup_id_z 0
		.amdhsa_system_sgpr_workgroup_info 0
		.amdhsa_system_vgpr_workitem_id 0
		.amdhsa_next_free_vgpr 1
		.amdhsa_next_free_sgpr 0
		.amdhsa_accum_offset 4
		.amdhsa_reserve_vcc 0
		.amdhsa_reserve_flat_scratch 0
		.amdhsa_float_round_mode_32 0
		.amdhsa_float_round_mode_16_64 0
		.amdhsa_float_denorm_mode_32 3
		.amdhsa_float_denorm_mode_16_64 3
		.amdhsa_dx10_clamp 1
		.amdhsa_ieee_mode 1
		.amdhsa_fp16_overflow 0
		.amdhsa_tg_split 0
		.amdhsa_exception_fp_ieee_invalid_op 0
		.amdhsa_exception_fp_denorm_src 0
		.amdhsa_exception_fp_ieee_div_zero 0
		.amdhsa_exception_fp_ieee_overflow 0
		.amdhsa_exception_fp_ieee_underflow 0
		.amdhsa_exception_fp_ieee_inexact 0
		.amdhsa_exception_int_div_zero 0
	.end_amdhsa_kernel
	.section	.text._ZN7rocprim17ROCPRIM_400000_NS6detail17trampoline_kernelINS0_14default_configENS1_29binary_search_config_selectorIdbEEZNS1_14transform_implILb0ES3_S5_N6thrust23THRUST_200600_302600_NS6detail15normal_iteratorINS8_10device_ptrIdEEEENSA_INSB_IbEEEEZNS1_13binary_searchIS3_S5_SD_SD_SF_NS1_16binary_search_opENS9_16wrapped_functionINS0_4lessIvEEbEEEE10hipError_tPvRmT1_T2_T3_mmT4_T5_P12ihipStream_tbEUlRKdE_EESM_SQ_SR_mSS_SV_bEUlT_E_NS1_11comp_targetILNS1_3genE8ELNS1_11target_archE1030ELNS1_3gpuE2ELNS1_3repE0EEENS1_30default_config_static_selectorELNS0_4arch9wavefront6targetE1EEEvSP_,"axG",@progbits,_ZN7rocprim17ROCPRIM_400000_NS6detail17trampoline_kernelINS0_14default_configENS1_29binary_search_config_selectorIdbEEZNS1_14transform_implILb0ES3_S5_N6thrust23THRUST_200600_302600_NS6detail15normal_iteratorINS8_10device_ptrIdEEEENSA_INSB_IbEEEEZNS1_13binary_searchIS3_S5_SD_SD_SF_NS1_16binary_search_opENS9_16wrapped_functionINS0_4lessIvEEbEEEE10hipError_tPvRmT1_T2_T3_mmT4_T5_P12ihipStream_tbEUlRKdE_EESM_SQ_SR_mSS_SV_bEUlT_E_NS1_11comp_targetILNS1_3genE8ELNS1_11target_archE1030ELNS1_3gpuE2ELNS1_3repE0EEENS1_30default_config_static_selectorELNS0_4arch9wavefront6targetE1EEEvSP_,comdat
.Lfunc_end410:
	.size	_ZN7rocprim17ROCPRIM_400000_NS6detail17trampoline_kernelINS0_14default_configENS1_29binary_search_config_selectorIdbEEZNS1_14transform_implILb0ES3_S5_N6thrust23THRUST_200600_302600_NS6detail15normal_iteratorINS8_10device_ptrIdEEEENSA_INSB_IbEEEEZNS1_13binary_searchIS3_S5_SD_SD_SF_NS1_16binary_search_opENS9_16wrapped_functionINS0_4lessIvEEbEEEE10hipError_tPvRmT1_T2_T3_mmT4_T5_P12ihipStream_tbEUlRKdE_EESM_SQ_SR_mSS_SV_bEUlT_E_NS1_11comp_targetILNS1_3genE8ELNS1_11target_archE1030ELNS1_3gpuE2ELNS1_3repE0EEENS1_30default_config_static_selectorELNS0_4arch9wavefront6targetE1EEEvSP_, .Lfunc_end410-_ZN7rocprim17ROCPRIM_400000_NS6detail17trampoline_kernelINS0_14default_configENS1_29binary_search_config_selectorIdbEEZNS1_14transform_implILb0ES3_S5_N6thrust23THRUST_200600_302600_NS6detail15normal_iteratorINS8_10device_ptrIdEEEENSA_INSB_IbEEEEZNS1_13binary_searchIS3_S5_SD_SD_SF_NS1_16binary_search_opENS9_16wrapped_functionINS0_4lessIvEEbEEEE10hipError_tPvRmT1_T2_T3_mmT4_T5_P12ihipStream_tbEUlRKdE_EESM_SQ_SR_mSS_SV_bEUlT_E_NS1_11comp_targetILNS1_3genE8ELNS1_11target_archE1030ELNS1_3gpuE2ELNS1_3repE0EEENS1_30default_config_static_selectorELNS0_4arch9wavefront6targetE1EEEvSP_
                                        ; -- End function
	.section	.AMDGPU.csdata,"",@progbits
; Kernel info:
; codeLenInByte = 0
; NumSgprs: 4
; NumVgprs: 0
; NumAgprs: 0
; TotalNumVgprs: 0
; ScratchSize: 0
; MemoryBound: 0
; FloatMode: 240
; IeeeMode: 1
; LDSByteSize: 0 bytes/workgroup (compile time only)
; SGPRBlocks: 0
; VGPRBlocks: 0
; NumSGPRsForWavesPerEU: 4
; NumVGPRsForWavesPerEU: 1
; AccumOffset: 4
; Occupancy: 8
; WaveLimiterHint : 0
; COMPUTE_PGM_RSRC2:SCRATCH_EN: 0
; COMPUTE_PGM_RSRC2:USER_SGPR: 6
; COMPUTE_PGM_RSRC2:TRAP_HANDLER: 0
; COMPUTE_PGM_RSRC2:TGID_X_EN: 1
; COMPUTE_PGM_RSRC2:TGID_Y_EN: 0
; COMPUTE_PGM_RSRC2:TGID_Z_EN: 0
; COMPUTE_PGM_RSRC2:TIDIG_COMP_CNT: 0
; COMPUTE_PGM_RSRC3_GFX90A:ACCUM_OFFSET: 0
; COMPUTE_PGM_RSRC3_GFX90A:TG_SPLIT: 0
	.section	.text._ZN7rocprim17ROCPRIM_400000_NS6detail17trampoline_kernelINS0_14default_configENS1_29binary_search_config_selectorIdiEEZNS1_14transform_implILb0ES3_S5_N6thrust23THRUST_200600_302600_NS6detail15normal_iteratorINS8_10device_ptrIdEEEENSA_INSB_IiEEEEZNS1_13binary_searchIS3_S5_SD_SD_SF_NS1_16binary_search_opENS9_16wrapped_functionINS0_4lessIvEEbEEEE10hipError_tPvRmT1_T2_T3_mmT4_T5_P12ihipStream_tbEUlRKdE_EESM_SQ_SR_mSS_SV_bEUlT_E_NS1_11comp_targetILNS1_3genE0ELNS1_11target_archE4294967295ELNS1_3gpuE0ELNS1_3repE0EEENS1_30default_config_static_selectorELNS0_4arch9wavefront6targetE1EEEvSP_,"axG",@progbits,_ZN7rocprim17ROCPRIM_400000_NS6detail17trampoline_kernelINS0_14default_configENS1_29binary_search_config_selectorIdiEEZNS1_14transform_implILb0ES3_S5_N6thrust23THRUST_200600_302600_NS6detail15normal_iteratorINS8_10device_ptrIdEEEENSA_INSB_IiEEEEZNS1_13binary_searchIS3_S5_SD_SD_SF_NS1_16binary_search_opENS9_16wrapped_functionINS0_4lessIvEEbEEEE10hipError_tPvRmT1_T2_T3_mmT4_T5_P12ihipStream_tbEUlRKdE_EESM_SQ_SR_mSS_SV_bEUlT_E_NS1_11comp_targetILNS1_3genE0ELNS1_11target_archE4294967295ELNS1_3gpuE0ELNS1_3repE0EEENS1_30default_config_static_selectorELNS0_4arch9wavefront6targetE1EEEvSP_,comdat
	.protected	_ZN7rocprim17ROCPRIM_400000_NS6detail17trampoline_kernelINS0_14default_configENS1_29binary_search_config_selectorIdiEEZNS1_14transform_implILb0ES3_S5_N6thrust23THRUST_200600_302600_NS6detail15normal_iteratorINS8_10device_ptrIdEEEENSA_INSB_IiEEEEZNS1_13binary_searchIS3_S5_SD_SD_SF_NS1_16binary_search_opENS9_16wrapped_functionINS0_4lessIvEEbEEEE10hipError_tPvRmT1_T2_T3_mmT4_T5_P12ihipStream_tbEUlRKdE_EESM_SQ_SR_mSS_SV_bEUlT_E_NS1_11comp_targetILNS1_3genE0ELNS1_11target_archE4294967295ELNS1_3gpuE0ELNS1_3repE0EEENS1_30default_config_static_selectorELNS0_4arch9wavefront6targetE1EEEvSP_ ; -- Begin function _ZN7rocprim17ROCPRIM_400000_NS6detail17trampoline_kernelINS0_14default_configENS1_29binary_search_config_selectorIdiEEZNS1_14transform_implILb0ES3_S5_N6thrust23THRUST_200600_302600_NS6detail15normal_iteratorINS8_10device_ptrIdEEEENSA_INSB_IiEEEEZNS1_13binary_searchIS3_S5_SD_SD_SF_NS1_16binary_search_opENS9_16wrapped_functionINS0_4lessIvEEbEEEE10hipError_tPvRmT1_T2_T3_mmT4_T5_P12ihipStream_tbEUlRKdE_EESM_SQ_SR_mSS_SV_bEUlT_E_NS1_11comp_targetILNS1_3genE0ELNS1_11target_archE4294967295ELNS1_3gpuE0ELNS1_3repE0EEENS1_30default_config_static_selectorELNS0_4arch9wavefront6targetE1EEEvSP_
	.globl	_ZN7rocprim17ROCPRIM_400000_NS6detail17trampoline_kernelINS0_14default_configENS1_29binary_search_config_selectorIdiEEZNS1_14transform_implILb0ES3_S5_N6thrust23THRUST_200600_302600_NS6detail15normal_iteratorINS8_10device_ptrIdEEEENSA_INSB_IiEEEEZNS1_13binary_searchIS3_S5_SD_SD_SF_NS1_16binary_search_opENS9_16wrapped_functionINS0_4lessIvEEbEEEE10hipError_tPvRmT1_T2_T3_mmT4_T5_P12ihipStream_tbEUlRKdE_EESM_SQ_SR_mSS_SV_bEUlT_E_NS1_11comp_targetILNS1_3genE0ELNS1_11target_archE4294967295ELNS1_3gpuE0ELNS1_3repE0EEENS1_30default_config_static_selectorELNS0_4arch9wavefront6targetE1EEEvSP_
	.p2align	8
	.type	_ZN7rocprim17ROCPRIM_400000_NS6detail17trampoline_kernelINS0_14default_configENS1_29binary_search_config_selectorIdiEEZNS1_14transform_implILb0ES3_S5_N6thrust23THRUST_200600_302600_NS6detail15normal_iteratorINS8_10device_ptrIdEEEENSA_INSB_IiEEEEZNS1_13binary_searchIS3_S5_SD_SD_SF_NS1_16binary_search_opENS9_16wrapped_functionINS0_4lessIvEEbEEEE10hipError_tPvRmT1_T2_T3_mmT4_T5_P12ihipStream_tbEUlRKdE_EESM_SQ_SR_mSS_SV_bEUlT_E_NS1_11comp_targetILNS1_3genE0ELNS1_11target_archE4294967295ELNS1_3gpuE0ELNS1_3repE0EEENS1_30default_config_static_selectorELNS0_4arch9wavefront6targetE1EEEvSP_,@function
_ZN7rocprim17ROCPRIM_400000_NS6detail17trampoline_kernelINS0_14default_configENS1_29binary_search_config_selectorIdiEEZNS1_14transform_implILb0ES3_S5_N6thrust23THRUST_200600_302600_NS6detail15normal_iteratorINS8_10device_ptrIdEEEENSA_INSB_IiEEEEZNS1_13binary_searchIS3_S5_SD_SD_SF_NS1_16binary_search_opENS9_16wrapped_functionINS0_4lessIvEEbEEEE10hipError_tPvRmT1_T2_T3_mmT4_T5_P12ihipStream_tbEUlRKdE_EESM_SQ_SR_mSS_SV_bEUlT_E_NS1_11comp_targetILNS1_3genE0ELNS1_11target_archE4294967295ELNS1_3gpuE0ELNS1_3repE0EEENS1_30default_config_static_selectorELNS0_4arch9wavefront6targetE1EEEvSP_: ; @_ZN7rocprim17ROCPRIM_400000_NS6detail17trampoline_kernelINS0_14default_configENS1_29binary_search_config_selectorIdiEEZNS1_14transform_implILb0ES3_S5_N6thrust23THRUST_200600_302600_NS6detail15normal_iteratorINS8_10device_ptrIdEEEENSA_INSB_IiEEEEZNS1_13binary_searchIS3_S5_SD_SD_SF_NS1_16binary_search_opENS9_16wrapped_functionINS0_4lessIvEEbEEEE10hipError_tPvRmT1_T2_T3_mmT4_T5_P12ihipStream_tbEUlRKdE_EESM_SQ_SR_mSS_SV_bEUlT_E_NS1_11comp_targetILNS1_3genE0ELNS1_11target_archE4294967295ELNS1_3gpuE0ELNS1_3repE0EEENS1_30default_config_static_selectorELNS0_4arch9wavefront6targetE1EEEvSP_
; %bb.0:
	.section	.rodata,"a",@progbits
	.p2align	6, 0x0
	.amdhsa_kernel _ZN7rocprim17ROCPRIM_400000_NS6detail17trampoline_kernelINS0_14default_configENS1_29binary_search_config_selectorIdiEEZNS1_14transform_implILb0ES3_S5_N6thrust23THRUST_200600_302600_NS6detail15normal_iteratorINS8_10device_ptrIdEEEENSA_INSB_IiEEEEZNS1_13binary_searchIS3_S5_SD_SD_SF_NS1_16binary_search_opENS9_16wrapped_functionINS0_4lessIvEEbEEEE10hipError_tPvRmT1_T2_T3_mmT4_T5_P12ihipStream_tbEUlRKdE_EESM_SQ_SR_mSS_SV_bEUlT_E_NS1_11comp_targetILNS1_3genE0ELNS1_11target_archE4294967295ELNS1_3gpuE0ELNS1_3repE0EEENS1_30default_config_static_selectorELNS0_4arch9wavefront6targetE1EEEvSP_
		.amdhsa_group_segment_fixed_size 0
		.amdhsa_private_segment_fixed_size 0
		.amdhsa_kernarg_size 56
		.amdhsa_user_sgpr_count 6
		.amdhsa_user_sgpr_private_segment_buffer 1
		.amdhsa_user_sgpr_dispatch_ptr 0
		.amdhsa_user_sgpr_queue_ptr 0
		.amdhsa_user_sgpr_kernarg_segment_ptr 1
		.amdhsa_user_sgpr_dispatch_id 0
		.amdhsa_user_sgpr_flat_scratch_init 0
		.amdhsa_user_sgpr_kernarg_preload_length 0
		.amdhsa_user_sgpr_kernarg_preload_offset 0
		.amdhsa_user_sgpr_private_segment_size 0
		.amdhsa_uses_dynamic_stack 0
		.amdhsa_system_sgpr_private_segment_wavefront_offset 0
		.amdhsa_system_sgpr_workgroup_id_x 1
		.amdhsa_system_sgpr_workgroup_id_y 0
		.amdhsa_system_sgpr_workgroup_id_z 0
		.amdhsa_system_sgpr_workgroup_info 0
		.amdhsa_system_vgpr_workitem_id 0
		.amdhsa_next_free_vgpr 1
		.amdhsa_next_free_sgpr 0
		.amdhsa_accum_offset 4
		.amdhsa_reserve_vcc 0
		.amdhsa_reserve_flat_scratch 0
		.amdhsa_float_round_mode_32 0
		.amdhsa_float_round_mode_16_64 0
		.amdhsa_float_denorm_mode_32 3
		.amdhsa_float_denorm_mode_16_64 3
		.amdhsa_dx10_clamp 1
		.amdhsa_ieee_mode 1
		.amdhsa_fp16_overflow 0
		.amdhsa_tg_split 0
		.amdhsa_exception_fp_ieee_invalid_op 0
		.amdhsa_exception_fp_denorm_src 0
		.amdhsa_exception_fp_ieee_div_zero 0
		.amdhsa_exception_fp_ieee_overflow 0
		.amdhsa_exception_fp_ieee_underflow 0
		.amdhsa_exception_fp_ieee_inexact 0
		.amdhsa_exception_int_div_zero 0
	.end_amdhsa_kernel
	.section	.text._ZN7rocprim17ROCPRIM_400000_NS6detail17trampoline_kernelINS0_14default_configENS1_29binary_search_config_selectorIdiEEZNS1_14transform_implILb0ES3_S5_N6thrust23THRUST_200600_302600_NS6detail15normal_iteratorINS8_10device_ptrIdEEEENSA_INSB_IiEEEEZNS1_13binary_searchIS3_S5_SD_SD_SF_NS1_16binary_search_opENS9_16wrapped_functionINS0_4lessIvEEbEEEE10hipError_tPvRmT1_T2_T3_mmT4_T5_P12ihipStream_tbEUlRKdE_EESM_SQ_SR_mSS_SV_bEUlT_E_NS1_11comp_targetILNS1_3genE0ELNS1_11target_archE4294967295ELNS1_3gpuE0ELNS1_3repE0EEENS1_30default_config_static_selectorELNS0_4arch9wavefront6targetE1EEEvSP_,"axG",@progbits,_ZN7rocprim17ROCPRIM_400000_NS6detail17trampoline_kernelINS0_14default_configENS1_29binary_search_config_selectorIdiEEZNS1_14transform_implILb0ES3_S5_N6thrust23THRUST_200600_302600_NS6detail15normal_iteratorINS8_10device_ptrIdEEEENSA_INSB_IiEEEEZNS1_13binary_searchIS3_S5_SD_SD_SF_NS1_16binary_search_opENS9_16wrapped_functionINS0_4lessIvEEbEEEE10hipError_tPvRmT1_T2_T3_mmT4_T5_P12ihipStream_tbEUlRKdE_EESM_SQ_SR_mSS_SV_bEUlT_E_NS1_11comp_targetILNS1_3genE0ELNS1_11target_archE4294967295ELNS1_3gpuE0ELNS1_3repE0EEENS1_30default_config_static_selectorELNS0_4arch9wavefront6targetE1EEEvSP_,comdat
.Lfunc_end411:
	.size	_ZN7rocprim17ROCPRIM_400000_NS6detail17trampoline_kernelINS0_14default_configENS1_29binary_search_config_selectorIdiEEZNS1_14transform_implILb0ES3_S5_N6thrust23THRUST_200600_302600_NS6detail15normal_iteratorINS8_10device_ptrIdEEEENSA_INSB_IiEEEEZNS1_13binary_searchIS3_S5_SD_SD_SF_NS1_16binary_search_opENS9_16wrapped_functionINS0_4lessIvEEbEEEE10hipError_tPvRmT1_T2_T3_mmT4_T5_P12ihipStream_tbEUlRKdE_EESM_SQ_SR_mSS_SV_bEUlT_E_NS1_11comp_targetILNS1_3genE0ELNS1_11target_archE4294967295ELNS1_3gpuE0ELNS1_3repE0EEENS1_30default_config_static_selectorELNS0_4arch9wavefront6targetE1EEEvSP_, .Lfunc_end411-_ZN7rocprim17ROCPRIM_400000_NS6detail17trampoline_kernelINS0_14default_configENS1_29binary_search_config_selectorIdiEEZNS1_14transform_implILb0ES3_S5_N6thrust23THRUST_200600_302600_NS6detail15normal_iteratorINS8_10device_ptrIdEEEENSA_INSB_IiEEEEZNS1_13binary_searchIS3_S5_SD_SD_SF_NS1_16binary_search_opENS9_16wrapped_functionINS0_4lessIvEEbEEEE10hipError_tPvRmT1_T2_T3_mmT4_T5_P12ihipStream_tbEUlRKdE_EESM_SQ_SR_mSS_SV_bEUlT_E_NS1_11comp_targetILNS1_3genE0ELNS1_11target_archE4294967295ELNS1_3gpuE0ELNS1_3repE0EEENS1_30default_config_static_selectorELNS0_4arch9wavefront6targetE1EEEvSP_
                                        ; -- End function
	.section	.AMDGPU.csdata,"",@progbits
; Kernel info:
; codeLenInByte = 0
; NumSgprs: 4
; NumVgprs: 0
; NumAgprs: 0
; TotalNumVgprs: 0
; ScratchSize: 0
; MemoryBound: 0
; FloatMode: 240
; IeeeMode: 1
; LDSByteSize: 0 bytes/workgroup (compile time only)
; SGPRBlocks: 0
; VGPRBlocks: 0
; NumSGPRsForWavesPerEU: 4
; NumVGPRsForWavesPerEU: 1
; AccumOffset: 4
; Occupancy: 8
; WaveLimiterHint : 0
; COMPUTE_PGM_RSRC2:SCRATCH_EN: 0
; COMPUTE_PGM_RSRC2:USER_SGPR: 6
; COMPUTE_PGM_RSRC2:TRAP_HANDLER: 0
; COMPUTE_PGM_RSRC2:TGID_X_EN: 1
; COMPUTE_PGM_RSRC2:TGID_Y_EN: 0
; COMPUTE_PGM_RSRC2:TGID_Z_EN: 0
; COMPUTE_PGM_RSRC2:TIDIG_COMP_CNT: 0
; COMPUTE_PGM_RSRC3_GFX90A:ACCUM_OFFSET: 0
; COMPUTE_PGM_RSRC3_GFX90A:TG_SPLIT: 0
	.section	.text._ZN7rocprim17ROCPRIM_400000_NS6detail17trampoline_kernelINS0_14default_configENS1_29binary_search_config_selectorIdiEEZNS1_14transform_implILb0ES3_S5_N6thrust23THRUST_200600_302600_NS6detail15normal_iteratorINS8_10device_ptrIdEEEENSA_INSB_IiEEEEZNS1_13binary_searchIS3_S5_SD_SD_SF_NS1_16binary_search_opENS9_16wrapped_functionINS0_4lessIvEEbEEEE10hipError_tPvRmT1_T2_T3_mmT4_T5_P12ihipStream_tbEUlRKdE_EESM_SQ_SR_mSS_SV_bEUlT_E_NS1_11comp_targetILNS1_3genE5ELNS1_11target_archE942ELNS1_3gpuE9ELNS1_3repE0EEENS1_30default_config_static_selectorELNS0_4arch9wavefront6targetE1EEEvSP_,"axG",@progbits,_ZN7rocprim17ROCPRIM_400000_NS6detail17trampoline_kernelINS0_14default_configENS1_29binary_search_config_selectorIdiEEZNS1_14transform_implILb0ES3_S5_N6thrust23THRUST_200600_302600_NS6detail15normal_iteratorINS8_10device_ptrIdEEEENSA_INSB_IiEEEEZNS1_13binary_searchIS3_S5_SD_SD_SF_NS1_16binary_search_opENS9_16wrapped_functionINS0_4lessIvEEbEEEE10hipError_tPvRmT1_T2_T3_mmT4_T5_P12ihipStream_tbEUlRKdE_EESM_SQ_SR_mSS_SV_bEUlT_E_NS1_11comp_targetILNS1_3genE5ELNS1_11target_archE942ELNS1_3gpuE9ELNS1_3repE0EEENS1_30default_config_static_selectorELNS0_4arch9wavefront6targetE1EEEvSP_,comdat
	.protected	_ZN7rocprim17ROCPRIM_400000_NS6detail17trampoline_kernelINS0_14default_configENS1_29binary_search_config_selectorIdiEEZNS1_14transform_implILb0ES3_S5_N6thrust23THRUST_200600_302600_NS6detail15normal_iteratorINS8_10device_ptrIdEEEENSA_INSB_IiEEEEZNS1_13binary_searchIS3_S5_SD_SD_SF_NS1_16binary_search_opENS9_16wrapped_functionINS0_4lessIvEEbEEEE10hipError_tPvRmT1_T2_T3_mmT4_T5_P12ihipStream_tbEUlRKdE_EESM_SQ_SR_mSS_SV_bEUlT_E_NS1_11comp_targetILNS1_3genE5ELNS1_11target_archE942ELNS1_3gpuE9ELNS1_3repE0EEENS1_30default_config_static_selectorELNS0_4arch9wavefront6targetE1EEEvSP_ ; -- Begin function _ZN7rocprim17ROCPRIM_400000_NS6detail17trampoline_kernelINS0_14default_configENS1_29binary_search_config_selectorIdiEEZNS1_14transform_implILb0ES3_S5_N6thrust23THRUST_200600_302600_NS6detail15normal_iteratorINS8_10device_ptrIdEEEENSA_INSB_IiEEEEZNS1_13binary_searchIS3_S5_SD_SD_SF_NS1_16binary_search_opENS9_16wrapped_functionINS0_4lessIvEEbEEEE10hipError_tPvRmT1_T2_T3_mmT4_T5_P12ihipStream_tbEUlRKdE_EESM_SQ_SR_mSS_SV_bEUlT_E_NS1_11comp_targetILNS1_3genE5ELNS1_11target_archE942ELNS1_3gpuE9ELNS1_3repE0EEENS1_30default_config_static_selectorELNS0_4arch9wavefront6targetE1EEEvSP_
	.globl	_ZN7rocprim17ROCPRIM_400000_NS6detail17trampoline_kernelINS0_14default_configENS1_29binary_search_config_selectorIdiEEZNS1_14transform_implILb0ES3_S5_N6thrust23THRUST_200600_302600_NS6detail15normal_iteratorINS8_10device_ptrIdEEEENSA_INSB_IiEEEEZNS1_13binary_searchIS3_S5_SD_SD_SF_NS1_16binary_search_opENS9_16wrapped_functionINS0_4lessIvEEbEEEE10hipError_tPvRmT1_T2_T3_mmT4_T5_P12ihipStream_tbEUlRKdE_EESM_SQ_SR_mSS_SV_bEUlT_E_NS1_11comp_targetILNS1_3genE5ELNS1_11target_archE942ELNS1_3gpuE9ELNS1_3repE0EEENS1_30default_config_static_selectorELNS0_4arch9wavefront6targetE1EEEvSP_
	.p2align	8
	.type	_ZN7rocprim17ROCPRIM_400000_NS6detail17trampoline_kernelINS0_14default_configENS1_29binary_search_config_selectorIdiEEZNS1_14transform_implILb0ES3_S5_N6thrust23THRUST_200600_302600_NS6detail15normal_iteratorINS8_10device_ptrIdEEEENSA_INSB_IiEEEEZNS1_13binary_searchIS3_S5_SD_SD_SF_NS1_16binary_search_opENS9_16wrapped_functionINS0_4lessIvEEbEEEE10hipError_tPvRmT1_T2_T3_mmT4_T5_P12ihipStream_tbEUlRKdE_EESM_SQ_SR_mSS_SV_bEUlT_E_NS1_11comp_targetILNS1_3genE5ELNS1_11target_archE942ELNS1_3gpuE9ELNS1_3repE0EEENS1_30default_config_static_selectorELNS0_4arch9wavefront6targetE1EEEvSP_,@function
_ZN7rocprim17ROCPRIM_400000_NS6detail17trampoline_kernelINS0_14default_configENS1_29binary_search_config_selectorIdiEEZNS1_14transform_implILb0ES3_S5_N6thrust23THRUST_200600_302600_NS6detail15normal_iteratorINS8_10device_ptrIdEEEENSA_INSB_IiEEEEZNS1_13binary_searchIS3_S5_SD_SD_SF_NS1_16binary_search_opENS9_16wrapped_functionINS0_4lessIvEEbEEEE10hipError_tPvRmT1_T2_T3_mmT4_T5_P12ihipStream_tbEUlRKdE_EESM_SQ_SR_mSS_SV_bEUlT_E_NS1_11comp_targetILNS1_3genE5ELNS1_11target_archE942ELNS1_3gpuE9ELNS1_3repE0EEENS1_30default_config_static_selectorELNS0_4arch9wavefront6targetE1EEEvSP_: ; @_ZN7rocprim17ROCPRIM_400000_NS6detail17trampoline_kernelINS0_14default_configENS1_29binary_search_config_selectorIdiEEZNS1_14transform_implILb0ES3_S5_N6thrust23THRUST_200600_302600_NS6detail15normal_iteratorINS8_10device_ptrIdEEEENSA_INSB_IiEEEEZNS1_13binary_searchIS3_S5_SD_SD_SF_NS1_16binary_search_opENS9_16wrapped_functionINS0_4lessIvEEbEEEE10hipError_tPvRmT1_T2_T3_mmT4_T5_P12ihipStream_tbEUlRKdE_EESM_SQ_SR_mSS_SV_bEUlT_E_NS1_11comp_targetILNS1_3genE5ELNS1_11target_archE942ELNS1_3gpuE9ELNS1_3repE0EEENS1_30default_config_static_selectorELNS0_4arch9wavefront6targetE1EEEvSP_
; %bb.0:
	.section	.rodata,"a",@progbits
	.p2align	6, 0x0
	.amdhsa_kernel _ZN7rocprim17ROCPRIM_400000_NS6detail17trampoline_kernelINS0_14default_configENS1_29binary_search_config_selectorIdiEEZNS1_14transform_implILb0ES3_S5_N6thrust23THRUST_200600_302600_NS6detail15normal_iteratorINS8_10device_ptrIdEEEENSA_INSB_IiEEEEZNS1_13binary_searchIS3_S5_SD_SD_SF_NS1_16binary_search_opENS9_16wrapped_functionINS0_4lessIvEEbEEEE10hipError_tPvRmT1_T2_T3_mmT4_T5_P12ihipStream_tbEUlRKdE_EESM_SQ_SR_mSS_SV_bEUlT_E_NS1_11comp_targetILNS1_3genE5ELNS1_11target_archE942ELNS1_3gpuE9ELNS1_3repE0EEENS1_30default_config_static_selectorELNS0_4arch9wavefront6targetE1EEEvSP_
		.amdhsa_group_segment_fixed_size 0
		.amdhsa_private_segment_fixed_size 0
		.amdhsa_kernarg_size 56
		.amdhsa_user_sgpr_count 6
		.amdhsa_user_sgpr_private_segment_buffer 1
		.amdhsa_user_sgpr_dispatch_ptr 0
		.amdhsa_user_sgpr_queue_ptr 0
		.amdhsa_user_sgpr_kernarg_segment_ptr 1
		.amdhsa_user_sgpr_dispatch_id 0
		.amdhsa_user_sgpr_flat_scratch_init 0
		.amdhsa_user_sgpr_kernarg_preload_length 0
		.amdhsa_user_sgpr_kernarg_preload_offset 0
		.amdhsa_user_sgpr_private_segment_size 0
		.amdhsa_uses_dynamic_stack 0
		.amdhsa_system_sgpr_private_segment_wavefront_offset 0
		.amdhsa_system_sgpr_workgroup_id_x 1
		.amdhsa_system_sgpr_workgroup_id_y 0
		.amdhsa_system_sgpr_workgroup_id_z 0
		.amdhsa_system_sgpr_workgroup_info 0
		.amdhsa_system_vgpr_workitem_id 0
		.amdhsa_next_free_vgpr 1
		.amdhsa_next_free_sgpr 0
		.amdhsa_accum_offset 4
		.amdhsa_reserve_vcc 0
		.amdhsa_reserve_flat_scratch 0
		.amdhsa_float_round_mode_32 0
		.amdhsa_float_round_mode_16_64 0
		.amdhsa_float_denorm_mode_32 3
		.amdhsa_float_denorm_mode_16_64 3
		.amdhsa_dx10_clamp 1
		.amdhsa_ieee_mode 1
		.amdhsa_fp16_overflow 0
		.amdhsa_tg_split 0
		.amdhsa_exception_fp_ieee_invalid_op 0
		.amdhsa_exception_fp_denorm_src 0
		.amdhsa_exception_fp_ieee_div_zero 0
		.amdhsa_exception_fp_ieee_overflow 0
		.amdhsa_exception_fp_ieee_underflow 0
		.amdhsa_exception_fp_ieee_inexact 0
		.amdhsa_exception_int_div_zero 0
	.end_amdhsa_kernel
	.section	.text._ZN7rocprim17ROCPRIM_400000_NS6detail17trampoline_kernelINS0_14default_configENS1_29binary_search_config_selectorIdiEEZNS1_14transform_implILb0ES3_S5_N6thrust23THRUST_200600_302600_NS6detail15normal_iteratorINS8_10device_ptrIdEEEENSA_INSB_IiEEEEZNS1_13binary_searchIS3_S5_SD_SD_SF_NS1_16binary_search_opENS9_16wrapped_functionINS0_4lessIvEEbEEEE10hipError_tPvRmT1_T2_T3_mmT4_T5_P12ihipStream_tbEUlRKdE_EESM_SQ_SR_mSS_SV_bEUlT_E_NS1_11comp_targetILNS1_3genE5ELNS1_11target_archE942ELNS1_3gpuE9ELNS1_3repE0EEENS1_30default_config_static_selectorELNS0_4arch9wavefront6targetE1EEEvSP_,"axG",@progbits,_ZN7rocprim17ROCPRIM_400000_NS6detail17trampoline_kernelINS0_14default_configENS1_29binary_search_config_selectorIdiEEZNS1_14transform_implILb0ES3_S5_N6thrust23THRUST_200600_302600_NS6detail15normal_iteratorINS8_10device_ptrIdEEEENSA_INSB_IiEEEEZNS1_13binary_searchIS3_S5_SD_SD_SF_NS1_16binary_search_opENS9_16wrapped_functionINS0_4lessIvEEbEEEE10hipError_tPvRmT1_T2_T3_mmT4_T5_P12ihipStream_tbEUlRKdE_EESM_SQ_SR_mSS_SV_bEUlT_E_NS1_11comp_targetILNS1_3genE5ELNS1_11target_archE942ELNS1_3gpuE9ELNS1_3repE0EEENS1_30default_config_static_selectorELNS0_4arch9wavefront6targetE1EEEvSP_,comdat
.Lfunc_end412:
	.size	_ZN7rocprim17ROCPRIM_400000_NS6detail17trampoline_kernelINS0_14default_configENS1_29binary_search_config_selectorIdiEEZNS1_14transform_implILb0ES3_S5_N6thrust23THRUST_200600_302600_NS6detail15normal_iteratorINS8_10device_ptrIdEEEENSA_INSB_IiEEEEZNS1_13binary_searchIS3_S5_SD_SD_SF_NS1_16binary_search_opENS9_16wrapped_functionINS0_4lessIvEEbEEEE10hipError_tPvRmT1_T2_T3_mmT4_T5_P12ihipStream_tbEUlRKdE_EESM_SQ_SR_mSS_SV_bEUlT_E_NS1_11comp_targetILNS1_3genE5ELNS1_11target_archE942ELNS1_3gpuE9ELNS1_3repE0EEENS1_30default_config_static_selectorELNS0_4arch9wavefront6targetE1EEEvSP_, .Lfunc_end412-_ZN7rocprim17ROCPRIM_400000_NS6detail17trampoline_kernelINS0_14default_configENS1_29binary_search_config_selectorIdiEEZNS1_14transform_implILb0ES3_S5_N6thrust23THRUST_200600_302600_NS6detail15normal_iteratorINS8_10device_ptrIdEEEENSA_INSB_IiEEEEZNS1_13binary_searchIS3_S5_SD_SD_SF_NS1_16binary_search_opENS9_16wrapped_functionINS0_4lessIvEEbEEEE10hipError_tPvRmT1_T2_T3_mmT4_T5_P12ihipStream_tbEUlRKdE_EESM_SQ_SR_mSS_SV_bEUlT_E_NS1_11comp_targetILNS1_3genE5ELNS1_11target_archE942ELNS1_3gpuE9ELNS1_3repE0EEENS1_30default_config_static_selectorELNS0_4arch9wavefront6targetE1EEEvSP_
                                        ; -- End function
	.section	.AMDGPU.csdata,"",@progbits
; Kernel info:
; codeLenInByte = 0
; NumSgprs: 4
; NumVgprs: 0
; NumAgprs: 0
; TotalNumVgprs: 0
; ScratchSize: 0
; MemoryBound: 0
; FloatMode: 240
; IeeeMode: 1
; LDSByteSize: 0 bytes/workgroup (compile time only)
; SGPRBlocks: 0
; VGPRBlocks: 0
; NumSGPRsForWavesPerEU: 4
; NumVGPRsForWavesPerEU: 1
; AccumOffset: 4
; Occupancy: 8
; WaveLimiterHint : 0
; COMPUTE_PGM_RSRC2:SCRATCH_EN: 0
; COMPUTE_PGM_RSRC2:USER_SGPR: 6
; COMPUTE_PGM_RSRC2:TRAP_HANDLER: 0
; COMPUTE_PGM_RSRC2:TGID_X_EN: 1
; COMPUTE_PGM_RSRC2:TGID_Y_EN: 0
; COMPUTE_PGM_RSRC2:TGID_Z_EN: 0
; COMPUTE_PGM_RSRC2:TIDIG_COMP_CNT: 0
; COMPUTE_PGM_RSRC3_GFX90A:ACCUM_OFFSET: 0
; COMPUTE_PGM_RSRC3_GFX90A:TG_SPLIT: 0
	.section	.text._ZN7rocprim17ROCPRIM_400000_NS6detail17trampoline_kernelINS0_14default_configENS1_29binary_search_config_selectorIdiEEZNS1_14transform_implILb0ES3_S5_N6thrust23THRUST_200600_302600_NS6detail15normal_iteratorINS8_10device_ptrIdEEEENSA_INSB_IiEEEEZNS1_13binary_searchIS3_S5_SD_SD_SF_NS1_16binary_search_opENS9_16wrapped_functionINS0_4lessIvEEbEEEE10hipError_tPvRmT1_T2_T3_mmT4_T5_P12ihipStream_tbEUlRKdE_EESM_SQ_SR_mSS_SV_bEUlT_E_NS1_11comp_targetILNS1_3genE4ELNS1_11target_archE910ELNS1_3gpuE8ELNS1_3repE0EEENS1_30default_config_static_selectorELNS0_4arch9wavefront6targetE1EEEvSP_,"axG",@progbits,_ZN7rocprim17ROCPRIM_400000_NS6detail17trampoline_kernelINS0_14default_configENS1_29binary_search_config_selectorIdiEEZNS1_14transform_implILb0ES3_S5_N6thrust23THRUST_200600_302600_NS6detail15normal_iteratorINS8_10device_ptrIdEEEENSA_INSB_IiEEEEZNS1_13binary_searchIS3_S5_SD_SD_SF_NS1_16binary_search_opENS9_16wrapped_functionINS0_4lessIvEEbEEEE10hipError_tPvRmT1_T2_T3_mmT4_T5_P12ihipStream_tbEUlRKdE_EESM_SQ_SR_mSS_SV_bEUlT_E_NS1_11comp_targetILNS1_3genE4ELNS1_11target_archE910ELNS1_3gpuE8ELNS1_3repE0EEENS1_30default_config_static_selectorELNS0_4arch9wavefront6targetE1EEEvSP_,comdat
	.protected	_ZN7rocprim17ROCPRIM_400000_NS6detail17trampoline_kernelINS0_14default_configENS1_29binary_search_config_selectorIdiEEZNS1_14transform_implILb0ES3_S5_N6thrust23THRUST_200600_302600_NS6detail15normal_iteratorINS8_10device_ptrIdEEEENSA_INSB_IiEEEEZNS1_13binary_searchIS3_S5_SD_SD_SF_NS1_16binary_search_opENS9_16wrapped_functionINS0_4lessIvEEbEEEE10hipError_tPvRmT1_T2_T3_mmT4_T5_P12ihipStream_tbEUlRKdE_EESM_SQ_SR_mSS_SV_bEUlT_E_NS1_11comp_targetILNS1_3genE4ELNS1_11target_archE910ELNS1_3gpuE8ELNS1_3repE0EEENS1_30default_config_static_selectorELNS0_4arch9wavefront6targetE1EEEvSP_ ; -- Begin function _ZN7rocprim17ROCPRIM_400000_NS6detail17trampoline_kernelINS0_14default_configENS1_29binary_search_config_selectorIdiEEZNS1_14transform_implILb0ES3_S5_N6thrust23THRUST_200600_302600_NS6detail15normal_iteratorINS8_10device_ptrIdEEEENSA_INSB_IiEEEEZNS1_13binary_searchIS3_S5_SD_SD_SF_NS1_16binary_search_opENS9_16wrapped_functionINS0_4lessIvEEbEEEE10hipError_tPvRmT1_T2_T3_mmT4_T5_P12ihipStream_tbEUlRKdE_EESM_SQ_SR_mSS_SV_bEUlT_E_NS1_11comp_targetILNS1_3genE4ELNS1_11target_archE910ELNS1_3gpuE8ELNS1_3repE0EEENS1_30default_config_static_selectorELNS0_4arch9wavefront6targetE1EEEvSP_
	.globl	_ZN7rocprim17ROCPRIM_400000_NS6detail17trampoline_kernelINS0_14default_configENS1_29binary_search_config_selectorIdiEEZNS1_14transform_implILb0ES3_S5_N6thrust23THRUST_200600_302600_NS6detail15normal_iteratorINS8_10device_ptrIdEEEENSA_INSB_IiEEEEZNS1_13binary_searchIS3_S5_SD_SD_SF_NS1_16binary_search_opENS9_16wrapped_functionINS0_4lessIvEEbEEEE10hipError_tPvRmT1_T2_T3_mmT4_T5_P12ihipStream_tbEUlRKdE_EESM_SQ_SR_mSS_SV_bEUlT_E_NS1_11comp_targetILNS1_3genE4ELNS1_11target_archE910ELNS1_3gpuE8ELNS1_3repE0EEENS1_30default_config_static_selectorELNS0_4arch9wavefront6targetE1EEEvSP_
	.p2align	8
	.type	_ZN7rocprim17ROCPRIM_400000_NS6detail17trampoline_kernelINS0_14default_configENS1_29binary_search_config_selectorIdiEEZNS1_14transform_implILb0ES3_S5_N6thrust23THRUST_200600_302600_NS6detail15normal_iteratorINS8_10device_ptrIdEEEENSA_INSB_IiEEEEZNS1_13binary_searchIS3_S5_SD_SD_SF_NS1_16binary_search_opENS9_16wrapped_functionINS0_4lessIvEEbEEEE10hipError_tPvRmT1_T2_T3_mmT4_T5_P12ihipStream_tbEUlRKdE_EESM_SQ_SR_mSS_SV_bEUlT_E_NS1_11comp_targetILNS1_3genE4ELNS1_11target_archE910ELNS1_3gpuE8ELNS1_3repE0EEENS1_30default_config_static_selectorELNS0_4arch9wavefront6targetE1EEEvSP_,@function
_ZN7rocprim17ROCPRIM_400000_NS6detail17trampoline_kernelINS0_14default_configENS1_29binary_search_config_selectorIdiEEZNS1_14transform_implILb0ES3_S5_N6thrust23THRUST_200600_302600_NS6detail15normal_iteratorINS8_10device_ptrIdEEEENSA_INSB_IiEEEEZNS1_13binary_searchIS3_S5_SD_SD_SF_NS1_16binary_search_opENS9_16wrapped_functionINS0_4lessIvEEbEEEE10hipError_tPvRmT1_T2_T3_mmT4_T5_P12ihipStream_tbEUlRKdE_EESM_SQ_SR_mSS_SV_bEUlT_E_NS1_11comp_targetILNS1_3genE4ELNS1_11target_archE910ELNS1_3gpuE8ELNS1_3repE0EEENS1_30default_config_static_selectorELNS0_4arch9wavefront6targetE1EEEvSP_: ; @_ZN7rocprim17ROCPRIM_400000_NS6detail17trampoline_kernelINS0_14default_configENS1_29binary_search_config_selectorIdiEEZNS1_14transform_implILb0ES3_S5_N6thrust23THRUST_200600_302600_NS6detail15normal_iteratorINS8_10device_ptrIdEEEENSA_INSB_IiEEEEZNS1_13binary_searchIS3_S5_SD_SD_SF_NS1_16binary_search_opENS9_16wrapped_functionINS0_4lessIvEEbEEEE10hipError_tPvRmT1_T2_T3_mmT4_T5_P12ihipStream_tbEUlRKdE_EESM_SQ_SR_mSS_SV_bEUlT_E_NS1_11comp_targetILNS1_3genE4ELNS1_11target_archE910ELNS1_3gpuE8ELNS1_3repE0EEENS1_30default_config_static_selectorELNS0_4arch9wavefront6targetE1EEEvSP_
; %bb.0:
	s_load_dwordx4 s[16:19], s[4:5], 0x0
	s_load_dwordx4 s[0:3], s[4:5], 0x18
	s_load_dwordx2 s[10:11], s[4:5], 0x28
	s_load_dword s15, s[4:5], 0x38
	s_waitcnt lgkmcnt(0)
	s_lshl_b64 s[8:9], s[18:19], 3
	s_add_u32 s7, s16, s8
	s_addc_u32 s14, s17, s9
	s_lshl_b64 s[8:9], s[18:19], 2
	s_add_u32 s12, s0, s8
	s_addc_u32 s13, s1, s9
	s_lshl_b32 s8, s6, 6
	s_add_i32 s15, s15, -1
	s_mov_b32 s9, 0
	s_cmp_lg_u32 s6, s15
	s_mov_b64 s[0:1], -1
	s_cbranch_scc0 .LBB413_8
; %bb.1:
	s_lshl_b64 s[0:1], s[8:9], 3
	s_add_u32 s0, s7, s0
	s_addc_u32 s1, s14, s1
	v_lshlrev_b32_e32 v1, 3, v0
	v_mov_b32_e32 v3, s1
	v_add_co_u32_e32 v2, vcc, s0, v1
	v_addc_co_u32_e32 v3, vcc, 0, v3, vcc
	flat_load_dwordx2 v[2:3], v[2:3]
	s_mov_b64 s[0:1], 0
	s_cmp_eq_u64 s[10:11], 0
	v_pk_mov_b32 v[4:5], 0, 0
	s_cbranch_scc1 .LBB413_5
; %bb.2:
	v_pk_mov_b32 v[4:5], 0, 0
	v_pk_mov_b32 v[6:7], s[10:11], s[10:11] op_sel:[0,1]
	v_mov_b32_e32 v1, s3
.LBB413_3:                              ; =>This Inner Loop Header: Depth=1
	v_sub_co_u32_e32 v8, vcc, v6, v4
	v_subb_co_u32_e32 v9, vcc, v7, v5, vcc
	v_lshrrev_b64 v[10:11], 1, v[8:9]
	v_add_co_u32_e32 v10, vcc, v10, v4
	v_lshrrev_b64 v[8:9], 6, v[8:9]
	v_addc_co_u32_e32 v11, vcc, v11, v5, vcc
	v_add_co_u32_e32 v8, vcc, v10, v8
	v_addc_co_u32_e32 v9, vcc, v11, v9, vcc
	v_lshlrev_b64 v[10:11], 3, v[8:9]
	v_add_co_u32_e32 v10, vcc, s2, v10
	v_addc_co_u32_e32 v11, vcc, v1, v11, vcc
	global_load_dwordx2 v[10:11], v[10:11], off
	v_add_co_u32_e32 v12, vcc, 1, v8
	v_addc_co_u32_e32 v13, vcc, 0, v9, vcc
	s_waitcnt vmcnt(0) lgkmcnt(0)
	v_cmp_lt_f64_e32 vcc, v[10:11], v[2:3]
	v_cndmask_b32_e32 v7, v9, v7, vcc
	v_cndmask_b32_e32 v6, v8, v6, vcc
	;; [unrolled: 1-line block ×4, first 2 shown]
	v_cmp_ge_u64_e32 vcc, v[4:5], v[6:7]
	s_or_b64 s[0:1], vcc, s[0:1]
	s_andn2_b64 exec, exec, s[0:1]
	s_cbranch_execnz .LBB413_3
; %bb.4:
	s_or_b64 exec, exec, s[0:1]
.LBB413_5:
	v_cmp_ne_u64_e32 vcc, s[10:11], v[4:5]
	v_mov_b32_e32 v1, 0
	s_and_saveexec_b64 s[0:1], vcc
	s_cbranch_execz .LBB413_7
; %bb.6:
	v_lshlrev_b64 v[4:5], 3, v[4:5]
	v_mov_b32_e32 v1, s3
	v_add_co_u32_e32 v4, vcc, s2, v4
	v_addc_co_u32_e32 v5, vcc, v1, v5, vcc
	global_load_dwordx2 v[4:5], v[4:5], off
	s_waitcnt vmcnt(0) lgkmcnt(0)
	v_cmp_ngt_f64_e32 vcc, v[4:5], v[2:3]
	v_cndmask_b32_e64 v1, 0, 1, vcc
.LBB413_7:
	s_or_b64 exec, exec, s[0:1]
	s_lshl_b64 s[0:1], s[8:9], 2
	s_add_u32 s0, s12, s0
	s_addc_u32 s1, s13, s1
	s_waitcnt vmcnt(0) lgkmcnt(0)
	v_lshlrev_b32_e32 v2, 2, v0
	v_mov_b32_e32 v3, s1
	v_add_co_u32_e32 v2, vcc, s0, v2
	v_addc_co_u32_e32 v3, vcc, 0, v3, vcc
	s_mov_b64 s[0:1], 0
	flat_store_dword v[2:3], v1
.LBB413_8:
	s_and_b64 vcc, exec, s[0:1]
	s_cbranch_vccz .LBB413_13
; %bb.9:
	s_load_dword s0, s[4:5], 0x10
                                        ; implicit-def: $vgpr2_vgpr3
	s_waitcnt lgkmcnt(0)
	s_sub_i32 s0, s0, s8
	v_cmp_gt_u32_e32 vcc, s0, v0
	s_and_saveexec_b64 s[4:5], vcc
	s_cbranch_execnz .LBB413_14
; %bb.10:
	s_or_b64 exec, exec, s[4:5]
                                        ; implicit-def: $vgpr1
	s_and_saveexec_b64 s[4:5], vcc
	s_cbranch_execnz .LBB413_15
.LBB413_11:
	s_or_b64 exec, exec, s[4:5]
	s_and_saveexec_b64 s[0:1], vcc
	s_cbranch_execz .LBB413_13
.LBB413_12:
	s_lshl_b64 s[0:1], s[8:9], 2
	s_add_u32 s0, s12, s0
	s_addc_u32 s1, s13, s1
	v_lshlrev_b32_e32 v0, 2, v0
	s_waitcnt vmcnt(0) lgkmcnt(0)
	v_mov_b32_e32 v3, s1
	v_add_co_u32_e32 v2, vcc, s0, v0
	v_addc_co_u32_e32 v3, vcc, 0, v3, vcc
	flat_store_dword v[2:3], v1
.LBB413_13:
	s_endpgm
.LBB413_14:
	s_lshl_b64 s[0:1], s[8:9], 3
	s_add_u32 s0, s7, s0
	s_addc_u32 s1, s14, s1
	v_lshlrev_b32_e32 v1, 3, v0
	v_mov_b32_e32 v3, s1
	v_add_co_u32_e64 v2, s[0:1], s0, v1
	v_addc_co_u32_e64 v3, s[0:1], 0, v3, s[0:1]
	flat_load_dwordx2 v[2:3], v[2:3]
	s_or_b64 exec, exec, s[4:5]
                                        ; implicit-def: $vgpr1
	s_and_saveexec_b64 s[4:5], vcc
	s_cbranch_execz .LBB413_11
.LBB413_15:
	s_mov_b64 s[6:7], 0
	s_cmp_eq_u64 s[10:11], 0
	v_pk_mov_b32 v[4:5], 0, 0
	s_cbranch_scc1 .LBB413_19
; %bb.16:
	v_pk_mov_b32 v[4:5], 0, 0
	v_pk_mov_b32 v[6:7], s[10:11], s[10:11] op_sel:[0,1]
	v_mov_b32_e32 v1, s3
.LBB413_17:                             ; =>This Inner Loop Header: Depth=1
	v_sub_co_u32_e64 v8, s[0:1], v6, v4
	v_subb_co_u32_e64 v9, s[0:1], v7, v5, s[0:1]
	v_lshrrev_b64 v[10:11], 1, v[8:9]
	v_add_co_u32_e64 v10, s[0:1], v10, v4
	v_lshrrev_b64 v[8:9], 6, v[8:9]
	v_addc_co_u32_e64 v11, s[0:1], v11, v5, s[0:1]
	v_add_co_u32_e64 v8, s[0:1], v10, v8
	v_addc_co_u32_e64 v9, s[0:1], v11, v9, s[0:1]
	v_lshlrev_b64 v[10:11], 3, v[8:9]
	v_add_co_u32_e64 v10, s[0:1], s2, v10
	v_addc_co_u32_e64 v11, s[0:1], v1, v11, s[0:1]
	global_load_dwordx2 v[10:11], v[10:11], off
	v_add_co_u32_e64 v12, s[0:1], 1, v8
	v_addc_co_u32_e64 v13, s[0:1], 0, v9, s[0:1]
	s_waitcnt vmcnt(0) lgkmcnt(0)
	v_cmp_lt_f64_e64 s[0:1], v[10:11], v[2:3]
	v_cndmask_b32_e64 v7, v9, v7, s[0:1]
	v_cndmask_b32_e64 v6, v8, v6, s[0:1]
	;; [unrolled: 1-line block ×4, first 2 shown]
	v_cmp_ge_u64_e64 s[0:1], v[4:5], v[6:7]
	s_or_b64 s[6:7], s[0:1], s[6:7]
	s_andn2_b64 exec, exec, s[6:7]
	s_cbranch_execnz .LBB413_17
; %bb.18:
	s_or_b64 exec, exec, s[6:7]
.LBB413_19:
	v_cmp_ne_u64_e64 s[0:1], s[10:11], v[4:5]
	v_mov_b32_e32 v1, 0
	s_and_saveexec_b64 s[6:7], s[0:1]
	s_cbranch_execz .LBB413_21
; %bb.20:
	v_lshlrev_b64 v[4:5], 3, v[4:5]
	v_mov_b32_e32 v1, s3
	v_add_co_u32_e64 v4, s[0:1], s2, v4
	v_addc_co_u32_e64 v5, s[0:1], v1, v5, s[0:1]
	global_load_dwordx2 v[4:5], v[4:5], off
	s_waitcnt vmcnt(0) lgkmcnt(0)
	v_cmp_ngt_f64_e64 s[0:1], v[4:5], v[2:3]
	v_cndmask_b32_e64 v1, 0, 1, s[0:1]
.LBB413_21:
	s_or_b64 exec, exec, s[6:7]
	s_or_b64 exec, exec, s[4:5]
	s_and_saveexec_b64 s[0:1], vcc
	s_cbranch_execnz .LBB413_12
	s_branch .LBB413_13
	.section	.rodata,"a",@progbits
	.p2align	6, 0x0
	.amdhsa_kernel _ZN7rocprim17ROCPRIM_400000_NS6detail17trampoline_kernelINS0_14default_configENS1_29binary_search_config_selectorIdiEEZNS1_14transform_implILb0ES3_S5_N6thrust23THRUST_200600_302600_NS6detail15normal_iteratorINS8_10device_ptrIdEEEENSA_INSB_IiEEEEZNS1_13binary_searchIS3_S5_SD_SD_SF_NS1_16binary_search_opENS9_16wrapped_functionINS0_4lessIvEEbEEEE10hipError_tPvRmT1_T2_T3_mmT4_T5_P12ihipStream_tbEUlRKdE_EESM_SQ_SR_mSS_SV_bEUlT_E_NS1_11comp_targetILNS1_3genE4ELNS1_11target_archE910ELNS1_3gpuE8ELNS1_3repE0EEENS1_30default_config_static_selectorELNS0_4arch9wavefront6targetE1EEEvSP_
		.amdhsa_group_segment_fixed_size 0
		.amdhsa_private_segment_fixed_size 0
		.amdhsa_kernarg_size 312
		.amdhsa_user_sgpr_count 6
		.amdhsa_user_sgpr_private_segment_buffer 1
		.amdhsa_user_sgpr_dispatch_ptr 0
		.amdhsa_user_sgpr_queue_ptr 0
		.amdhsa_user_sgpr_kernarg_segment_ptr 1
		.amdhsa_user_sgpr_dispatch_id 0
		.amdhsa_user_sgpr_flat_scratch_init 0
		.amdhsa_user_sgpr_kernarg_preload_length 0
		.amdhsa_user_sgpr_kernarg_preload_offset 0
		.amdhsa_user_sgpr_private_segment_size 0
		.amdhsa_uses_dynamic_stack 0
		.amdhsa_system_sgpr_private_segment_wavefront_offset 0
		.amdhsa_system_sgpr_workgroup_id_x 1
		.amdhsa_system_sgpr_workgroup_id_y 0
		.amdhsa_system_sgpr_workgroup_id_z 0
		.amdhsa_system_sgpr_workgroup_info 0
		.amdhsa_system_vgpr_workitem_id 0
		.amdhsa_next_free_vgpr 14
		.amdhsa_next_free_sgpr 20
		.amdhsa_accum_offset 16
		.amdhsa_reserve_vcc 1
		.amdhsa_reserve_flat_scratch 0
		.amdhsa_float_round_mode_32 0
		.amdhsa_float_round_mode_16_64 0
		.amdhsa_float_denorm_mode_32 3
		.amdhsa_float_denorm_mode_16_64 3
		.amdhsa_dx10_clamp 1
		.amdhsa_ieee_mode 1
		.amdhsa_fp16_overflow 0
		.amdhsa_tg_split 0
		.amdhsa_exception_fp_ieee_invalid_op 0
		.amdhsa_exception_fp_denorm_src 0
		.amdhsa_exception_fp_ieee_div_zero 0
		.amdhsa_exception_fp_ieee_overflow 0
		.amdhsa_exception_fp_ieee_underflow 0
		.amdhsa_exception_fp_ieee_inexact 0
		.amdhsa_exception_int_div_zero 0
	.end_amdhsa_kernel
	.section	.text._ZN7rocprim17ROCPRIM_400000_NS6detail17trampoline_kernelINS0_14default_configENS1_29binary_search_config_selectorIdiEEZNS1_14transform_implILb0ES3_S5_N6thrust23THRUST_200600_302600_NS6detail15normal_iteratorINS8_10device_ptrIdEEEENSA_INSB_IiEEEEZNS1_13binary_searchIS3_S5_SD_SD_SF_NS1_16binary_search_opENS9_16wrapped_functionINS0_4lessIvEEbEEEE10hipError_tPvRmT1_T2_T3_mmT4_T5_P12ihipStream_tbEUlRKdE_EESM_SQ_SR_mSS_SV_bEUlT_E_NS1_11comp_targetILNS1_3genE4ELNS1_11target_archE910ELNS1_3gpuE8ELNS1_3repE0EEENS1_30default_config_static_selectorELNS0_4arch9wavefront6targetE1EEEvSP_,"axG",@progbits,_ZN7rocprim17ROCPRIM_400000_NS6detail17trampoline_kernelINS0_14default_configENS1_29binary_search_config_selectorIdiEEZNS1_14transform_implILb0ES3_S5_N6thrust23THRUST_200600_302600_NS6detail15normal_iteratorINS8_10device_ptrIdEEEENSA_INSB_IiEEEEZNS1_13binary_searchIS3_S5_SD_SD_SF_NS1_16binary_search_opENS9_16wrapped_functionINS0_4lessIvEEbEEEE10hipError_tPvRmT1_T2_T3_mmT4_T5_P12ihipStream_tbEUlRKdE_EESM_SQ_SR_mSS_SV_bEUlT_E_NS1_11comp_targetILNS1_3genE4ELNS1_11target_archE910ELNS1_3gpuE8ELNS1_3repE0EEENS1_30default_config_static_selectorELNS0_4arch9wavefront6targetE1EEEvSP_,comdat
.Lfunc_end413:
	.size	_ZN7rocprim17ROCPRIM_400000_NS6detail17trampoline_kernelINS0_14default_configENS1_29binary_search_config_selectorIdiEEZNS1_14transform_implILb0ES3_S5_N6thrust23THRUST_200600_302600_NS6detail15normal_iteratorINS8_10device_ptrIdEEEENSA_INSB_IiEEEEZNS1_13binary_searchIS3_S5_SD_SD_SF_NS1_16binary_search_opENS9_16wrapped_functionINS0_4lessIvEEbEEEE10hipError_tPvRmT1_T2_T3_mmT4_T5_P12ihipStream_tbEUlRKdE_EESM_SQ_SR_mSS_SV_bEUlT_E_NS1_11comp_targetILNS1_3genE4ELNS1_11target_archE910ELNS1_3gpuE8ELNS1_3repE0EEENS1_30default_config_static_selectorELNS0_4arch9wavefront6targetE1EEEvSP_, .Lfunc_end413-_ZN7rocprim17ROCPRIM_400000_NS6detail17trampoline_kernelINS0_14default_configENS1_29binary_search_config_selectorIdiEEZNS1_14transform_implILb0ES3_S5_N6thrust23THRUST_200600_302600_NS6detail15normal_iteratorINS8_10device_ptrIdEEEENSA_INSB_IiEEEEZNS1_13binary_searchIS3_S5_SD_SD_SF_NS1_16binary_search_opENS9_16wrapped_functionINS0_4lessIvEEbEEEE10hipError_tPvRmT1_T2_T3_mmT4_T5_P12ihipStream_tbEUlRKdE_EESM_SQ_SR_mSS_SV_bEUlT_E_NS1_11comp_targetILNS1_3genE4ELNS1_11target_archE910ELNS1_3gpuE8ELNS1_3repE0EEENS1_30default_config_static_selectorELNS0_4arch9wavefront6targetE1EEEvSP_
                                        ; -- End function
	.section	.AMDGPU.csdata,"",@progbits
; Kernel info:
; codeLenInByte = 860
; NumSgprs: 24
; NumVgprs: 14
; NumAgprs: 0
; TotalNumVgprs: 14
; ScratchSize: 0
; MemoryBound: 0
; FloatMode: 240
; IeeeMode: 1
; LDSByteSize: 0 bytes/workgroup (compile time only)
; SGPRBlocks: 2
; VGPRBlocks: 1
; NumSGPRsForWavesPerEU: 24
; NumVGPRsForWavesPerEU: 14
; AccumOffset: 16
; Occupancy: 8
; WaveLimiterHint : 0
; COMPUTE_PGM_RSRC2:SCRATCH_EN: 0
; COMPUTE_PGM_RSRC2:USER_SGPR: 6
; COMPUTE_PGM_RSRC2:TRAP_HANDLER: 0
; COMPUTE_PGM_RSRC2:TGID_X_EN: 1
; COMPUTE_PGM_RSRC2:TGID_Y_EN: 0
; COMPUTE_PGM_RSRC2:TGID_Z_EN: 0
; COMPUTE_PGM_RSRC2:TIDIG_COMP_CNT: 0
; COMPUTE_PGM_RSRC3_GFX90A:ACCUM_OFFSET: 3
; COMPUTE_PGM_RSRC3_GFX90A:TG_SPLIT: 0
	.section	.text._ZN7rocprim17ROCPRIM_400000_NS6detail17trampoline_kernelINS0_14default_configENS1_29binary_search_config_selectorIdiEEZNS1_14transform_implILb0ES3_S5_N6thrust23THRUST_200600_302600_NS6detail15normal_iteratorINS8_10device_ptrIdEEEENSA_INSB_IiEEEEZNS1_13binary_searchIS3_S5_SD_SD_SF_NS1_16binary_search_opENS9_16wrapped_functionINS0_4lessIvEEbEEEE10hipError_tPvRmT1_T2_T3_mmT4_T5_P12ihipStream_tbEUlRKdE_EESM_SQ_SR_mSS_SV_bEUlT_E_NS1_11comp_targetILNS1_3genE3ELNS1_11target_archE908ELNS1_3gpuE7ELNS1_3repE0EEENS1_30default_config_static_selectorELNS0_4arch9wavefront6targetE1EEEvSP_,"axG",@progbits,_ZN7rocprim17ROCPRIM_400000_NS6detail17trampoline_kernelINS0_14default_configENS1_29binary_search_config_selectorIdiEEZNS1_14transform_implILb0ES3_S5_N6thrust23THRUST_200600_302600_NS6detail15normal_iteratorINS8_10device_ptrIdEEEENSA_INSB_IiEEEEZNS1_13binary_searchIS3_S5_SD_SD_SF_NS1_16binary_search_opENS9_16wrapped_functionINS0_4lessIvEEbEEEE10hipError_tPvRmT1_T2_T3_mmT4_T5_P12ihipStream_tbEUlRKdE_EESM_SQ_SR_mSS_SV_bEUlT_E_NS1_11comp_targetILNS1_3genE3ELNS1_11target_archE908ELNS1_3gpuE7ELNS1_3repE0EEENS1_30default_config_static_selectorELNS0_4arch9wavefront6targetE1EEEvSP_,comdat
	.protected	_ZN7rocprim17ROCPRIM_400000_NS6detail17trampoline_kernelINS0_14default_configENS1_29binary_search_config_selectorIdiEEZNS1_14transform_implILb0ES3_S5_N6thrust23THRUST_200600_302600_NS6detail15normal_iteratorINS8_10device_ptrIdEEEENSA_INSB_IiEEEEZNS1_13binary_searchIS3_S5_SD_SD_SF_NS1_16binary_search_opENS9_16wrapped_functionINS0_4lessIvEEbEEEE10hipError_tPvRmT1_T2_T3_mmT4_T5_P12ihipStream_tbEUlRKdE_EESM_SQ_SR_mSS_SV_bEUlT_E_NS1_11comp_targetILNS1_3genE3ELNS1_11target_archE908ELNS1_3gpuE7ELNS1_3repE0EEENS1_30default_config_static_selectorELNS0_4arch9wavefront6targetE1EEEvSP_ ; -- Begin function _ZN7rocprim17ROCPRIM_400000_NS6detail17trampoline_kernelINS0_14default_configENS1_29binary_search_config_selectorIdiEEZNS1_14transform_implILb0ES3_S5_N6thrust23THRUST_200600_302600_NS6detail15normal_iteratorINS8_10device_ptrIdEEEENSA_INSB_IiEEEEZNS1_13binary_searchIS3_S5_SD_SD_SF_NS1_16binary_search_opENS9_16wrapped_functionINS0_4lessIvEEbEEEE10hipError_tPvRmT1_T2_T3_mmT4_T5_P12ihipStream_tbEUlRKdE_EESM_SQ_SR_mSS_SV_bEUlT_E_NS1_11comp_targetILNS1_3genE3ELNS1_11target_archE908ELNS1_3gpuE7ELNS1_3repE0EEENS1_30default_config_static_selectorELNS0_4arch9wavefront6targetE1EEEvSP_
	.globl	_ZN7rocprim17ROCPRIM_400000_NS6detail17trampoline_kernelINS0_14default_configENS1_29binary_search_config_selectorIdiEEZNS1_14transform_implILb0ES3_S5_N6thrust23THRUST_200600_302600_NS6detail15normal_iteratorINS8_10device_ptrIdEEEENSA_INSB_IiEEEEZNS1_13binary_searchIS3_S5_SD_SD_SF_NS1_16binary_search_opENS9_16wrapped_functionINS0_4lessIvEEbEEEE10hipError_tPvRmT1_T2_T3_mmT4_T5_P12ihipStream_tbEUlRKdE_EESM_SQ_SR_mSS_SV_bEUlT_E_NS1_11comp_targetILNS1_3genE3ELNS1_11target_archE908ELNS1_3gpuE7ELNS1_3repE0EEENS1_30default_config_static_selectorELNS0_4arch9wavefront6targetE1EEEvSP_
	.p2align	8
	.type	_ZN7rocprim17ROCPRIM_400000_NS6detail17trampoline_kernelINS0_14default_configENS1_29binary_search_config_selectorIdiEEZNS1_14transform_implILb0ES3_S5_N6thrust23THRUST_200600_302600_NS6detail15normal_iteratorINS8_10device_ptrIdEEEENSA_INSB_IiEEEEZNS1_13binary_searchIS3_S5_SD_SD_SF_NS1_16binary_search_opENS9_16wrapped_functionINS0_4lessIvEEbEEEE10hipError_tPvRmT1_T2_T3_mmT4_T5_P12ihipStream_tbEUlRKdE_EESM_SQ_SR_mSS_SV_bEUlT_E_NS1_11comp_targetILNS1_3genE3ELNS1_11target_archE908ELNS1_3gpuE7ELNS1_3repE0EEENS1_30default_config_static_selectorELNS0_4arch9wavefront6targetE1EEEvSP_,@function
_ZN7rocprim17ROCPRIM_400000_NS6detail17trampoline_kernelINS0_14default_configENS1_29binary_search_config_selectorIdiEEZNS1_14transform_implILb0ES3_S5_N6thrust23THRUST_200600_302600_NS6detail15normal_iteratorINS8_10device_ptrIdEEEENSA_INSB_IiEEEEZNS1_13binary_searchIS3_S5_SD_SD_SF_NS1_16binary_search_opENS9_16wrapped_functionINS0_4lessIvEEbEEEE10hipError_tPvRmT1_T2_T3_mmT4_T5_P12ihipStream_tbEUlRKdE_EESM_SQ_SR_mSS_SV_bEUlT_E_NS1_11comp_targetILNS1_3genE3ELNS1_11target_archE908ELNS1_3gpuE7ELNS1_3repE0EEENS1_30default_config_static_selectorELNS0_4arch9wavefront6targetE1EEEvSP_: ; @_ZN7rocprim17ROCPRIM_400000_NS6detail17trampoline_kernelINS0_14default_configENS1_29binary_search_config_selectorIdiEEZNS1_14transform_implILb0ES3_S5_N6thrust23THRUST_200600_302600_NS6detail15normal_iteratorINS8_10device_ptrIdEEEENSA_INSB_IiEEEEZNS1_13binary_searchIS3_S5_SD_SD_SF_NS1_16binary_search_opENS9_16wrapped_functionINS0_4lessIvEEbEEEE10hipError_tPvRmT1_T2_T3_mmT4_T5_P12ihipStream_tbEUlRKdE_EESM_SQ_SR_mSS_SV_bEUlT_E_NS1_11comp_targetILNS1_3genE3ELNS1_11target_archE908ELNS1_3gpuE7ELNS1_3repE0EEENS1_30default_config_static_selectorELNS0_4arch9wavefront6targetE1EEEvSP_
; %bb.0:
	.section	.rodata,"a",@progbits
	.p2align	6, 0x0
	.amdhsa_kernel _ZN7rocprim17ROCPRIM_400000_NS6detail17trampoline_kernelINS0_14default_configENS1_29binary_search_config_selectorIdiEEZNS1_14transform_implILb0ES3_S5_N6thrust23THRUST_200600_302600_NS6detail15normal_iteratorINS8_10device_ptrIdEEEENSA_INSB_IiEEEEZNS1_13binary_searchIS3_S5_SD_SD_SF_NS1_16binary_search_opENS9_16wrapped_functionINS0_4lessIvEEbEEEE10hipError_tPvRmT1_T2_T3_mmT4_T5_P12ihipStream_tbEUlRKdE_EESM_SQ_SR_mSS_SV_bEUlT_E_NS1_11comp_targetILNS1_3genE3ELNS1_11target_archE908ELNS1_3gpuE7ELNS1_3repE0EEENS1_30default_config_static_selectorELNS0_4arch9wavefront6targetE1EEEvSP_
		.amdhsa_group_segment_fixed_size 0
		.amdhsa_private_segment_fixed_size 0
		.amdhsa_kernarg_size 56
		.amdhsa_user_sgpr_count 6
		.amdhsa_user_sgpr_private_segment_buffer 1
		.amdhsa_user_sgpr_dispatch_ptr 0
		.amdhsa_user_sgpr_queue_ptr 0
		.amdhsa_user_sgpr_kernarg_segment_ptr 1
		.amdhsa_user_sgpr_dispatch_id 0
		.amdhsa_user_sgpr_flat_scratch_init 0
		.amdhsa_user_sgpr_kernarg_preload_length 0
		.amdhsa_user_sgpr_kernarg_preload_offset 0
		.amdhsa_user_sgpr_private_segment_size 0
		.amdhsa_uses_dynamic_stack 0
		.amdhsa_system_sgpr_private_segment_wavefront_offset 0
		.amdhsa_system_sgpr_workgroup_id_x 1
		.amdhsa_system_sgpr_workgroup_id_y 0
		.amdhsa_system_sgpr_workgroup_id_z 0
		.amdhsa_system_sgpr_workgroup_info 0
		.amdhsa_system_vgpr_workitem_id 0
		.amdhsa_next_free_vgpr 1
		.amdhsa_next_free_sgpr 0
		.amdhsa_accum_offset 4
		.amdhsa_reserve_vcc 0
		.amdhsa_reserve_flat_scratch 0
		.amdhsa_float_round_mode_32 0
		.amdhsa_float_round_mode_16_64 0
		.amdhsa_float_denorm_mode_32 3
		.amdhsa_float_denorm_mode_16_64 3
		.amdhsa_dx10_clamp 1
		.amdhsa_ieee_mode 1
		.amdhsa_fp16_overflow 0
		.amdhsa_tg_split 0
		.amdhsa_exception_fp_ieee_invalid_op 0
		.amdhsa_exception_fp_denorm_src 0
		.amdhsa_exception_fp_ieee_div_zero 0
		.amdhsa_exception_fp_ieee_overflow 0
		.amdhsa_exception_fp_ieee_underflow 0
		.amdhsa_exception_fp_ieee_inexact 0
		.amdhsa_exception_int_div_zero 0
	.end_amdhsa_kernel
	.section	.text._ZN7rocprim17ROCPRIM_400000_NS6detail17trampoline_kernelINS0_14default_configENS1_29binary_search_config_selectorIdiEEZNS1_14transform_implILb0ES3_S5_N6thrust23THRUST_200600_302600_NS6detail15normal_iteratorINS8_10device_ptrIdEEEENSA_INSB_IiEEEEZNS1_13binary_searchIS3_S5_SD_SD_SF_NS1_16binary_search_opENS9_16wrapped_functionINS0_4lessIvEEbEEEE10hipError_tPvRmT1_T2_T3_mmT4_T5_P12ihipStream_tbEUlRKdE_EESM_SQ_SR_mSS_SV_bEUlT_E_NS1_11comp_targetILNS1_3genE3ELNS1_11target_archE908ELNS1_3gpuE7ELNS1_3repE0EEENS1_30default_config_static_selectorELNS0_4arch9wavefront6targetE1EEEvSP_,"axG",@progbits,_ZN7rocprim17ROCPRIM_400000_NS6detail17trampoline_kernelINS0_14default_configENS1_29binary_search_config_selectorIdiEEZNS1_14transform_implILb0ES3_S5_N6thrust23THRUST_200600_302600_NS6detail15normal_iteratorINS8_10device_ptrIdEEEENSA_INSB_IiEEEEZNS1_13binary_searchIS3_S5_SD_SD_SF_NS1_16binary_search_opENS9_16wrapped_functionINS0_4lessIvEEbEEEE10hipError_tPvRmT1_T2_T3_mmT4_T5_P12ihipStream_tbEUlRKdE_EESM_SQ_SR_mSS_SV_bEUlT_E_NS1_11comp_targetILNS1_3genE3ELNS1_11target_archE908ELNS1_3gpuE7ELNS1_3repE0EEENS1_30default_config_static_selectorELNS0_4arch9wavefront6targetE1EEEvSP_,comdat
.Lfunc_end414:
	.size	_ZN7rocprim17ROCPRIM_400000_NS6detail17trampoline_kernelINS0_14default_configENS1_29binary_search_config_selectorIdiEEZNS1_14transform_implILb0ES3_S5_N6thrust23THRUST_200600_302600_NS6detail15normal_iteratorINS8_10device_ptrIdEEEENSA_INSB_IiEEEEZNS1_13binary_searchIS3_S5_SD_SD_SF_NS1_16binary_search_opENS9_16wrapped_functionINS0_4lessIvEEbEEEE10hipError_tPvRmT1_T2_T3_mmT4_T5_P12ihipStream_tbEUlRKdE_EESM_SQ_SR_mSS_SV_bEUlT_E_NS1_11comp_targetILNS1_3genE3ELNS1_11target_archE908ELNS1_3gpuE7ELNS1_3repE0EEENS1_30default_config_static_selectorELNS0_4arch9wavefront6targetE1EEEvSP_, .Lfunc_end414-_ZN7rocprim17ROCPRIM_400000_NS6detail17trampoline_kernelINS0_14default_configENS1_29binary_search_config_selectorIdiEEZNS1_14transform_implILb0ES3_S5_N6thrust23THRUST_200600_302600_NS6detail15normal_iteratorINS8_10device_ptrIdEEEENSA_INSB_IiEEEEZNS1_13binary_searchIS3_S5_SD_SD_SF_NS1_16binary_search_opENS9_16wrapped_functionINS0_4lessIvEEbEEEE10hipError_tPvRmT1_T2_T3_mmT4_T5_P12ihipStream_tbEUlRKdE_EESM_SQ_SR_mSS_SV_bEUlT_E_NS1_11comp_targetILNS1_3genE3ELNS1_11target_archE908ELNS1_3gpuE7ELNS1_3repE0EEENS1_30default_config_static_selectorELNS0_4arch9wavefront6targetE1EEEvSP_
                                        ; -- End function
	.section	.AMDGPU.csdata,"",@progbits
; Kernel info:
; codeLenInByte = 0
; NumSgprs: 4
; NumVgprs: 0
; NumAgprs: 0
; TotalNumVgprs: 0
; ScratchSize: 0
; MemoryBound: 0
; FloatMode: 240
; IeeeMode: 1
; LDSByteSize: 0 bytes/workgroup (compile time only)
; SGPRBlocks: 0
; VGPRBlocks: 0
; NumSGPRsForWavesPerEU: 4
; NumVGPRsForWavesPerEU: 1
; AccumOffset: 4
; Occupancy: 8
; WaveLimiterHint : 0
; COMPUTE_PGM_RSRC2:SCRATCH_EN: 0
; COMPUTE_PGM_RSRC2:USER_SGPR: 6
; COMPUTE_PGM_RSRC2:TRAP_HANDLER: 0
; COMPUTE_PGM_RSRC2:TGID_X_EN: 1
; COMPUTE_PGM_RSRC2:TGID_Y_EN: 0
; COMPUTE_PGM_RSRC2:TGID_Z_EN: 0
; COMPUTE_PGM_RSRC2:TIDIG_COMP_CNT: 0
; COMPUTE_PGM_RSRC3_GFX90A:ACCUM_OFFSET: 0
; COMPUTE_PGM_RSRC3_GFX90A:TG_SPLIT: 0
	.section	.text._ZN7rocprim17ROCPRIM_400000_NS6detail17trampoline_kernelINS0_14default_configENS1_29binary_search_config_selectorIdiEEZNS1_14transform_implILb0ES3_S5_N6thrust23THRUST_200600_302600_NS6detail15normal_iteratorINS8_10device_ptrIdEEEENSA_INSB_IiEEEEZNS1_13binary_searchIS3_S5_SD_SD_SF_NS1_16binary_search_opENS9_16wrapped_functionINS0_4lessIvEEbEEEE10hipError_tPvRmT1_T2_T3_mmT4_T5_P12ihipStream_tbEUlRKdE_EESM_SQ_SR_mSS_SV_bEUlT_E_NS1_11comp_targetILNS1_3genE2ELNS1_11target_archE906ELNS1_3gpuE6ELNS1_3repE0EEENS1_30default_config_static_selectorELNS0_4arch9wavefront6targetE1EEEvSP_,"axG",@progbits,_ZN7rocprim17ROCPRIM_400000_NS6detail17trampoline_kernelINS0_14default_configENS1_29binary_search_config_selectorIdiEEZNS1_14transform_implILb0ES3_S5_N6thrust23THRUST_200600_302600_NS6detail15normal_iteratorINS8_10device_ptrIdEEEENSA_INSB_IiEEEEZNS1_13binary_searchIS3_S5_SD_SD_SF_NS1_16binary_search_opENS9_16wrapped_functionINS0_4lessIvEEbEEEE10hipError_tPvRmT1_T2_T3_mmT4_T5_P12ihipStream_tbEUlRKdE_EESM_SQ_SR_mSS_SV_bEUlT_E_NS1_11comp_targetILNS1_3genE2ELNS1_11target_archE906ELNS1_3gpuE6ELNS1_3repE0EEENS1_30default_config_static_selectorELNS0_4arch9wavefront6targetE1EEEvSP_,comdat
	.protected	_ZN7rocprim17ROCPRIM_400000_NS6detail17trampoline_kernelINS0_14default_configENS1_29binary_search_config_selectorIdiEEZNS1_14transform_implILb0ES3_S5_N6thrust23THRUST_200600_302600_NS6detail15normal_iteratorINS8_10device_ptrIdEEEENSA_INSB_IiEEEEZNS1_13binary_searchIS3_S5_SD_SD_SF_NS1_16binary_search_opENS9_16wrapped_functionINS0_4lessIvEEbEEEE10hipError_tPvRmT1_T2_T3_mmT4_T5_P12ihipStream_tbEUlRKdE_EESM_SQ_SR_mSS_SV_bEUlT_E_NS1_11comp_targetILNS1_3genE2ELNS1_11target_archE906ELNS1_3gpuE6ELNS1_3repE0EEENS1_30default_config_static_selectorELNS0_4arch9wavefront6targetE1EEEvSP_ ; -- Begin function _ZN7rocprim17ROCPRIM_400000_NS6detail17trampoline_kernelINS0_14default_configENS1_29binary_search_config_selectorIdiEEZNS1_14transform_implILb0ES3_S5_N6thrust23THRUST_200600_302600_NS6detail15normal_iteratorINS8_10device_ptrIdEEEENSA_INSB_IiEEEEZNS1_13binary_searchIS3_S5_SD_SD_SF_NS1_16binary_search_opENS9_16wrapped_functionINS0_4lessIvEEbEEEE10hipError_tPvRmT1_T2_T3_mmT4_T5_P12ihipStream_tbEUlRKdE_EESM_SQ_SR_mSS_SV_bEUlT_E_NS1_11comp_targetILNS1_3genE2ELNS1_11target_archE906ELNS1_3gpuE6ELNS1_3repE0EEENS1_30default_config_static_selectorELNS0_4arch9wavefront6targetE1EEEvSP_
	.globl	_ZN7rocprim17ROCPRIM_400000_NS6detail17trampoline_kernelINS0_14default_configENS1_29binary_search_config_selectorIdiEEZNS1_14transform_implILb0ES3_S5_N6thrust23THRUST_200600_302600_NS6detail15normal_iteratorINS8_10device_ptrIdEEEENSA_INSB_IiEEEEZNS1_13binary_searchIS3_S5_SD_SD_SF_NS1_16binary_search_opENS9_16wrapped_functionINS0_4lessIvEEbEEEE10hipError_tPvRmT1_T2_T3_mmT4_T5_P12ihipStream_tbEUlRKdE_EESM_SQ_SR_mSS_SV_bEUlT_E_NS1_11comp_targetILNS1_3genE2ELNS1_11target_archE906ELNS1_3gpuE6ELNS1_3repE0EEENS1_30default_config_static_selectorELNS0_4arch9wavefront6targetE1EEEvSP_
	.p2align	8
	.type	_ZN7rocprim17ROCPRIM_400000_NS6detail17trampoline_kernelINS0_14default_configENS1_29binary_search_config_selectorIdiEEZNS1_14transform_implILb0ES3_S5_N6thrust23THRUST_200600_302600_NS6detail15normal_iteratorINS8_10device_ptrIdEEEENSA_INSB_IiEEEEZNS1_13binary_searchIS3_S5_SD_SD_SF_NS1_16binary_search_opENS9_16wrapped_functionINS0_4lessIvEEbEEEE10hipError_tPvRmT1_T2_T3_mmT4_T5_P12ihipStream_tbEUlRKdE_EESM_SQ_SR_mSS_SV_bEUlT_E_NS1_11comp_targetILNS1_3genE2ELNS1_11target_archE906ELNS1_3gpuE6ELNS1_3repE0EEENS1_30default_config_static_selectorELNS0_4arch9wavefront6targetE1EEEvSP_,@function
_ZN7rocprim17ROCPRIM_400000_NS6detail17trampoline_kernelINS0_14default_configENS1_29binary_search_config_selectorIdiEEZNS1_14transform_implILb0ES3_S5_N6thrust23THRUST_200600_302600_NS6detail15normal_iteratorINS8_10device_ptrIdEEEENSA_INSB_IiEEEEZNS1_13binary_searchIS3_S5_SD_SD_SF_NS1_16binary_search_opENS9_16wrapped_functionINS0_4lessIvEEbEEEE10hipError_tPvRmT1_T2_T3_mmT4_T5_P12ihipStream_tbEUlRKdE_EESM_SQ_SR_mSS_SV_bEUlT_E_NS1_11comp_targetILNS1_3genE2ELNS1_11target_archE906ELNS1_3gpuE6ELNS1_3repE0EEENS1_30default_config_static_selectorELNS0_4arch9wavefront6targetE1EEEvSP_: ; @_ZN7rocprim17ROCPRIM_400000_NS6detail17trampoline_kernelINS0_14default_configENS1_29binary_search_config_selectorIdiEEZNS1_14transform_implILb0ES3_S5_N6thrust23THRUST_200600_302600_NS6detail15normal_iteratorINS8_10device_ptrIdEEEENSA_INSB_IiEEEEZNS1_13binary_searchIS3_S5_SD_SD_SF_NS1_16binary_search_opENS9_16wrapped_functionINS0_4lessIvEEbEEEE10hipError_tPvRmT1_T2_T3_mmT4_T5_P12ihipStream_tbEUlRKdE_EESM_SQ_SR_mSS_SV_bEUlT_E_NS1_11comp_targetILNS1_3genE2ELNS1_11target_archE906ELNS1_3gpuE6ELNS1_3repE0EEENS1_30default_config_static_selectorELNS0_4arch9wavefront6targetE1EEEvSP_
; %bb.0:
	.section	.rodata,"a",@progbits
	.p2align	6, 0x0
	.amdhsa_kernel _ZN7rocprim17ROCPRIM_400000_NS6detail17trampoline_kernelINS0_14default_configENS1_29binary_search_config_selectorIdiEEZNS1_14transform_implILb0ES3_S5_N6thrust23THRUST_200600_302600_NS6detail15normal_iteratorINS8_10device_ptrIdEEEENSA_INSB_IiEEEEZNS1_13binary_searchIS3_S5_SD_SD_SF_NS1_16binary_search_opENS9_16wrapped_functionINS0_4lessIvEEbEEEE10hipError_tPvRmT1_T2_T3_mmT4_T5_P12ihipStream_tbEUlRKdE_EESM_SQ_SR_mSS_SV_bEUlT_E_NS1_11comp_targetILNS1_3genE2ELNS1_11target_archE906ELNS1_3gpuE6ELNS1_3repE0EEENS1_30default_config_static_selectorELNS0_4arch9wavefront6targetE1EEEvSP_
		.amdhsa_group_segment_fixed_size 0
		.amdhsa_private_segment_fixed_size 0
		.amdhsa_kernarg_size 56
		.amdhsa_user_sgpr_count 6
		.amdhsa_user_sgpr_private_segment_buffer 1
		.amdhsa_user_sgpr_dispatch_ptr 0
		.amdhsa_user_sgpr_queue_ptr 0
		.amdhsa_user_sgpr_kernarg_segment_ptr 1
		.amdhsa_user_sgpr_dispatch_id 0
		.amdhsa_user_sgpr_flat_scratch_init 0
		.amdhsa_user_sgpr_kernarg_preload_length 0
		.amdhsa_user_sgpr_kernarg_preload_offset 0
		.amdhsa_user_sgpr_private_segment_size 0
		.amdhsa_uses_dynamic_stack 0
		.amdhsa_system_sgpr_private_segment_wavefront_offset 0
		.amdhsa_system_sgpr_workgroup_id_x 1
		.amdhsa_system_sgpr_workgroup_id_y 0
		.amdhsa_system_sgpr_workgroup_id_z 0
		.amdhsa_system_sgpr_workgroup_info 0
		.amdhsa_system_vgpr_workitem_id 0
		.amdhsa_next_free_vgpr 1
		.amdhsa_next_free_sgpr 0
		.amdhsa_accum_offset 4
		.amdhsa_reserve_vcc 0
		.amdhsa_reserve_flat_scratch 0
		.amdhsa_float_round_mode_32 0
		.amdhsa_float_round_mode_16_64 0
		.amdhsa_float_denorm_mode_32 3
		.amdhsa_float_denorm_mode_16_64 3
		.amdhsa_dx10_clamp 1
		.amdhsa_ieee_mode 1
		.amdhsa_fp16_overflow 0
		.amdhsa_tg_split 0
		.amdhsa_exception_fp_ieee_invalid_op 0
		.amdhsa_exception_fp_denorm_src 0
		.amdhsa_exception_fp_ieee_div_zero 0
		.amdhsa_exception_fp_ieee_overflow 0
		.amdhsa_exception_fp_ieee_underflow 0
		.amdhsa_exception_fp_ieee_inexact 0
		.amdhsa_exception_int_div_zero 0
	.end_amdhsa_kernel
	.section	.text._ZN7rocprim17ROCPRIM_400000_NS6detail17trampoline_kernelINS0_14default_configENS1_29binary_search_config_selectorIdiEEZNS1_14transform_implILb0ES3_S5_N6thrust23THRUST_200600_302600_NS6detail15normal_iteratorINS8_10device_ptrIdEEEENSA_INSB_IiEEEEZNS1_13binary_searchIS3_S5_SD_SD_SF_NS1_16binary_search_opENS9_16wrapped_functionINS0_4lessIvEEbEEEE10hipError_tPvRmT1_T2_T3_mmT4_T5_P12ihipStream_tbEUlRKdE_EESM_SQ_SR_mSS_SV_bEUlT_E_NS1_11comp_targetILNS1_3genE2ELNS1_11target_archE906ELNS1_3gpuE6ELNS1_3repE0EEENS1_30default_config_static_selectorELNS0_4arch9wavefront6targetE1EEEvSP_,"axG",@progbits,_ZN7rocprim17ROCPRIM_400000_NS6detail17trampoline_kernelINS0_14default_configENS1_29binary_search_config_selectorIdiEEZNS1_14transform_implILb0ES3_S5_N6thrust23THRUST_200600_302600_NS6detail15normal_iteratorINS8_10device_ptrIdEEEENSA_INSB_IiEEEEZNS1_13binary_searchIS3_S5_SD_SD_SF_NS1_16binary_search_opENS9_16wrapped_functionINS0_4lessIvEEbEEEE10hipError_tPvRmT1_T2_T3_mmT4_T5_P12ihipStream_tbEUlRKdE_EESM_SQ_SR_mSS_SV_bEUlT_E_NS1_11comp_targetILNS1_3genE2ELNS1_11target_archE906ELNS1_3gpuE6ELNS1_3repE0EEENS1_30default_config_static_selectorELNS0_4arch9wavefront6targetE1EEEvSP_,comdat
.Lfunc_end415:
	.size	_ZN7rocprim17ROCPRIM_400000_NS6detail17trampoline_kernelINS0_14default_configENS1_29binary_search_config_selectorIdiEEZNS1_14transform_implILb0ES3_S5_N6thrust23THRUST_200600_302600_NS6detail15normal_iteratorINS8_10device_ptrIdEEEENSA_INSB_IiEEEEZNS1_13binary_searchIS3_S5_SD_SD_SF_NS1_16binary_search_opENS9_16wrapped_functionINS0_4lessIvEEbEEEE10hipError_tPvRmT1_T2_T3_mmT4_T5_P12ihipStream_tbEUlRKdE_EESM_SQ_SR_mSS_SV_bEUlT_E_NS1_11comp_targetILNS1_3genE2ELNS1_11target_archE906ELNS1_3gpuE6ELNS1_3repE0EEENS1_30default_config_static_selectorELNS0_4arch9wavefront6targetE1EEEvSP_, .Lfunc_end415-_ZN7rocprim17ROCPRIM_400000_NS6detail17trampoline_kernelINS0_14default_configENS1_29binary_search_config_selectorIdiEEZNS1_14transform_implILb0ES3_S5_N6thrust23THRUST_200600_302600_NS6detail15normal_iteratorINS8_10device_ptrIdEEEENSA_INSB_IiEEEEZNS1_13binary_searchIS3_S5_SD_SD_SF_NS1_16binary_search_opENS9_16wrapped_functionINS0_4lessIvEEbEEEE10hipError_tPvRmT1_T2_T3_mmT4_T5_P12ihipStream_tbEUlRKdE_EESM_SQ_SR_mSS_SV_bEUlT_E_NS1_11comp_targetILNS1_3genE2ELNS1_11target_archE906ELNS1_3gpuE6ELNS1_3repE0EEENS1_30default_config_static_selectorELNS0_4arch9wavefront6targetE1EEEvSP_
                                        ; -- End function
	.section	.AMDGPU.csdata,"",@progbits
; Kernel info:
; codeLenInByte = 0
; NumSgprs: 4
; NumVgprs: 0
; NumAgprs: 0
; TotalNumVgprs: 0
; ScratchSize: 0
; MemoryBound: 0
; FloatMode: 240
; IeeeMode: 1
; LDSByteSize: 0 bytes/workgroup (compile time only)
; SGPRBlocks: 0
; VGPRBlocks: 0
; NumSGPRsForWavesPerEU: 4
; NumVGPRsForWavesPerEU: 1
; AccumOffset: 4
; Occupancy: 8
; WaveLimiterHint : 0
; COMPUTE_PGM_RSRC2:SCRATCH_EN: 0
; COMPUTE_PGM_RSRC2:USER_SGPR: 6
; COMPUTE_PGM_RSRC2:TRAP_HANDLER: 0
; COMPUTE_PGM_RSRC2:TGID_X_EN: 1
; COMPUTE_PGM_RSRC2:TGID_Y_EN: 0
; COMPUTE_PGM_RSRC2:TGID_Z_EN: 0
; COMPUTE_PGM_RSRC2:TIDIG_COMP_CNT: 0
; COMPUTE_PGM_RSRC3_GFX90A:ACCUM_OFFSET: 0
; COMPUTE_PGM_RSRC3_GFX90A:TG_SPLIT: 0
	.section	.text._ZN7rocprim17ROCPRIM_400000_NS6detail17trampoline_kernelINS0_14default_configENS1_29binary_search_config_selectorIdiEEZNS1_14transform_implILb0ES3_S5_N6thrust23THRUST_200600_302600_NS6detail15normal_iteratorINS8_10device_ptrIdEEEENSA_INSB_IiEEEEZNS1_13binary_searchIS3_S5_SD_SD_SF_NS1_16binary_search_opENS9_16wrapped_functionINS0_4lessIvEEbEEEE10hipError_tPvRmT1_T2_T3_mmT4_T5_P12ihipStream_tbEUlRKdE_EESM_SQ_SR_mSS_SV_bEUlT_E_NS1_11comp_targetILNS1_3genE10ELNS1_11target_archE1201ELNS1_3gpuE5ELNS1_3repE0EEENS1_30default_config_static_selectorELNS0_4arch9wavefront6targetE1EEEvSP_,"axG",@progbits,_ZN7rocprim17ROCPRIM_400000_NS6detail17trampoline_kernelINS0_14default_configENS1_29binary_search_config_selectorIdiEEZNS1_14transform_implILb0ES3_S5_N6thrust23THRUST_200600_302600_NS6detail15normal_iteratorINS8_10device_ptrIdEEEENSA_INSB_IiEEEEZNS1_13binary_searchIS3_S5_SD_SD_SF_NS1_16binary_search_opENS9_16wrapped_functionINS0_4lessIvEEbEEEE10hipError_tPvRmT1_T2_T3_mmT4_T5_P12ihipStream_tbEUlRKdE_EESM_SQ_SR_mSS_SV_bEUlT_E_NS1_11comp_targetILNS1_3genE10ELNS1_11target_archE1201ELNS1_3gpuE5ELNS1_3repE0EEENS1_30default_config_static_selectorELNS0_4arch9wavefront6targetE1EEEvSP_,comdat
	.protected	_ZN7rocprim17ROCPRIM_400000_NS6detail17trampoline_kernelINS0_14default_configENS1_29binary_search_config_selectorIdiEEZNS1_14transform_implILb0ES3_S5_N6thrust23THRUST_200600_302600_NS6detail15normal_iteratorINS8_10device_ptrIdEEEENSA_INSB_IiEEEEZNS1_13binary_searchIS3_S5_SD_SD_SF_NS1_16binary_search_opENS9_16wrapped_functionINS0_4lessIvEEbEEEE10hipError_tPvRmT1_T2_T3_mmT4_T5_P12ihipStream_tbEUlRKdE_EESM_SQ_SR_mSS_SV_bEUlT_E_NS1_11comp_targetILNS1_3genE10ELNS1_11target_archE1201ELNS1_3gpuE5ELNS1_3repE0EEENS1_30default_config_static_selectorELNS0_4arch9wavefront6targetE1EEEvSP_ ; -- Begin function _ZN7rocprim17ROCPRIM_400000_NS6detail17trampoline_kernelINS0_14default_configENS1_29binary_search_config_selectorIdiEEZNS1_14transform_implILb0ES3_S5_N6thrust23THRUST_200600_302600_NS6detail15normal_iteratorINS8_10device_ptrIdEEEENSA_INSB_IiEEEEZNS1_13binary_searchIS3_S5_SD_SD_SF_NS1_16binary_search_opENS9_16wrapped_functionINS0_4lessIvEEbEEEE10hipError_tPvRmT1_T2_T3_mmT4_T5_P12ihipStream_tbEUlRKdE_EESM_SQ_SR_mSS_SV_bEUlT_E_NS1_11comp_targetILNS1_3genE10ELNS1_11target_archE1201ELNS1_3gpuE5ELNS1_3repE0EEENS1_30default_config_static_selectorELNS0_4arch9wavefront6targetE1EEEvSP_
	.globl	_ZN7rocprim17ROCPRIM_400000_NS6detail17trampoline_kernelINS0_14default_configENS1_29binary_search_config_selectorIdiEEZNS1_14transform_implILb0ES3_S5_N6thrust23THRUST_200600_302600_NS6detail15normal_iteratorINS8_10device_ptrIdEEEENSA_INSB_IiEEEEZNS1_13binary_searchIS3_S5_SD_SD_SF_NS1_16binary_search_opENS9_16wrapped_functionINS0_4lessIvEEbEEEE10hipError_tPvRmT1_T2_T3_mmT4_T5_P12ihipStream_tbEUlRKdE_EESM_SQ_SR_mSS_SV_bEUlT_E_NS1_11comp_targetILNS1_3genE10ELNS1_11target_archE1201ELNS1_3gpuE5ELNS1_3repE0EEENS1_30default_config_static_selectorELNS0_4arch9wavefront6targetE1EEEvSP_
	.p2align	8
	.type	_ZN7rocprim17ROCPRIM_400000_NS6detail17trampoline_kernelINS0_14default_configENS1_29binary_search_config_selectorIdiEEZNS1_14transform_implILb0ES3_S5_N6thrust23THRUST_200600_302600_NS6detail15normal_iteratorINS8_10device_ptrIdEEEENSA_INSB_IiEEEEZNS1_13binary_searchIS3_S5_SD_SD_SF_NS1_16binary_search_opENS9_16wrapped_functionINS0_4lessIvEEbEEEE10hipError_tPvRmT1_T2_T3_mmT4_T5_P12ihipStream_tbEUlRKdE_EESM_SQ_SR_mSS_SV_bEUlT_E_NS1_11comp_targetILNS1_3genE10ELNS1_11target_archE1201ELNS1_3gpuE5ELNS1_3repE0EEENS1_30default_config_static_selectorELNS0_4arch9wavefront6targetE1EEEvSP_,@function
_ZN7rocprim17ROCPRIM_400000_NS6detail17trampoline_kernelINS0_14default_configENS1_29binary_search_config_selectorIdiEEZNS1_14transform_implILb0ES3_S5_N6thrust23THRUST_200600_302600_NS6detail15normal_iteratorINS8_10device_ptrIdEEEENSA_INSB_IiEEEEZNS1_13binary_searchIS3_S5_SD_SD_SF_NS1_16binary_search_opENS9_16wrapped_functionINS0_4lessIvEEbEEEE10hipError_tPvRmT1_T2_T3_mmT4_T5_P12ihipStream_tbEUlRKdE_EESM_SQ_SR_mSS_SV_bEUlT_E_NS1_11comp_targetILNS1_3genE10ELNS1_11target_archE1201ELNS1_3gpuE5ELNS1_3repE0EEENS1_30default_config_static_selectorELNS0_4arch9wavefront6targetE1EEEvSP_: ; @_ZN7rocprim17ROCPRIM_400000_NS6detail17trampoline_kernelINS0_14default_configENS1_29binary_search_config_selectorIdiEEZNS1_14transform_implILb0ES3_S5_N6thrust23THRUST_200600_302600_NS6detail15normal_iteratorINS8_10device_ptrIdEEEENSA_INSB_IiEEEEZNS1_13binary_searchIS3_S5_SD_SD_SF_NS1_16binary_search_opENS9_16wrapped_functionINS0_4lessIvEEbEEEE10hipError_tPvRmT1_T2_T3_mmT4_T5_P12ihipStream_tbEUlRKdE_EESM_SQ_SR_mSS_SV_bEUlT_E_NS1_11comp_targetILNS1_3genE10ELNS1_11target_archE1201ELNS1_3gpuE5ELNS1_3repE0EEENS1_30default_config_static_selectorELNS0_4arch9wavefront6targetE1EEEvSP_
; %bb.0:
	.section	.rodata,"a",@progbits
	.p2align	6, 0x0
	.amdhsa_kernel _ZN7rocprim17ROCPRIM_400000_NS6detail17trampoline_kernelINS0_14default_configENS1_29binary_search_config_selectorIdiEEZNS1_14transform_implILb0ES3_S5_N6thrust23THRUST_200600_302600_NS6detail15normal_iteratorINS8_10device_ptrIdEEEENSA_INSB_IiEEEEZNS1_13binary_searchIS3_S5_SD_SD_SF_NS1_16binary_search_opENS9_16wrapped_functionINS0_4lessIvEEbEEEE10hipError_tPvRmT1_T2_T3_mmT4_T5_P12ihipStream_tbEUlRKdE_EESM_SQ_SR_mSS_SV_bEUlT_E_NS1_11comp_targetILNS1_3genE10ELNS1_11target_archE1201ELNS1_3gpuE5ELNS1_3repE0EEENS1_30default_config_static_selectorELNS0_4arch9wavefront6targetE1EEEvSP_
		.amdhsa_group_segment_fixed_size 0
		.amdhsa_private_segment_fixed_size 0
		.amdhsa_kernarg_size 56
		.amdhsa_user_sgpr_count 6
		.amdhsa_user_sgpr_private_segment_buffer 1
		.amdhsa_user_sgpr_dispatch_ptr 0
		.amdhsa_user_sgpr_queue_ptr 0
		.amdhsa_user_sgpr_kernarg_segment_ptr 1
		.amdhsa_user_sgpr_dispatch_id 0
		.amdhsa_user_sgpr_flat_scratch_init 0
		.amdhsa_user_sgpr_kernarg_preload_length 0
		.amdhsa_user_sgpr_kernarg_preload_offset 0
		.amdhsa_user_sgpr_private_segment_size 0
		.amdhsa_uses_dynamic_stack 0
		.amdhsa_system_sgpr_private_segment_wavefront_offset 0
		.amdhsa_system_sgpr_workgroup_id_x 1
		.amdhsa_system_sgpr_workgroup_id_y 0
		.amdhsa_system_sgpr_workgroup_id_z 0
		.amdhsa_system_sgpr_workgroup_info 0
		.amdhsa_system_vgpr_workitem_id 0
		.amdhsa_next_free_vgpr 1
		.amdhsa_next_free_sgpr 0
		.amdhsa_accum_offset 4
		.amdhsa_reserve_vcc 0
		.amdhsa_reserve_flat_scratch 0
		.amdhsa_float_round_mode_32 0
		.amdhsa_float_round_mode_16_64 0
		.amdhsa_float_denorm_mode_32 3
		.amdhsa_float_denorm_mode_16_64 3
		.amdhsa_dx10_clamp 1
		.amdhsa_ieee_mode 1
		.amdhsa_fp16_overflow 0
		.amdhsa_tg_split 0
		.amdhsa_exception_fp_ieee_invalid_op 0
		.amdhsa_exception_fp_denorm_src 0
		.amdhsa_exception_fp_ieee_div_zero 0
		.amdhsa_exception_fp_ieee_overflow 0
		.amdhsa_exception_fp_ieee_underflow 0
		.amdhsa_exception_fp_ieee_inexact 0
		.amdhsa_exception_int_div_zero 0
	.end_amdhsa_kernel
	.section	.text._ZN7rocprim17ROCPRIM_400000_NS6detail17trampoline_kernelINS0_14default_configENS1_29binary_search_config_selectorIdiEEZNS1_14transform_implILb0ES3_S5_N6thrust23THRUST_200600_302600_NS6detail15normal_iteratorINS8_10device_ptrIdEEEENSA_INSB_IiEEEEZNS1_13binary_searchIS3_S5_SD_SD_SF_NS1_16binary_search_opENS9_16wrapped_functionINS0_4lessIvEEbEEEE10hipError_tPvRmT1_T2_T3_mmT4_T5_P12ihipStream_tbEUlRKdE_EESM_SQ_SR_mSS_SV_bEUlT_E_NS1_11comp_targetILNS1_3genE10ELNS1_11target_archE1201ELNS1_3gpuE5ELNS1_3repE0EEENS1_30default_config_static_selectorELNS0_4arch9wavefront6targetE1EEEvSP_,"axG",@progbits,_ZN7rocprim17ROCPRIM_400000_NS6detail17trampoline_kernelINS0_14default_configENS1_29binary_search_config_selectorIdiEEZNS1_14transform_implILb0ES3_S5_N6thrust23THRUST_200600_302600_NS6detail15normal_iteratorINS8_10device_ptrIdEEEENSA_INSB_IiEEEEZNS1_13binary_searchIS3_S5_SD_SD_SF_NS1_16binary_search_opENS9_16wrapped_functionINS0_4lessIvEEbEEEE10hipError_tPvRmT1_T2_T3_mmT4_T5_P12ihipStream_tbEUlRKdE_EESM_SQ_SR_mSS_SV_bEUlT_E_NS1_11comp_targetILNS1_3genE10ELNS1_11target_archE1201ELNS1_3gpuE5ELNS1_3repE0EEENS1_30default_config_static_selectorELNS0_4arch9wavefront6targetE1EEEvSP_,comdat
.Lfunc_end416:
	.size	_ZN7rocprim17ROCPRIM_400000_NS6detail17trampoline_kernelINS0_14default_configENS1_29binary_search_config_selectorIdiEEZNS1_14transform_implILb0ES3_S5_N6thrust23THRUST_200600_302600_NS6detail15normal_iteratorINS8_10device_ptrIdEEEENSA_INSB_IiEEEEZNS1_13binary_searchIS3_S5_SD_SD_SF_NS1_16binary_search_opENS9_16wrapped_functionINS0_4lessIvEEbEEEE10hipError_tPvRmT1_T2_T3_mmT4_T5_P12ihipStream_tbEUlRKdE_EESM_SQ_SR_mSS_SV_bEUlT_E_NS1_11comp_targetILNS1_3genE10ELNS1_11target_archE1201ELNS1_3gpuE5ELNS1_3repE0EEENS1_30default_config_static_selectorELNS0_4arch9wavefront6targetE1EEEvSP_, .Lfunc_end416-_ZN7rocprim17ROCPRIM_400000_NS6detail17trampoline_kernelINS0_14default_configENS1_29binary_search_config_selectorIdiEEZNS1_14transform_implILb0ES3_S5_N6thrust23THRUST_200600_302600_NS6detail15normal_iteratorINS8_10device_ptrIdEEEENSA_INSB_IiEEEEZNS1_13binary_searchIS3_S5_SD_SD_SF_NS1_16binary_search_opENS9_16wrapped_functionINS0_4lessIvEEbEEEE10hipError_tPvRmT1_T2_T3_mmT4_T5_P12ihipStream_tbEUlRKdE_EESM_SQ_SR_mSS_SV_bEUlT_E_NS1_11comp_targetILNS1_3genE10ELNS1_11target_archE1201ELNS1_3gpuE5ELNS1_3repE0EEENS1_30default_config_static_selectorELNS0_4arch9wavefront6targetE1EEEvSP_
                                        ; -- End function
	.section	.AMDGPU.csdata,"",@progbits
; Kernel info:
; codeLenInByte = 0
; NumSgprs: 4
; NumVgprs: 0
; NumAgprs: 0
; TotalNumVgprs: 0
; ScratchSize: 0
; MemoryBound: 0
; FloatMode: 240
; IeeeMode: 1
; LDSByteSize: 0 bytes/workgroup (compile time only)
; SGPRBlocks: 0
; VGPRBlocks: 0
; NumSGPRsForWavesPerEU: 4
; NumVGPRsForWavesPerEU: 1
; AccumOffset: 4
; Occupancy: 8
; WaveLimiterHint : 0
; COMPUTE_PGM_RSRC2:SCRATCH_EN: 0
; COMPUTE_PGM_RSRC2:USER_SGPR: 6
; COMPUTE_PGM_RSRC2:TRAP_HANDLER: 0
; COMPUTE_PGM_RSRC2:TGID_X_EN: 1
; COMPUTE_PGM_RSRC2:TGID_Y_EN: 0
; COMPUTE_PGM_RSRC2:TGID_Z_EN: 0
; COMPUTE_PGM_RSRC2:TIDIG_COMP_CNT: 0
; COMPUTE_PGM_RSRC3_GFX90A:ACCUM_OFFSET: 0
; COMPUTE_PGM_RSRC3_GFX90A:TG_SPLIT: 0
	.section	.text._ZN7rocprim17ROCPRIM_400000_NS6detail17trampoline_kernelINS0_14default_configENS1_29binary_search_config_selectorIdiEEZNS1_14transform_implILb0ES3_S5_N6thrust23THRUST_200600_302600_NS6detail15normal_iteratorINS8_10device_ptrIdEEEENSA_INSB_IiEEEEZNS1_13binary_searchIS3_S5_SD_SD_SF_NS1_16binary_search_opENS9_16wrapped_functionINS0_4lessIvEEbEEEE10hipError_tPvRmT1_T2_T3_mmT4_T5_P12ihipStream_tbEUlRKdE_EESM_SQ_SR_mSS_SV_bEUlT_E_NS1_11comp_targetILNS1_3genE10ELNS1_11target_archE1200ELNS1_3gpuE4ELNS1_3repE0EEENS1_30default_config_static_selectorELNS0_4arch9wavefront6targetE1EEEvSP_,"axG",@progbits,_ZN7rocprim17ROCPRIM_400000_NS6detail17trampoline_kernelINS0_14default_configENS1_29binary_search_config_selectorIdiEEZNS1_14transform_implILb0ES3_S5_N6thrust23THRUST_200600_302600_NS6detail15normal_iteratorINS8_10device_ptrIdEEEENSA_INSB_IiEEEEZNS1_13binary_searchIS3_S5_SD_SD_SF_NS1_16binary_search_opENS9_16wrapped_functionINS0_4lessIvEEbEEEE10hipError_tPvRmT1_T2_T3_mmT4_T5_P12ihipStream_tbEUlRKdE_EESM_SQ_SR_mSS_SV_bEUlT_E_NS1_11comp_targetILNS1_3genE10ELNS1_11target_archE1200ELNS1_3gpuE4ELNS1_3repE0EEENS1_30default_config_static_selectorELNS0_4arch9wavefront6targetE1EEEvSP_,comdat
	.protected	_ZN7rocprim17ROCPRIM_400000_NS6detail17trampoline_kernelINS0_14default_configENS1_29binary_search_config_selectorIdiEEZNS1_14transform_implILb0ES3_S5_N6thrust23THRUST_200600_302600_NS6detail15normal_iteratorINS8_10device_ptrIdEEEENSA_INSB_IiEEEEZNS1_13binary_searchIS3_S5_SD_SD_SF_NS1_16binary_search_opENS9_16wrapped_functionINS0_4lessIvEEbEEEE10hipError_tPvRmT1_T2_T3_mmT4_T5_P12ihipStream_tbEUlRKdE_EESM_SQ_SR_mSS_SV_bEUlT_E_NS1_11comp_targetILNS1_3genE10ELNS1_11target_archE1200ELNS1_3gpuE4ELNS1_3repE0EEENS1_30default_config_static_selectorELNS0_4arch9wavefront6targetE1EEEvSP_ ; -- Begin function _ZN7rocprim17ROCPRIM_400000_NS6detail17trampoline_kernelINS0_14default_configENS1_29binary_search_config_selectorIdiEEZNS1_14transform_implILb0ES3_S5_N6thrust23THRUST_200600_302600_NS6detail15normal_iteratorINS8_10device_ptrIdEEEENSA_INSB_IiEEEEZNS1_13binary_searchIS3_S5_SD_SD_SF_NS1_16binary_search_opENS9_16wrapped_functionINS0_4lessIvEEbEEEE10hipError_tPvRmT1_T2_T3_mmT4_T5_P12ihipStream_tbEUlRKdE_EESM_SQ_SR_mSS_SV_bEUlT_E_NS1_11comp_targetILNS1_3genE10ELNS1_11target_archE1200ELNS1_3gpuE4ELNS1_3repE0EEENS1_30default_config_static_selectorELNS0_4arch9wavefront6targetE1EEEvSP_
	.globl	_ZN7rocprim17ROCPRIM_400000_NS6detail17trampoline_kernelINS0_14default_configENS1_29binary_search_config_selectorIdiEEZNS1_14transform_implILb0ES3_S5_N6thrust23THRUST_200600_302600_NS6detail15normal_iteratorINS8_10device_ptrIdEEEENSA_INSB_IiEEEEZNS1_13binary_searchIS3_S5_SD_SD_SF_NS1_16binary_search_opENS9_16wrapped_functionINS0_4lessIvEEbEEEE10hipError_tPvRmT1_T2_T3_mmT4_T5_P12ihipStream_tbEUlRKdE_EESM_SQ_SR_mSS_SV_bEUlT_E_NS1_11comp_targetILNS1_3genE10ELNS1_11target_archE1200ELNS1_3gpuE4ELNS1_3repE0EEENS1_30default_config_static_selectorELNS0_4arch9wavefront6targetE1EEEvSP_
	.p2align	8
	.type	_ZN7rocprim17ROCPRIM_400000_NS6detail17trampoline_kernelINS0_14default_configENS1_29binary_search_config_selectorIdiEEZNS1_14transform_implILb0ES3_S5_N6thrust23THRUST_200600_302600_NS6detail15normal_iteratorINS8_10device_ptrIdEEEENSA_INSB_IiEEEEZNS1_13binary_searchIS3_S5_SD_SD_SF_NS1_16binary_search_opENS9_16wrapped_functionINS0_4lessIvEEbEEEE10hipError_tPvRmT1_T2_T3_mmT4_T5_P12ihipStream_tbEUlRKdE_EESM_SQ_SR_mSS_SV_bEUlT_E_NS1_11comp_targetILNS1_3genE10ELNS1_11target_archE1200ELNS1_3gpuE4ELNS1_3repE0EEENS1_30default_config_static_selectorELNS0_4arch9wavefront6targetE1EEEvSP_,@function
_ZN7rocprim17ROCPRIM_400000_NS6detail17trampoline_kernelINS0_14default_configENS1_29binary_search_config_selectorIdiEEZNS1_14transform_implILb0ES3_S5_N6thrust23THRUST_200600_302600_NS6detail15normal_iteratorINS8_10device_ptrIdEEEENSA_INSB_IiEEEEZNS1_13binary_searchIS3_S5_SD_SD_SF_NS1_16binary_search_opENS9_16wrapped_functionINS0_4lessIvEEbEEEE10hipError_tPvRmT1_T2_T3_mmT4_T5_P12ihipStream_tbEUlRKdE_EESM_SQ_SR_mSS_SV_bEUlT_E_NS1_11comp_targetILNS1_3genE10ELNS1_11target_archE1200ELNS1_3gpuE4ELNS1_3repE0EEENS1_30default_config_static_selectorELNS0_4arch9wavefront6targetE1EEEvSP_: ; @_ZN7rocprim17ROCPRIM_400000_NS6detail17trampoline_kernelINS0_14default_configENS1_29binary_search_config_selectorIdiEEZNS1_14transform_implILb0ES3_S5_N6thrust23THRUST_200600_302600_NS6detail15normal_iteratorINS8_10device_ptrIdEEEENSA_INSB_IiEEEEZNS1_13binary_searchIS3_S5_SD_SD_SF_NS1_16binary_search_opENS9_16wrapped_functionINS0_4lessIvEEbEEEE10hipError_tPvRmT1_T2_T3_mmT4_T5_P12ihipStream_tbEUlRKdE_EESM_SQ_SR_mSS_SV_bEUlT_E_NS1_11comp_targetILNS1_3genE10ELNS1_11target_archE1200ELNS1_3gpuE4ELNS1_3repE0EEENS1_30default_config_static_selectorELNS0_4arch9wavefront6targetE1EEEvSP_
; %bb.0:
	.section	.rodata,"a",@progbits
	.p2align	6, 0x0
	.amdhsa_kernel _ZN7rocprim17ROCPRIM_400000_NS6detail17trampoline_kernelINS0_14default_configENS1_29binary_search_config_selectorIdiEEZNS1_14transform_implILb0ES3_S5_N6thrust23THRUST_200600_302600_NS6detail15normal_iteratorINS8_10device_ptrIdEEEENSA_INSB_IiEEEEZNS1_13binary_searchIS3_S5_SD_SD_SF_NS1_16binary_search_opENS9_16wrapped_functionINS0_4lessIvEEbEEEE10hipError_tPvRmT1_T2_T3_mmT4_T5_P12ihipStream_tbEUlRKdE_EESM_SQ_SR_mSS_SV_bEUlT_E_NS1_11comp_targetILNS1_3genE10ELNS1_11target_archE1200ELNS1_3gpuE4ELNS1_3repE0EEENS1_30default_config_static_selectorELNS0_4arch9wavefront6targetE1EEEvSP_
		.amdhsa_group_segment_fixed_size 0
		.amdhsa_private_segment_fixed_size 0
		.amdhsa_kernarg_size 56
		.amdhsa_user_sgpr_count 6
		.amdhsa_user_sgpr_private_segment_buffer 1
		.amdhsa_user_sgpr_dispatch_ptr 0
		.amdhsa_user_sgpr_queue_ptr 0
		.amdhsa_user_sgpr_kernarg_segment_ptr 1
		.amdhsa_user_sgpr_dispatch_id 0
		.amdhsa_user_sgpr_flat_scratch_init 0
		.amdhsa_user_sgpr_kernarg_preload_length 0
		.amdhsa_user_sgpr_kernarg_preload_offset 0
		.amdhsa_user_sgpr_private_segment_size 0
		.amdhsa_uses_dynamic_stack 0
		.amdhsa_system_sgpr_private_segment_wavefront_offset 0
		.amdhsa_system_sgpr_workgroup_id_x 1
		.amdhsa_system_sgpr_workgroup_id_y 0
		.amdhsa_system_sgpr_workgroup_id_z 0
		.amdhsa_system_sgpr_workgroup_info 0
		.amdhsa_system_vgpr_workitem_id 0
		.amdhsa_next_free_vgpr 1
		.amdhsa_next_free_sgpr 0
		.amdhsa_accum_offset 4
		.amdhsa_reserve_vcc 0
		.amdhsa_reserve_flat_scratch 0
		.amdhsa_float_round_mode_32 0
		.amdhsa_float_round_mode_16_64 0
		.amdhsa_float_denorm_mode_32 3
		.amdhsa_float_denorm_mode_16_64 3
		.amdhsa_dx10_clamp 1
		.amdhsa_ieee_mode 1
		.amdhsa_fp16_overflow 0
		.amdhsa_tg_split 0
		.amdhsa_exception_fp_ieee_invalid_op 0
		.amdhsa_exception_fp_denorm_src 0
		.amdhsa_exception_fp_ieee_div_zero 0
		.amdhsa_exception_fp_ieee_overflow 0
		.amdhsa_exception_fp_ieee_underflow 0
		.amdhsa_exception_fp_ieee_inexact 0
		.amdhsa_exception_int_div_zero 0
	.end_amdhsa_kernel
	.section	.text._ZN7rocprim17ROCPRIM_400000_NS6detail17trampoline_kernelINS0_14default_configENS1_29binary_search_config_selectorIdiEEZNS1_14transform_implILb0ES3_S5_N6thrust23THRUST_200600_302600_NS6detail15normal_iteratorINS8_10device_ptrIdEEEENSA_INSB_IiEEEEZNS1_13binary_searchIS3_S5_SD_SD_SF_NS1_16binary_search_opENS9_16wrapped_functionINS0_4lessIvEEbEEEE10hipError_tPvRmT1_T2_T3_mmT4_T5_P12ihipStream_tbEUlRKdE_EESM_SQ_SR_mSS_SV_bEUlT_E_NS1_11comp_targetILNS1_3genE10ELNS1_11target_archE1200ELNS1_3gpuE4ELNS1_3repE0EEENS1_30default_config_static_selectorELNS0_4arch9wavefront6targetE1EEEvSP_,"axG",@progbits,_ZN7rocprim17ROCPRIM_400000_NS6detail17trampoline_kernelINS0_14default_configENS1_29binary_search_config_selectorIdiEEZNS1_14transform_implILb0ES3_S5_N6thrust23THRUST_200600_302600_NS6detail15normal_iteratorINS8_10device_ptrIdEEEENSA_INSB_IiEEEEZNS1_13binary_searchIS3_S5_SD_SD_SF_NS1_16binary_search_opENS9_16wrapped_functionINS0_4lessIvEEbEEEE10hipError_tPvRmT1_T2_T3_mmT4_T5_P12ihipStream_tbEUlRKdE_EESM_SQ_SR_mSS_SV_bEUlT_E_NS1_11comp_targetILNS1_3genE10ELNS1_11target_archE1200ELNS1_3gpuE4ELNS1_3repE0EEENS1_30default_config_static_selectorELNS0_4arch9wavefront6targetE1EEEvSP_,comdat
.Lfunc_end417:
	.size	_ZN7rocprim17ROCPRIM_400000_NS6detail17trampoline_kernelINS0_14default_configENS1_29binary_search_config_selectorIdiEEZNS1_14transform_implILb0ES3_S5_N6thrust23THRUST_200600_302600_NS6detail15normal_iteratorINS8_10device_ptrIdEEEENSA_INSB_IiEEEEZNS1_13binary_searchIS3_S5_SD_SD_SF_NS1_16binary_search_opENS9_16wrapped_functionINS0_4lessIvEEbEEEE10hipError_tPvRmT1_T2_T3_mmT4_T5_P12ihipStream_tbEUlRKdE_EESM_SQ_SR_mSS_SV_bEUlT_E_NS1_11comp_targetILNS1_3genE10ELNS1_11target_archE1200ELNS1_3gpuE4ELNS1_3repE0EEENS1_30default_config_static_selectorELNS0_4arch9wavefront6targetE1EEEvSP_, .Lfunc_end417-_ZN7rocprim17ROCPRIM_400000_NS6detail17trampoline_kernelINS0_14default_configENS1_29binary_search_config_selectorIdiEEZNS1_14transform_implILb0ES3_S5_N6thrust23THRUST_200600_302600_NS6detail15normal_iteratorINS8_10device_ptrIdEEEENSA_INSB_IiEEEEZNS1_13binary_searchIS3_S5_SD_SD_SF_NS1_16binary_search_opENS9_16wrapped_functionINS0_4lessIvEEbEEEE10hipError_tPvRmT1_T2_T3_mmT4_T5_P12ihipStream_tbEUlRKdE_EESM_SQ_SR_mSS_SV_bEUlT_E_NS1_11comp_targetILNS1_3genE10ELNS1_11target_archE1200ELNS1_3gpuE4ELNS1_3repE0EEENS1_30default_config_static_selectorELNS0_4arch9wavefront6targetE1EEEvSP_
                                        ; -- End function
	.section	.AMDGPU.csdata,"",@progbits
; Kernel info:
; codeLenInByte = 0
; NumSgprs: 4
; NumVgprs: 0
; NumAgprs: 0
; TotalNumVgprs: 0
; ScratchSize: 0
; MemoryBound: 0
; FloatMode: 240
; IeeeMode: 1
; LDSByteSize: 0 bytes/workgroup (compile time only)
; SGPRBlocks: 0
; VGPRBlocks: 0
; NumSGPRsForWavesPerEU: 4
; NumVGPRsForWavesPerEU: 1
; AccumOffset: 4
; Occupancy: 8
; WaveLimiterHint : 0
; COMPUTE_PGM_RSRC2:SCRATCH_EN: 0
; COMPUTE_PGM_RSRC2:USER_SGPR: 6
; COMPUTE_PGM_RSRC2:TRAP_HANDLER: 0
; COMPUTE_PGM_RSRC2:TGID_X_EN: 1
; COMPUTE_PGM_RSRC2:TGID_Y_EN: 0
; COMPUTE_PGM_RSRC2:TGID_Z_EN: 0
; COMPUTE_PGM_RSRC2:TIDIG_COMP_CNT: 0
; COMPUTE_PGM_RSRC3_GFX90A:ACCUM_OFFSET: 0
; COMPUTE_PGM_RSRC3_GFX90A:TG_SPLIT: 0
	.section	.text._ZN7rocprim17ROCPRIM_400000_NS6detail17trampoline_kernelINS0_14default_configENS1_29binary_search_config_selectorIdiEEZNS1_14transform_implILb0ES3_S5_N6thrust23THRUST_200600_302600_NS6detail15normal_iteratorINS8_10device_ptrIdEEEENSA_INSB_IiEEEEZNS1_13binary_searchIS3_S5_SD_SD_SF_NS1_16binary_search_opENS9_16wrapped_functionINS0_4lessIvEEbEEEE10hipError_tPvRmT1_T2_T3_mmT4_T5_P12ihipStream_tbEUlRKdE_EESM_SQ_SR_mSS_SV_bEUlT_E_NS1_11comp_targetILNS1_3genE9ELNS1_11target_archE1100ELNS1_3gpuE3ELNS1_3repE0EEENS1_30default_config_static_selectorELNS0_4arch9wavefront6targetE1EEEvSP_,"axG",@progbits,_ZN7rocprim17ROCPRIM_400000_NS6detail17trampoline_kernelINS0_14default_configENS1_29binary_search_config_selectorIdiEEZNS1_14transform_implILb0ES3_S5_N6thrust23THRUST_200600_302600_NS6detail15normal_iteratorINS8_10device_ptrIdEEEENSA_INSB_IiEEEEZNS1_13binary_searchIS3_S5_SD_SD_SF_NS1_16binary_search_opENS9_16wrapped_functionINS0_4lessIvEEbEEEE10hipError_tPvRmT1_T2_T3_mmT4_T5_P12ihipStream_tbEUlRKdE_EESM_SQ_SR_mSS_SV_bEUlT_E_NS1_11comp_targetILNS1_3genE9ELNS1_11target_archE1100ELNS1_3gpuE3ELNS1_3repE0EEENS1_30default_config_static_selectorELNS0_4arch9wavefront6targetE1EEEvSP_,comdat
	.protected	_ZN7rocprim17ROCPRIM_400000_NS6detail17trampoline_kernelINS0_14default_configENS1_29binary_search_config_selectorIdiEEZNS1_14transform_implILb0ES3_S5_N6thrust23THRUST_200600_302600_NS6detail15normal_iteratorINS8_10device_ptrIdEEEENSA_INSB_IiEEEEZNS1_13binary_searchIS3_S5_SD_SD_SF_NS1_16binary_search_opENS9_16wrapped_functionINS0_4lessIvEEbEEEE10hipError_tPvRmT1_T2_T3_mmT4_T5_P12ihipStream_tbEUlRKdE_EESM_SQ_SR_mSS_SV_bEUlT_E_NS1_11comp_targetILNS1_3genE9ELNS1_11target_archE1100ELNS1_3gpuE3ELNS1_3repE0EEENS1_30default_config_static_selectorELNS0_4arch9wavefront6targetE1EEEvSP_ ; -- Begin function _ZN7rocprim17ROCPRIM_400000_NS6detail17trampoline_kernelINS0_14default_configENS1_29binary_search_config_selectorIdiEEZNS1_14transform_implILb0ES3_S5_N6thrust23THRUST_200600_302600_NS6detail15normal_iteratorINS8_10device_ptrIdEEEENSA_INSB_IiEEEEZNS1_13binary_searchIS3_S5_SD_SD_SF_NS1_16binary_search_opENS9_16wrapped_functionINS0_4lessIvEEbEEEE10hipError_tPvRmT1_T2_T3_mmT4_T5_P12ihipStream_tbEUlRKdE_EESM_SQ_SR_mSS_SV_bEUlT_E_NS1_11comp_targetILNS1_3genE9ELNS1_11target_archE1100ELNS1_3gpuE3ELNS1_3repE0EEENS1_30default_config_static_selectorELNS0_4arch9wavefront6targetE1EEEvSP_
	.globl	_ZN7rocprim17ROCPRIM_400000_NS6detail17trampoline_kernelINS0_14default_configENS1_29binary_search_config_selectorIdiEEZNS1_14transform_implILb0ES3_S5_N6thrust23THRUST_200600_302600_NS6detail15normal_iteratorINS8_10device_ptrIdEEEENSA_INSB_IiEEEEZNS1_13binary_searchIS3_S5_SD_SD_SF_NS1_16binary_search_opENS9_16wrapped_functionINS0_4lessIvEEbEEEE10hipError_tPvRmT1_T2_T3_mmT4_T5_P12ihipStream_tbEUlRKdE_EESM_SQ_SR_mSS_SV_bEUlT_E_NS1_11comp_targetILNS1_3genE9ELNS1_11target_archE1100ELNS1_3gpuE3ELNS1_3repE0EEENS1_30default_config_static_selectorELNS0_4arch9wavefront6targetE1EEEvSP_
	.p2align	8
	.type	_ZN7rocprim17ROCPRIM_400000_NS6detail17trampoline_kernelINS0_14default_configENS1_29binary_search_config_selectorIdiEEZNS1_14transform_implILb0ES3_S5_N6thrust23THRUST_200600_302600_NS6detail15normal_iteratorINS8_10device_ptrIdEEEENSA_INSB_IiEEEEZNS1_13binary_searchIS3_S5_SD_SD_SF_NS1_16binary_search_opENS9_16wrapped_functionINS0_4lessIvEEbEEEE10hipError_tPvRmT1_T2_T3_mmT4_T5_P12ihipStream_tbEUlRKdE_EESM_SQ_SR_mSS_SV_bEUlT_E_NS1_11comp_targetILNS1_3genE9ELNS1_11target_archE1100ELNS1_3gpuE3ELNS1_3repE0EEENS1_30default_config_static_selectorELNS0_4arch9wavefront6targetE1EEEvSP_,@function
_ZN7rocprim17ROCPRIM_400000_NS6detail17trampoline_kernelINS0_14default_configENS1_29binary_search_config_selectorIdiEEZNS1_14transform_implILb0ES3_S5_N6thrust23THRUST_200600_302600_NS6detail15normal_iteratorINS8_10device_ptrIdEEEENSA_INSB_IiEEEEZNS1_13binary_searchIS3_S5_SD_SD_SF_NS1_16binary_search_opENS9_16wrapped_functionINS0_4lessIvEEbEEEE10hipError_tPvRmT1_T2_T3_mmT4_T5_P12ihipStream_tbEUlRKdE_EESM_SQ_SR_mSS_SV_bEUlT_E_NS1_11comp_targetILNS1_3genE9ELNS1_11target_archE1100ELNS1_3gpuE3ELNS1_3repE0EEENS1_30default_config_static_selectorELNS0_4arch9wavefront6targetE1EEEvSP_: ; @_ZN7rocprim17ROCPRIM_400000_NS6detail17trampoline_kernelINS0_14default_configENS1_29binary_search_config_selectorIdiEEZNS1_14transform_implILb0ES3_S5_N6thrust23THRUST_200600_302600_NS6detail15normal_iteratorINS8_10device_ptrIdEEEENSA_INSB_IiEEEEZNS1_13binary_searchIS3_S5_SD_SD_SF_NS1_16binary_search_opENS9_16wrapped_functionINS0_4lessIvEEbEEEE10hipError_tPvRmT1_T2_T3_mmT4_T5_P12ihipStream_tbEUlRKdE_EESM_SQ_SR_mSS_SV_bEUlT_E_NS1_11comp_targetILNS1_3genE9ELNS1_11target_archE1100ELNS1_3gpuE3ELNS1_3repE0EEENS1_30default_config_static_selectorELNS0_4arch9wavefront6targetE1EEEvSP_
; %bb.0:
	.section	.rodata,"a",@progbits
	.p2align	6, 0x0
	.amdhsa_kernel _ZN7rocprim17ROCPRIM_400000_NS6detail17trampoline_kernelINS0_14default_configENS1_29binary_search_config_selectorIdiEEZNS1_14transform_implILb0ES3_S5_N6thrust23THRUST_200600_302600_NS6detail15normal_iteratorINS8_10device_ptrIdEEEENSA_INSB_IiEEEEZNS1_13binary_searchIS3_S5_SD_SD_SF_NS1_16binary_search_opENS9_16wrapped_functionINS0_4lessIvEEbEEEE10hipError_tPvRmT1_T2_T3_mmT4_T5_P12ihipStream_tbEUlRKdE_EESM_SQ_SR_mSS_SV_bEUlT_E_NS1_11comp_targetILNS1_3genE9ELNS1_11target_archE1100ELNS1_3gpuE3ELNS1_3repE0EEENS1_30default_config_static_selectorELNS0_4arch9wavefront6targetE1EEEvSP_
		.amdhsa_group_segment_fixed_size 0
		.amdhsa_private_segment_fixed_size 0
		.amdhsa_kernarg_size 56
		.amdhsa_user_sgpr_count 6
		.amdhsa_user_sgpr_private_segment_buffer 1
		.amdhsa_user_sgpr_dispatch_ptr 0
		.amdhsa_user_sgpr_queue_ptr 0
		.amdhsa_user_sgpr_kernarg_segment_ptr 1
		.amdhsa_user_sgpr_dispatch_id 0
		.amdhsa_user_sgpr_flat_scratch_init 0
		.amdhsa_user_sgpr_kernarg_preload_length 0
		.amdhsa_user_sgpr_kernarg_preload_offset 0
		.amdhsa_user_sgpr_private_segment_size 0
		.amdhsa_uses_dynamic_stack 0
		.amdhsa_system_sgpr_private_segment_wavefront_offset 0
		.amdhsa_system_sgpr_workgroup_id_x 1
		.amdhsa_system_sgpr_workgroup_id_y 0
		.amdhsa_system_sgpr_workgroup_id_z 0
		.amdhsa_system_sgpr_workgroup_info 0
		.amdhsa_system_vgpr_workitem_id 0
		.amdhsa_next_free_vgpr 1
		.amdhsa_next_free_sgpr 0
		.amdhsa_accum_offset 4
		.amdhsa_reserve_vcc 0
		.amdhsa_reserve_flat_scratch 0
		.amdhsa_float_round_mode_32 0
		.amdhsa_float_round_mode_16_64 0
		.amdhsa_float_denorm_mode_32 3
		.amdhsa_float_denorm_mode_16_64 3
		.amdhsa_dx10_clamp 1
		.amdhsa_ieee_mode 1
		.amdhsa_fp16_overflow 0
		.amdhsa_tg_split 0
		.amdhsa_exception_fp_ieee_invalid_op 0
		.amdhsa_exception_fp_denorm_src 0
		.amdhsa_exception_fp_ieee_div_zero 0
		.amdhsa_exception_fp_ieee_overflow 0
		.amdhsa_exception_fp_ieee_underflow 0
		.amdhsa_exception_fp_ieee_inexact 0
		.amdhsa_exception_int_div_zero 0
	.end_amdhsa_kernel
	.section	.text._ZN7rocprim17ROCPRIM_400000_NS6detail17trampoline_kernelINS0_14default_configENS1_29binary_search_config_selectorIdiEEZNS1_14transform_implILb0ES3_S5_N6thrust23THRUST_200600_302600_NS6detail15normal_iteratorINS8_10device_ptrIdEEEENSA_INSB_IiEEEEZNS1_13binary_searchIS3_S5_SD_SD_SF_NS1_16binary_search_opENS9_16wrapped_functionINS0_4lessIvEEbEEEE10hipError_tPvRmT1_T2_T3_mmT4_T5_P12ihipStream_tbEUlRKdE_EESM_SQ_SR_mSS_SV_bEUlT_E_NS1_11comp_targetILNS1_3genE9ELNS1_11target_archE1100ELNS1_3gpuE3ELNS1_3repE0EEENS1_30default_config_static_selectorELNS0_4arch9wavefront6targetE1EEEvSP_,"axG",@progbits,_ZN7rocprim17ROCPRIM_400000_NS6detail17trampoline_kernelINS0_14default_configENS1_29binary_search_config_selectorIdiEEZNS1_14transform_implILb0ES3_S5_N6thrust23THRUST_200600_302600_NS6detail15normal_iteratorINS8_10device_ptrIdEEEENSA_INSB_IiEEEEZNS1_13binary_searchIS3_S5_SD_SD_SF_NS1_16binary_search_opENS9_16wrapped_functionINS0_4lessIvEEbEEEE10hipError_tPvRmT1_T2_T3_mmT4_T5_P12ihipStream_tbEUlRKdE_EESM_SQ_SR_mSS_SV_bEUlT_E_NS1_11comp_targetILNS1_3genE9ELNS1_11target_archE1100ELNS1_3gpuE3ELNS1_3repE0EEENS1_30default_config_static_selectorELNS0_4arch9wavefront6targetE1EEEvSP_,comdat
.Lfunc_end418:
	.size	_ZN7rocprim17ROCPRIM_400000_NS6detail17trampoline_kernelINS0_14default_configENS1_29binary_search_config_selectorIdiEEZNS1_14transform_implILb0ES3_S5_N6thrust23THRUST_200600_302600_NS6detail15normal_iteratorINS8_10device_ptrIdEEEENSA_INSB_IiEEEEZNS1_13binary_searchIS3_S5_SD_SD_SF_NS1_16binary_search_opENS9_16wrapped_functionINS0_4lessIvEEbEEEE10hipError_tPvRmT1_T2_T3_mmT4_T5_P12ihipStream_tbEUlRKdE_EESM_SQ_SR_mSS_SV_bEUlT_E_NS1_11comp_targetILNS1_3genE9ELNS1_11target_archE1100ELNS1_3gpuE3ELNS1_3repE0EEENS1_30default_config_static_selectorELNS0_4arch9wavefront6targetE1EEEvSP_, .Lfunc_end418-_ZN7rocprim17ROCPRIM_400000_NS6detail17trampoline_kernelINS0_14default_configENS1_29binary_search_config_selectorIdiEEZNS1_14transform_implILb0ES3_S5_N6thrust23THRUST_200600_302600_NS6detail15normal_iteratorINS8_10device_ptrIdEEEENSA_INSB_IiEEEEZNS1_13binary_searchIS3_S5_SD_SD_SF_NS1_16binary_search_opENS9_16wrapped_functionINS0_4lessIvEEbEEEE10hipError_tPvRmT1_T2_T3_mmT4_T5_P12ihipStream_tbEUlRKdE_EESM_SQ_SR_mSS_SV_bEUlT_E_NS1_11comp_targetILNS1_3genE9ELNS1_11target_archE1100ELNS1_3gpuE3ELNS1_3repE0EEENS1_30default_config_static_selectorELNS0_4arch9wavefront6targetE1EEEvSP_
                                        ; -- End function
	.section	.AMDGPU.csdata,"",@progbits
; Kernel info:
; codeLenInByte = 0
; NumSgprs: 4
; NumVgprs: 0
; NumAgprs: 0
; TotalNumVgprs: 0
; ScratchSize: 0
; MemoryBound: 0
; FloatMode: 240
; IeeeMode: 1
; LDSByteSize: 0 bytes/workgroup (compile time only)
; SGPRBlocks: 0
; VGPRBlocks: 0
; NumSGPRsForWavesPerEU: 4
; NumVGPRsForWavesPerEU: 1
; AccumOffset: 4
; Occupancy: 8
; WaveLimiterHint : 0
; COMPUTE_PGM_RSRC2:SCRATCH_EN: 0
; COMPUTE_PGM_RSRC2:USER_SGPR: 6
; COMPUTE_PGM_RSRC2:TRAP_HANDLER: 0
; COMPUTE_PGM_RSRC2:TGID_X_EN: 1
; COMPUTE_PGM_RSRC2:TGID_Y_EN: 0
; COMPUTE_PGM_RSRC2:TGID_Z_EN: 0
; COMPUTE_PGM_RSRC2:TIDIG_COMP_CNT: 0
; COMPUTE_PGM_RSRC3_GFX90A:ACCUM_OFFSET: 0
; COMPUTE_PGM_RSRC3_GFX90A:TG_SPLIT: 0
	.section	.text._ZN7rocprim17ROCPRIM_400000_NS6detail17trampoline_kernelINS0_14default_configENS1_29binary_search_config_selectorIdiEEZNS1_14transform_implILb0ES3_S5_N6thrust23THRUST_200600_302600_NS6detail15normal_iteratorINS8_10device_ptrIdEEEENSA_INSB_IiEEEEZNS1_13binary_searchIS3_S5_SD_SD_SF_NS1_16binary_search_opENS9_16wrapped_functionINS0_4lessIvEEbEEEE10hipError_tPvRmT1_T2_T3_mmT4_T5_P12ihipStream_tbEUlRKdE_EESM_SQ_SR_mSS_SV_bEUlT_E_NS1_11comp_targetILNS1_3genE8ELNS1_11target_archE1030ELNS1_3gpuE2ELNS1_3repE0EEENS1_30default_config_static_selectorELNS0_4arch9wavefront6targetE1EEEvSP_,"axG",@progbits,_ZN7rocprim17ROCPRIM_400000_NS6detail17trampoline_kernelINS0_14default_configENS1_29binary_search_config_selectorIdiEEZNS1_14transform_implILb0ES3_S5_N6thrust23THRUST_200600_302600_NS6detail15normal_iteratorINS8_10device_ptrIdEEEENSA_INSB_IiEEEEZNS1_13binary_searchIS3_S5_SD_SD_SF_NS1_16binary_search_opENS9_16wrapped_functionINS0_4lessIvEEbEEEE10hipError_tPvRmT1_T2_T3_mmT4_T5_P12ihipStream_tbEUlRKdE_EESM_SQ_SR_mSS_SV_bEUlT_E_NS1_11comp_targetILNS1_3genE8ELNS1_11target_archE1030ELNS1_3gpuE2ELNS1_3repE0EEENS1_30default_config_static_selectorELNS0_4arch9wavefront6targetE1EEEvSP_,comdat
	.protected	_ZN7rocprim17ROCPRIM_400000_NS6detail17trampoline_kernelINS0_14default_configENS1_29binary_search_config_selectorIdiEEZNS1_14transform_implILb0ES3_S5_N6thrust23THRUST_200600_302600_NS6detail15normal_iteratorINS8_10device_ptrIdEEEENSA_INSB_IiEEEEZNS1_13binary_searchIS3_S5_SD_SD_SF_NS1_16binary_search_opENS9_16wrapped_functionINS0_4lessIvEEbEEEE10hipError_tPvRmT1_T2_T3_mmT4_T5_P12ihipStream_tbEUlRKdE_EESM_SQ_SR_mSS_SV_bEUlT_E_NS1_11comp_targetILNS1_3genE8ELNS1_11target_archE1030ELNS1_3gpuE2ELNS1_3repE0EEENS1_30default_config_static_selectorELNS0_4arch9wavefront6targetE1EEEvSP_ ; -- Begin function _ZN7rocprim17ROCPRIM_400000_NS6detail17trampoline_kernelINS0_14default_configENS1_29binary_search_config_selectorIdiEEZNS1_14transform_implILb0ES3_S5_N6thrust23THRUST_200600_302600_NS6detail15normal_iteratorINS8_10device_ptrIdEEEENSA_INSB_IiEEEEZNS1_13binary_searchIS3_S5_SD_SD_SF_NS1_16binary_search_opENS9_16wrapped_functionINS0_4lessIvEEbEEEE10hipError_tPvRmT1_T2_T3_mmT4_T5_P12ihipStream_tbEUlRKdE_EESM_SQ_SR_mSS_SV_bEUlT_E_NS1_11comp_targetILNS1_3genE8ELNS1_11target_archE1030ELNS1_3gpuE2ELNS1_3repE0EEENS1_30default_config_static_selectorELNS0_4arch9wavefront6targetE1EEEvSP_
	.globl	_ZN7rocprim17ROCPRIM_400000_NS6detail17trampoline_kernelINS0_14default_configENS1_29binary_search_config_selectorIdiEEZNS1_14transform_implILb0ES3_S5_N6thrust23THRUST_200600_302600_NS6detail15normal_iteratorINS8_10device_ptrIdEEEENSA_INSB_IiEEEEZNS1_13binary_searchIS3_S5_SD_SD_SF_NS1_16binary_search_opENS9_16wrapped_functionINS0_4lessIvEEbEEEE10hipError_tPvRmT1_T2_T3_mmT4_T5_P12ihipStream_tbEUlRKdE_EESM_SQ_SR_mSS_SV_bEUlT_E_NS1_11comp_targetILNS1_3genE8ELNS1_11target_archE1030ELNS1_3gpuE2ELNS1_3repE0EEENS1_30default_config_static_selectorELNS0_4arch9wavefront6targetE1EEEvSP_
	.p2align	8
	.type	_ZN7rocprim17ROCPRIM_400000_NS6detail17trampoline_kernelINS0_14default_configENS1_29binary_search_config_selectorIdiEEZNS1_14transform_implILb0ES3_S5_N6thrust23THRUST_200600_302600_NS6detail15normal_iteratorINS8_10device_ptrIdEEEENSA_INSB_IiEEEEZNS1_13binary_searchIS3_S5_SD_SD_SF_NS1_16binary_search_opENS9_16wrapped_functionINS0_4lessIvEEbEEEE10hipError_tPvRmT1_T2_T3_mmT4_T5_P12ihipStream_tbEUlRKdE_EESM_SQ_SR_mSS_SV_bEUlT_E_NS1_11comp_targetILNS1_3genE8ELNS1_11target_archE1030ELNS1_3gpuE2ELNS1_3repE0EEENS1_30default_config_static_selectorELNS0_4arch9wavefront6targetE1EEEvSP_,@function
_ZN7rocprim17ROCPRIM_400000_NS6detail17trampoline_kernelINS0_14default_configENS1_29binary_search_config_selectorIdiEEZNS1_14transform_implILb0ES3_S5_N6thrust23THRUST_200600_302600_NS6detail15normal_iteratorINS8_10device_ptrIdEEEENSA_INSB_IiEEEEZNS1_13binary_searchIS3_S5_SD_SD_SF_NS1_16binary_search_opENS9_16wrapped_functionINS0_4lessIvEEbEEEE10hipError_tPvRmT1_T2_T3_mmT4_T5_P12ihipStream_tbEUlRKdE_EESM_SQ_SR_mSS_SV_bEUlT_E_NS1_11comp_targetILNS1_3genE8ELNS1_11target_archE1030ELNS1_3gpuE2ELNS1_3repE0EEENS1_30default_config_static_selectorELNS0_4arch9wavefront6targetE1EEEvSP_: ; @_ZN7rocprim17ROCPRIM_400000_NS6detail17trampoline_kernelINS0_14default_configENS1_29binary_search_config_selectorIdiEEZNS1_14transform_implILb0ES3_S5_N6thrust23THRUST_200600_302600_NS6detail15normal_iteratorINS8_10device_ptrIdEEEENSA_INSB_IiEEEEZNS1_13binary_searchIS3_S5_SD_SD_SF_NS1_16binary_search_opENS9_16wrapped_functionINS0_4lessIvEEbEEEE10hipError_tPvRmT1_T2_T3_mmT4_T5_P12ihipStream_tbEUlRKdE_EESM_SQ_SR_mSS_SV_bEUlT_E_NS1_11comp_targetILNS1_3genE8ELNS1_11target_archE1030ELNS1_3gpuE2ELNS1_3repE0EEENS1_30default_config_static_selectorELNS0_4arch9wavefront6targetE1EEEvSP_
; %bb.0:
	.section	.rodata,"a",@progbits
	.p2align	6, 0x0
	.amdhsa_kernel _ZN7rocprim17ROCPRIM_400000_NS6detail17trampoline_kernelINS0_14default_configENS1_29binary_search_config_selectorIdiEEZNS1_14transform_implILb0ES3_S5_N6thrust23THRUST_200600_302600_NS6detail15normal_iteratorINS8_10device_ptrIdEEEENSA_INSB_IiEEEEZNS1_13binary_searchIS3_S5_SD_SD_SF_NS1_16binary_search_opENS9_16wrapped_functionINS0_4lessIvEEbEEEE10hipError_tPvRmT1_T2_T3_mmT4_T5_P12ihipStream_tbEUlRKdE_EESM_SQ_SR_mSS_SV_bEUlT_E_NS1_11comp_targetILNS1_3genE8ELNS1_11target_archE1030ELNS1_3gpuE2ELNS1_3repE0EEENS1_30default_config_static_selectorELNS0_4arch9wavefront6targetE1EEEvSP_
		.amdhsa_group_segment_fixed_size 0
		.amdhsa_private_segment_fixed_size 0
		.amdhsa_kernarg_size 56
		.amdhsa_user_sgpr_count 6
		.amdhsa_user_sgpr_private_segment_buffer 1
		.amdhsa_user_sgpr_dispatch_ptr 0
		.amdhsa_user_sgpr_queue_ptr 0
		.amdhsa_user_sgpr_kernarg_segment_ptr 1
		.amdhsa_user_sgpr_dispatch_id 0
		.amdhsa_user_sgpr_flat_scratch_init 0
		.amdhsa_user_sgpr_kernarg_preload_length 0
		.amdhsa_user_sgpr_kernarg_preload_offset 0
		.amdhsa_user_sgpr_private_segment_size 0
		.amdhsa_uses_dynamic_stack 0
		.amdhsa_system_sgpr_private_segment_wavefront_offset 0
		.amdhsa_system_sgpr_workgroup_id_x 1
		.amdhsa_system_sgpr_workgroup_id_y 0
		.amdhsa_system_sgpr_workgroup_id_z 0
		.amdhsa_system_sgpr_workgroup_info 0
		.amdhsa_system_vgpr_workitem_id 0
		.amdhsa_next_free_vgpr 1
		.amdhsa_next_free_sgpr 0
		.amdhsa_accum_offset 4
		.amdhsa_reserve_vcc 0
		.amdhsa_reserve_flat_scratch 0
		.amdhsa_float_round_mode_32 0
		.amdhsa_float_round_mode_16_64 0
		.amdhsa_float_denorm_mode_32 3
		.amdhsa_float_denorm_mode_16_64 3
		.amdhsa_dx10_clamp 1
		.amdhsa_ieee_mode 1
		.amdhsa_fp16_overflow 0
		.amdhsa_tg_split 0
		.amdhsa_exception_fp_ieee_invalid_op 0
		.amdhsa_exception_fp_denorm_src 0
		.amdhsa_exception_fp_ieee_div_zero 0
		.amdhsa_exception_fp_ieee_overflow 0
		.amdhsa_exception_fp_ieee_underflow 0
		.amdhsa_exception_fp_ieee_inexact 0
		.amdhsa_exception_int_div_zero 0
	.end_amdhsa_kernel
	.section	.text._ZN7rocprim17ROCPRIM_400000_NS6detail17trampoline_kernelINS0_14default_configENS1_29binary_search_config_selectorIdiEEZNS1_14transform_implILb0ES3_S5_N6thrust23THRUST_200600_302600_NS6detail15normal_iteratorINS8_10device_ptrIdEEEENSA_INSB_IiEEEEZNS1_13binary_searchIS3_S5_SD_SD_SF_NS1_16binary_search_opENS9_16wrapped_functionINS0_4lessIvEEbEEEE10hipError_tPvRmT1_T2_T3_mmT4_T5_P12ihipStream_tbEUlRKdE_EESM_SQ_SR_mSS_SV_bEUlT_E_NS1_11comp_targetILNS1_3genE8ELNS1_11target_archE1030ELNS1_3gpuE2ELNS1_3repE0EEENS1_30default_config_static_selectorELNS0_4arch9wavefront6targetE1EEEvSP_,"axG",@progbits,_ZN7rocprim17ROCPRIM_400000_NS6detail17trampoline_kernelINS0_14default_configENS1_29binary_search_config_selectorIdiEEZNS1_14transform_implILb0ES3_S5_N6thrust23THRUST_200600_302600_NS6detail15normal_iteratorINS8_10device_ptrIdEEEENSA_INSB_IiEEEEZNS1_13binary_searchIS3_S5_SD_SD_SF_NS1_16binary_search_opENS9_16wrapped_functionINS0_4lessIvEEbEEEE10hipError_tPvRmT1_T2_T3_mmT4_T5_P12ihipStream_tbEUlRKdE_EESM_SQ_SR_mSS_SV_bEUlT_E_NS1_11comp_targetILNS1_3genE8ELNS1_11target_archE1030ELNS1_3gpuE2ELNS1_3repE0EEENS1_30default_config_static_selectorELNS0_4arch9wavefront6targetE1EEEvSP_,comdat
.Lfunc_end419:
	.size	_ZN7rocprim17ROCPRIM_400000_NS6detail17trampoline_kernelINS0_14default_configENS1_29binary_search_config_selectorIdiEEZNS1_14transform_implILb0ES3_S5_N6thrust23THRUST_200600_302600_NS6detail15normal_iteratorINS8_10device_ptrIdEEEENSA_INSB_IiEEEEZNS1_13binary_searchIS3_S5_SD_SD_SF_NS1_16binary_search_opENS9_16wrapped_functionINS0_4lessIvEEbEEEE10hipError_tPvRmT1_T2_T3_mmT4_T5_P12ihipStream_tbEUlRKdE_EESM_SQ_SR_mSS_SV_bEUlT_E_NS1_11comp_targetILNS1_3genE8ELNS1_11target_archE1030ELNS1_3gpuE2ELNS1_3repE0EEENS1_30default_config_static_selectorELNS0_4arch9wavefront6targetE1EEEvSP_, .Lfunc_end419-_ZN7rocprim17ROCPRIM_400000_NS6detail17trampoline_kernelINS0_14default_configENS1_29binary_search_config_selectorIdiEEZNS1_14transform_implILb0ES3_S5_N6thrust23THRUST_200600_302600_NS6detail15normal_iteratorINS8_10device_ptrIdEEEENSA_INSB_IiEEEEZNS1_13binary_searchIS3_S5_SD_SD_SF_NS1_16binary_search_opENS9_16wrapped_functionINS0_4lessIvEEbEEEE10hipError_tPvRmT1_T2_T3_mmT4_T5_P12ihipStream_tbEUlRKdE_EESM_SQ_SR_mSS_SV_bEUlT_E_NS1_11comp_targetILNS1_3genE8ELNS1_11target_archE1030ELNS1_3gpuE2ELNS1_3repE0EEENS1_30default_config_static_selectorELNS0_4arch9wavefront6targetE1EEEvSP_
                                        ; -- End function
	.section	.AMDGPU.csdata,"",@progbits
; Kernel info:
; codeLenInByte = 0
; NumSgprs: 4
; NumVgprs: 0
; NumAgprs: 0
; TotalNumVgprs: 0
; ScratchSize: 0
; MemoryBound: 0
; FloatMode: 240
; IeeeMode: 1
; LDSByteSize: 0 bytes/workgroup (compile time only)
; SGPRBlocks: 0
; VGPRBlocks: 0
; NumSGPRsForWavesPerEU: 4
; NumVGPRsForWavesPerEU: 1
; AccumOffset: 4
; Occupancy: 8
; WaveLimiterHint : 0
; COMPUTE_PGM_RSRC2:SCRATCH_EN: 0
; COMPUTE_PGM_RSRC2:USER_SGPR: 6
; COMPUTE_PGM_RSRC2:TRAP_HANDLER: 0
; COMPUTE_PGM_RSRC2:TGID_X_EN: 1
; COMPUTE_PGM_RSRC2:TGID_Y_EN: 0
; COMPUTE_PGM_RSRC2:TGID_Z_EN: 0
; COMPUTE_PGM_RSRC2:TIDIG_COMP_CNT: 0
; COMPUTE_PGM_RSRC3_GFX90A:ACCUM_OFFSET: 0
; COMPUTE_PGM_RSRC3_GFX90A:TG_SPLIT: 0
	.section	.text._ZN7rocprim17ROCPRIM_400000_NS6detail17trampoline_kernelINS0_14default_configENS1_29binary_search_config_selectorIfbEEZNS1_14transform_implILb0ES3_S5_N6thrust23THRUST_200600_302600_NS6detail15normal_iteratorINS8_10device_ptrIfEEEENSA_INSB_IbEEEEZNS1_13binary_searchIS3_S5_SD_SD_SF_NS1_16binary_search_opENS9_16wrapped_functionINS0_4lessIvEEbEEEE10hipError_tPvRmT1_T2_T3_mmT4_T5_P12ihipStream_tbEUlRKfE_EESM_SQ_SR_mSS_SV_bEUlT_E_NS1_11comp_targetILNS1_3genE0ELNS1_11target_archE4294967295ELNS1_3gpuE0ELNS1_3repE0EEENS1_30default_config_static_selectorELNS0_4arch9wavefront6targetE1EEEvSP_,"axG",@progbits,_ZN7rocprim17ROCPRIM_400000_NS6detail17trampoline_kernelINS0_14default_configENS1_29binary_search_config_selectorIfbEEZNS1_14transform_implILb0ES3_S5_N6thrust23THRUST_200600_302600_NS6detail15normal_iteratorINS8_10device_ptrIfEEEENSA_INSB_IbEEEEZNS1_13binary_searchIS3_S5_SD_SD_SF_NS1_16binary_search_opENS9_16wrapped_functionINS0_4lessIvEEbEEEE10hipError_tPvRmT1_T2_T3_mmT4_T5_P12ihipStream_tbEUlRKfE_EESM_SQ_SR_mSS_SV_bEUlT_E_NS1_11comp_targetILNS1_3genE0ELNS1_11target_archE4294967295ELNS1_3gpuE0ELNS1_3repE0EEENS1_30default_config_static_selectorELNS0_4arch9wavefront6targetE1EEEvSP_,comdat
	.protected	_ZN7rocprim17ROCPRIM_400000_NS6detail17trampoline_kernelINS0_14default_configENS1_29binary_search_config_selectorIfbEEZNS1_14transform_implILb0ES3_S5_N6thrust23THRUST_200600_302600_NS6detail15normal_iteratorINS8_10device_ptrIfEEEENSA_INSB_IbEEEEZNS1_13binary_searchIS3_S5_SD_SD_SF_NS1_16binary_search_opENS9_16wrapped_functionINS0_4lessIvEEbEEEE10hipError_tPvRmT1_T2_T3_mmT4_T5_P12ihipStream_tbEUlRKfE_EESM_SQ_SR_mSS_SV_bEUlT_E_NS1_11comp_targetILNS1_3genE0ELNS1_11target_archE4294967295ELNS1_3gpuE0ELNS1_3repE0EEENS1_30default_config_static_selectorELNS0_4arch9wavefront6targetE1EEEvSP_ ; -- Begin function _ZN7rocprim17ROCPRIM_400000_NS6detail17trampoline_kernelINS0_14default_configENS1_29binary_search_config_selectorIfbEEZNS1_14transform_implILb0ES3_S5_N6thrust23THRUST_200600_302600_NS6detail15normal_iteratorINS8_10device_ptrIfEEEENSA_INSB_IbEEEEZNS1_13binary_searchIS3_S5_SD_SD_SF_NS1_16binary_search_opENS9_16wrapped_functionINS0_4lessIvEEbEEEE10hipError_tPvRmT1_T2_T3_mmT4_T5_P12ihipStream_tbEUlRKfE_EESM_SQ_SR_mSS_SV_bEUlT_E_NS1_11comp_targetILNS1_3genE0ELNS1_11target_archE4294967295ELNS1_3gpuE0ELNS1_3repE0EEENS1_30default_config_static_selectorELNS0_4arch9wavefront6targetE1EEEvSP_
	.globl	_ZN7rocprim17ROCPRIM_400000_NS6detail17trampoline_kernelINS0_14default_configENS1_29binary_search_config_selectorIfbEEZNS1_14transform_implILb0ES3_S5_N6thrust23THRUST_200600_302600_NS6detail15normal_iteratorINS8_10device_ptrIfEEEENSA_INSB_IbEEEEZNS1_13binary_searchIS3_S5_SD_SD_SF_NS1_16binary_search_opENS9_16wrapped_functionINS0_4lessIvEEbEEEE10hipError_tPvRmT1_T2_T3_mmT4_T5_P12ihipStream_tbEUlRKfE_EESM_SQ_SR_mSS_SV_bEUlT_E_NS1_11comp_targetILNS1_3genE0ELNS1_11target_archE4294967295ELNS1_3gpuE0ELNS1_3repE0EEENS1_30default_config_static_selectorELNS0_4arch9wavefront6targetE1EEEvSP_
	.p2align	8
	.type	_ZN7rocprim17ROCPRIM_400000_NS6detail17trampoline_kernelINS0_14default_configENS1_29binary_search_config_selectorIfbEEZNS1_14transform_implILb0ES3_S5_N6thrust23THRUST_200600_302600_NS6detail15normal_iteratorINS8_10device_ptrIfEEEENSA_INSB_IbEEEEZNS1_13binary_searchIS3_S5_SD_SD_SF_NS1_16binary_search_opENS9_16wrapped_functionINS0_4lessIvEEbEEEE10hipError_tPvRmT1_T2_T3_mmT4_T5_P12ihipStream_tbEUlRKfE_EESM_SQ_SR_mSS_SV_bEUlT_E_NS1_11comp_targetILNS1_3genE0ELNS1_11target_archE4294967295ELNS1_3gpuE0ELNS1_3repE0EEENS1_30default_config_static_selectorELNS0_4arch9wavefront6targetE1EEEvSP_,@function
_ZN7rocprim17ROCPRIM_400000_NS6detail17trampoline_kernelINS0_14default_configENS1_29binary_search_config_selectorIfbEEZNS1_14transform_implILb0ES3_S5_N6thrust23THRUST_200600_302600_NS6detail15normal_iteratorINS8_10device_ptrIfEEEENSA_INSB_IbEEEEZNS1_13binary_searchIS3_S5_SD_SD_SF_NS1_16binary_search_opENS9_16wrapped_functionINS0_4lessIvEEbEEEE10hipError_tPvRmT1_T2_T3_mmT4_T5_P12ihipStream_tbEUlRKfE_EESM_SQ_SR_mSS_SV_bEUlT_E_NS1_11comp_targetILNS1_3genE0ELNS1_11target_archE4294967295ELNS1_3gpuE0ELNS1_3repE0EEENS1_30default_config_static_selectorELNS0_4arch9wavefront6targetE1EEEvSP_: ; @_ZN7rocprim17ROCPRIM_400000_NS6detail17trampoline_kernelINS0_14default_configENS1_29binary_search_config_selectorIfbEEZNS1_14transform_implILb0ES3_S5_N6thrust23THRUST_200600_302600_NS6detail15normal_iteratorINS8_10device_ptrIfEEEENSA_INSB_IbEEEEZNS1_13binary_searchIS3_S5_SD_SD_SF_NS1_16binary_search_opENS9_16wrapped_functionINS0_4lessIvEEbEEEE10hipError_tPvRmT1_T2_T3_mmT4_T5_P12ihipStream_tbEUlRKfE_EESM_SQ_SR_mSS_SV_bEUlT_E_NS1_11comp_targetILNS1_3genE0ELNS1_11target_archE4294967295ELNS1_3gpuE0ELNS1_3repE0EEENS1_30default_config_static_selectorELNS0_4arch9wavefront6targetE1EEEvSP_
; %bb.0:
	.section	.rodata,"a",@progbits
	.p2align	6, 0x0
	.amdhsa_kernel _ZN7rocprim17ROCPRIM_400000_NS6detail17trampoline_kernelINS0_14default_configENS1_29binary_search_config_selectorIfbEEZNS1_14transform_implILb0ES3_S5_N6thrust23THRUST_200600_302600_NS6detail15normal_iteratorINS8_10device_ptrIfEEEENSA_INSB_IbEEEEZNS1_13binary_searchIS3_S5_SD_SD_SF_NS1_16binary_search_opENS9_16wrapped_functionINS0_4lessIvEEbEEEE10hipError_tPvRmT1_T2_T3_mmT4_T5_P12ihipStream_tbEUlRKfE_EESM_SQ_SR_mSS_SV_bEUlT_E_NS1_11comp_targetILNS1_3genE0ELNS1_11target_archE4294967295ELNS1_3gpuE0ELNS1_3repE0EEENS1_30default_config_static_selectorELNS0_4arch9wavefront6targetE1EEEvSP_
		.amdhsa_group_segment_fixed_size 0
		.amdhsa_private_segment_fixed_size 0
		.amdhsa_kernarg_size 56
		.amdhsa_user_sgpr_count 6
		.amdhsa_user_sgpr_private_segment_buffer 1
		.amdhsa_user_sgpr_dispatch_ptr 0
		.amdhsa_user_sgpr_queue_ptr 0
		.amdhsa_user_sgpr_kernarg_segment_ptr 1
		.amdhsa_user_sgpr_dispatch_id 0
		.amdhsa_user_sgpr_flat_scratch_init 0
		.amdhsa_user_sgpr_kernarg_preload_length 0
		.amdhsa_user_sgpr_kernarg_preload_offset 0
		.amdhsa_user_sgpr_private_segment_size 0
		.amdhsa_uses_dynamic_stack 0
		.amdhsa_system_sgpr_private_segment_wavefront_offset 0
		.amdhsa_system_sgpr_workgroup_id_x 1
		.amdhsa_system_sgpr_workgroup_id_y 0
		.amdhsa_system_sgpr_workgroup_id_z 0
		.amdhsa_system_sgpr_workgroup_info 0
		.amdhsa_system_vgpr_workitem_id 0
		.amdhsa_next_free_vgpr 1
		.amdhsa_next_free_sgpr 0
		.amdhsa_accum_offset 4
		.amdhsa_reserve_vcc 0
		.amdhsa_reserve_flat_scratch 0
		.amdhsa_float_round_mode_32 0
		.amdhsa_float_round_mode_16_64 0
		.amdhsa_float_denorm_mode_32 3
		.amdhsa_float_denorm_mode_16_64 3
		.amdhsa_dx10_clamp 1
		.amdhsa_ieee_mode 1
		.amdhsa_fp16_overflow 0
		.amdhsa_tg_split 0
		.amdhsa_exception_fp_ieee_invalid_op 0
		.amdhsa_exception_fp_denorm_src 0
		.amdhsa_exception_fp_ieee_div_zero 0
		.amdhsa_exception_fp_ieee_overflow 0
		.amdhsa_exception_fp_ieee_underflow 0
		.amdhsa_exception_fp_ieee_inexact 0
		.amdhsa_exception_int_div_zero 0
	.end_amdhsa_kernel
	.section	.text._ZN7rocprim17ROCPRIM_400000_NS6detail17trampoline_kernelINS0_14default_configENS1_29binary_search_config_selectorIfbEEZNS1_14transform_implILb0ES3_S5_N6thrust23THRUST_200600_302600_NS6detail15normal_iteratorINS8_10device_ptrIfEEEENSA_INSB_IbEEEEZNS1_13binary_searchIS3_S5_SD_SD_SF_NS1_16binary_search_opENS9_16wrapped_functionINS0_4lessIvEEbEEEE10hipError_tPvRmT1_T2_T3_mmT4_T5_P12ihipStream_tbEUlRKfE_EESM_SQ_SR_mSS_SV_bEUlT_E_NS1_11comp_targetILNS1_3genE0ELNS1_11target_archE4294967295ELNS1_3gpuE0ELNS1_3repE0EEENS1_30default_config_static_selectorELNS0_4arch9wavefront6targetE1EEEvSP_,"axG",@progbits,_ZN7rocprim17ROCPRIM_400000_NS6detail17trampoline_kernelINS0_14default_configENS1_29binary_search_config_selectorIfbEEZNS1_14transform_implILb0ES3_S5_N6thrust23THRUST_200600_302600_NS6detail15normal_iteratorINS8_10device_ptrIfEEEENSA_INSB_IbEEEEZNS1_13binary_searchIS3_S5_SD_SD_SF_NS1_16binary_search_opENS9_16wrapped_functionINS0_4lessIvEEbEEEE10hipError_tPvRmT1_T2_T3_mmT4_T5_P12ihipStream_tbEUlRKfE_EESM_SQ_SR_mSS_SV_bEUlT_E_NS1_11comp_targetILNS1_3genE0ELNS1_11target_archE4294967295ELNS1_3gpuE0ELNS1_3repE0EEENS1_30default_config_static_selectorELNS0_4arch9wavefront6targetE1EEEvSP_,comdat
.Lfunc_end420:
	.size	_ZN7rocprim17ROCPRIM_400000_NS6detail17trampoline_kernelINS0_14default_configENS1_29binary_search_config_selectorIfbEEZNS1_14transform_implILb0ES3_S5_N6thrust23THRUST_200600_302600_NS6detail15normal_iteratorINS8_10device_ptrIfEEEENSA_INSB_IbEEEEZNS1_13binary_searchIS3_S5_SD_SD_SF_NS1_16binary_search_opENS9_16wrapped_functionINS0_4lessIvEEbEEEE10hipError_tPvRmT1_T2_T3_mmT4_T5_P12ihipStream_tbEUlRKfE_EESM_SQ_SR_mSS_SV_bEUlT_E_NS1_11comp_targetILNS1_3genE0ELNS1_11target_archE4294967295ELNS1_3gpuE0ELNS1_3repE0EEENS1_30default_config_static_selectorELNS0_4arch9wavefront6targetE1EEEvSP_, .Lfunc_end420-_ZN7rocprim17ROCPRIM_400000_NS6detail17trampoline_kernelINS0_14default_configENS1_29binary_search_config_selectorIfbEEZNS1_14transform_implILb0ES3_S5_N6thrust23THRUST_200600_302600_NS6detail15normal_iteratorINS8_10device_ptrIfEEEENSA_INSB_IbEEEEZNS1_13binary_searchIS3_S5_SD_SD_SF_NS1_16binary_search_opENS9_16wrapped_functionINS0_4lessIvEEbEEEE10hipError_tPvRmT1_T2_T3_mmT4_T5_P12ihipStream_tbEUlRKfE_EESM_SQ_SR_mSS_SV_bEUlT_E_NS1_11comp_targetILNS1_3genE0ELNS1_11target_archE4294967295ELNS1_3gpuE0ELNS1_3repE0EEENS1_30default_config_static_selectorELNS0_4arch9wavefront6targetE1EEEvSP_
                                        ; -- End function
	.section	.AMDGPU.csdata,"",@progbits
; Kernel info:
; codeLenInByte = 0
; NumSgprs: 4
; NumVgprs: 0
; NumAgprs: 0
; TotalNumVgprs: 0
; ScratchSize: 0
; MemoryBound: 0
; FloatMode: 240
; IeeeMode: 1
; LDSByteSize: 0 bytes/workgroup (compile time only)
; SGPRBlocks: 0
; VGPRBlocks: 0
; NumSGPRsForWavesPerEU: 4
; NumVGPRsForWavesPerEU: 1
; AccumOffset: 4
; Occupancy: 8
; WaveLimiterHint : 0
; COMPUTE_PGM_RSRC2:SCRATCH_EN: 0
; COMPUTE_PGM_RSRC2:USER_SGPR: 6
; COMPUTE_PGM_RSRC2:TRAP_HANDLER: 0
; COMPUTE_PGM_RSRC2:TGID_X_EN: 1
; COMPUTE_PGM_RSRC2:TGID_Y_EN: 0
; COMPUTE_PGM_RSRC2:TGID_Z_EN: 0
; COMPUTE_PGM_RSRC2:TIDIG_COMP_CNT: 0
; COMPUTE_PGM_RSRC3_GFX90A:ACCUM_OFFSET: 0
; COMPUTE_PGM_RSRC3_GFX90A:TG_SPLIT: 0
	.section	.text._ZN7rocprim17ROCPRIM_400000_NS6detail17trampoline_kernelINS0_14default_configENS1_29binary_search_config_selectorIfbEEZNS1_14transform_implILb0ES3_S5_N6thrust23THRUST_200600_302600_NS6detail15normal_iteratorINS8_10device_ptrIfEEEENSA_INSB_IbEEEEZNS1_13binary_searchIS3_S5_SD_SD_SF_NS1_16binary_search_opENS9_16wrapped_functionINS0_4lessIvEEbEEEE10hipError_tPvRmT1_T2_T3_mmT4_T5_P12ihipStream_tbEUlRKfE_EESM_SQ_SR_mSS_SV_bEUlT_E_NS1_11comp_targetILNS1_3genE5ELNS1_11target_archE942ELNS1_3gpuE9ELNS1_3repE0EEENS1_30default_config_static_selectorELNS0_4arch9wavefront6targetE1EEEvSP_,"axG",@progbits,_ZN7rocprim17ROCPRIM_400000_NS6detail17trampoline_kernelINS0_14default_configENS1_29binary_search_config_selectorIfbEEZNS1_14transform_implILb0ES3_S5_N6thrust23THRUST_200600_302600_NS6detail15normal_iteratorINS8_10device_ptrIfEEEENSA_INSB_IbEEEEZNS1_13binary_searchIS3_S5_SD_SD_SF_NS1_16binary_search_opENS9_16wrapped_functionINS0_4lessIvEEbEEEE10hipError_tPvRmT1_T2_T3_mmT4_T5_P12ihipStream_tbEUlRKfE_EESM_SQ_SR_mSS_SV_bEUlT_E_NS1_11comp_targetILNS1_3genE5ELNS1_11target_archE942ELNS1_3gpuE9ELNS1_3repE0EEENS1_30default_config_static_selectorELNS0_4arch9wavefront6targetE1EEEvSP_,comdat
	.protected	_ZN7rocprim17ROCPRIM_400000_NS6detail17trampoline_kernelINS0_14default_configENS1_29binary_search_config_selectorIfbEEZNS1_14transform_implILb0ES3_S5_N6thrust23THRUST_200600_302600_NS6detail15normal_iteratorINS8_10device_ptrIfEEEENSA_INSB_IbEEEEZNS1_13binary_searchIS3_S5_SD_SD_SF_NS1_16binary_search_opENS9_16wrapped_functionINS0_4lessIvEEbEEEE10hipError_tPvRmT1_T2_T3_mmT4_T5_P12ihipStream_tbEUlRKfE_EESM_SQ_SR_mSS_SV_bEUlT_E_NS1_11comp_targetILNS1_3genE5ELNS1_11target_archE942ELNS1_3gpuE9ELNS1_3repE0EEENS1_30default_config_static_selectorELNS0_4arch9wavefront6targetE1EEEvSP_ ; -- Begin function _ZN7rocprim17ROCPRIM_400000_NS6detail17trampoline_kernelINS0_14default_configENS1_29binary_search_config_selectorIfbEEZNS1_14transform_implILb0ES3_S5_N6thrust23THRUST_200600_302600_NS6detail15normal_iteratorINS8_10device_ptrIfEEEENSA_INSB_IbEEEEZNS1_13binary_searchIS3_S5_SD_SD_SF_NS1_16binary_search_opENS9_16wrapped_functionINS0_4lessIvEEbEEEE10hipError_tPvRmT1_T2_T3_mmT4_T5_P12ihipStream_tbEUlRKfE_EESM_SQ_SR_mSS_SV_bEUlT_E_NS1_11comp_targetILNS1_3genE5ELNS1_11target_archE942ELNS1_3gpuE9ELNS1_3repE0EEENS1_30default_config_static_selectorELNS0_4arch9wavefront6targetE1EEEvSP_
	.globl	_ZN7rocprim17ROCPRIM_400000_NS6detail17trampoline_kernelINS0_14default_configENS1_29binary_search_config_selectorIfbEEZNS1_14transform_implILb0ES3_S5_N6thrust23THRUST_200600_302600_NS6detail15normal_iteratorINS8_10device_ptrIfEEEENSA_INSB_IbEEEEZNS1_13binary_searchIS3_S5_SD_SD_SF_NS1_16binary_search_opENS9_16wrapped_functionINS0_4lessIvEEbEEEE10hipError_tPvRmT1_T2_T3_mmT4_T5_P12ihipStream_tbEUlRKfE_EESM_SQ_SR_mSS_SV_bEUlT_E_NS1_11comp_targetILNS1_3genE5ELNS1_11target_archE942ELNS1_3gpuE9ELNS1_3repE0EEENS1_30default_config_static_selectorELNS0_4arch9wavefront6targetE1EEEvSP_
	.p2align	8
	.type	_ZN7rocprim17ROCPRIM_400000_NS6detail17trampoline_kernelINS0_14default_configENS1_29binary_search_config_selectorIfbEEZNS1_14transform_implILb0ES3_S5_N6thrust23THRUST_200600_302600_NS6detail15normal_iteratorINS8_10device_ptrIfEEEENSA_INSB_IbEEEEZNS1_13binary_searchIS3_S5_SD_SD_SF_NS1_16binary_search_opENS9_16wrapped_functionINS0_4lessIvEEbEEEE10hipError_tPvRmT1_T2_T3_mmT4_T5_P12ihipStream_tbEUlRKfE_EESM_SQ_SR_mSS_SV_bEUlT_E_NS1_11comp_targetILNS1_3genE5ELNS1_11target_archE942ELNS1_3gpuE9ELNS1_3repE0EEENS1_30default_config_static_selectorELNS0_4arch9wavefront6targetE1EEEvSP_,@function
_ZN7rocprim17ROCPRIM_400000_NS6detail17trampoline_kernelINS0_14default_configENS1_29binary_search_config_selectorIfbEEZNS1_14transform_implILb0ES3_S5_N6thrust23THRUST_200600_302600_NS6detail15normal_iteratorINS8_10device_ptrIfEEEENSA_INSB_IbEEEEZNS1_13binary_searchIS3_S5_SD_SD_SF_NS1_16binary_search_opENS9_16wrapped_functionINS0_4lessIvEEbEEEE10hipError_tPvRmT1_T2_T3_mmT4_T5_P12ihipStream_tbEUlRKfE_EESM_SQ_SR_mSS_SV_bEUlT_E_NS1_11comp_targetILNS1_3genE5ELNS1_11target_archE942ELNS1_3gpuE9ELNS1_3repE0EEENS1_30default_config_static_selectorELNS0_4arch9wavefront6targetE1EEEvSP_: ; @_ZN7rocprim17ROCPRIM_400000_NS6detail17trampoline_kernelINS0_14default_configENS1_29binary_search_config_selectorIfbEEZNS1_14transform_implILb0ES3_S5_N6thrust23THRUST_200600_302600_NS6detail15normal_iteratorINS8_10device_ptrIfEEEENSA_INSB_IbEEEEZNS1_13binary_searchIS3_S5_SD_SD_SF_NS1_16binary_search_opENS9_16wrapped_functionINS0_4lessIvEEbEEEE10hipError_tPvRmT1_T2_T3_mmT4_T5_P12ihipStream_tbEUlRKfE_EESM_SQ_SR_mSS_SV_bEUlT_E_NS1_11comp_targetILNS1_3genE5ELNS1_11target_archE942ELNS1_3gpuE9ELNS1_3repE0EEENS1_30default_config_static_selectorELNS0_4arch9wavefront6targetE1EEEvSP_
; %bb.0:
	.section	.rodata,"a",@progbits
	.p2align	6, 0x0
	.amdhsa_kernel _ZN7rocprim17ROCPRIM_400000_NS6detail17trampoline_kernelINS0_14default_configENS1_29binary_search_config_selectorIfbEEZNS1_14transform_implILb0ES3_S5_N6thrust23THRUST_200600_302600_NS6detail15normal_iteratorINS8_10device_ptrIfEEEENSA_INSB_IbEEEEZNS1_13binary_searchIS3_S5_SD_SD_SF_NS1_16binary_search_opENS9_16wrapped_functionINS0_4lessIvEEbEEEE10hipError_tPvRmT1_T2_T3_mmT4_T5_P12ihipStream_tbEUlRKfE_EESM_SQ_SR_mSS_SV_bEUlT_E_NS1_11comp_targetILNS1_3genE5ELNS1_11target_archE942ELNS1_3gpuE9ELNS1_3repE0EEENS1_30default_config_static_selectorELNS0_4arch9wavefront6targetE1EEEvSP_
		.amdhsa_group_segment_fixed_size 0
		.amdhsa_private_segment_fixed_size 0
		.amdhsa_kernarg_size 56
		.amdhsa_user_sgpr_count 6
		.amdhsa_user_sgpr_private_segment_buffer 1
		.amdhsa_user_sgpr_dispatch_ptr 0
		.amdhsa_user_sgpr_queue_ptr 0
		.amdhsa_user_sgpr_kernarg_segment_ptr 1
		.amdhsa_user_sgpr_dispatch_id 0
		.amdhsa_user_sgpr_flat_scratch_init 0
		.amdhsa_user_sgpr_kernarg_preload_length 0
		.amdhsa_user_sgpr_kernarg_preload_offset 0
		.amdhsa_user_sgpr_private_segment_size 0
		.amdhsa_uses_dynamic_stack 0
		.amdhsa_system_sgpr_private_segment_wavefront_offset 0
		.amdhsa_system_sgpr_workgroup_id_x 1
		.amdhsa_system_sgpr_workgroup_id_y 0
		.amdhsa_system_sgpr_workgroup_id_z 0
		.amdhsa_system_sgpr_workgroup_info 0
		.amdhsa_system_vgpr_workitem_id 0
		.amdhsa_next_free_vgpr 1
		.amdhsa_next_free_sgpr 0
		.amdhsa_accum_offset 4
		.amdhsa_reserve_vcc 0
		.amdhsa_reserve_flat_scratch 0
		.amdhsa_float_round_mode_32 0
		.amdhsa_float_round_mode_16_64 0
		.amdhsa_float_denorm_mode_32 3
		.amdhsa_float_denorm_mode_16_64 3
		.amdhsa_dx10_clamp 1
		.amdhsa_ieee_mode 1
		.amdhsa_fp16_overflow 0
		.amdhsa_tg_split 0
		.amdhsa_exception_fp_ieee_invalid_op 0
		.amdhsa_exception_fp_denorm_src 0
		.amdhsa_exception_fp_ieee_div_zero 0
		.amdhsa_exception_fp_ieee_overflow 0
		.amdhsa_exception_fp_ieee_underflow 0
		.amdhsa_exception_fp_ieee_inexact 0
		.amdhsa_exception_int_div_zero 0
	.end_amdhsa_kernel
	.section	.text._ZN7rocprim17ROCPRIM_400000_NS6detail17trampoline_kernelINS0_14default_configENS1_29binary_search_config_selectorIfbEEZNS1_14transform_implILb0ES3_S5_N6thrust23THRUST_200600_302600_NS6detail15normal_iteratorINS8_10device_ptrIfEEEENSA_INSB_IbEEEEZNS1_13binary_searchIS3_S5_SD_SD_SF_NS1_16binary_search_opENS9_16wrapped_functionINS0_4lessIvEEbEEEE10hipError_tPvRmT1_T2_T3_mmT4_T5_P12ihipStream_tbEUlRKfE_EESM_SQ_SR_mSS_SV_bEUlT_E_NS1_11comp_targetILNS1_3genE5ELNS1_11target_archE942ELNS1_3gpuE9ELNS1_3repE0EEENS1_30default_config_static_selectorELNS0_4arch9wavefront6targetE1EEEvSP_,"axG",@progbits,_ZN7rocprim17ROCPRIM_400000_NS6detail17trampoline_kernelINS0_14default_configENS1_29binary_search_config_selectorIfbEEZNS1_14transform_implILb0ES3_S5_N6thrust23THRUST_200600_302600_NS6detail15normal_iteratorINS8_10device_ptrIfEEEENSA_INSB_IbEEEEZNS1_13binary_searchIS3_S5_SD_SD_SF_NS1_16binary_search_opENS9_16wrapped_functionINS0_4lessIvEEbEEEE10hipError_tPvRmT1_T2_T3_mmT4_T5_P12ihipStream_tbEUlRKfE_EESM_SQ_SR_mSS_SV_bEUlT_E_NS1_11comp_targetILNS1_3genE5ELNS1_11target_archE942ELNS1_3gpuE9ELNS1_3repE0EEENS1_30default_config_static_selectorELNS0_4arch9wavefront6targetE1EEEvSP_,comdat
.Lfunc_end421:
	.size	_ZN7rocprim17ROCPRIM_400000_NS6detail17trampoline_kernelINS0_14default_configENS1_29binary_search_config_selectorIfbEEZNS1_14transform_implILb0ES3_S5_N6thrust23THRUST_200600_302600_NS6detail15normal_iteratorINS8_10device_ptrIfEEEENSA_INSB_IbEEEEZNS1_13binary_searchIS3_S5_SD_SD_SF_NS1_16binary_search_opENS9_16wrapped_functionINS0_4lessIvEEbEEEE10hipError_tPvRmT1_T2_T3_mmT4_T5_P12ihipStream_tbEUlRKfE_EESM_SQ_SR_mSS_SV_bEUlT_E_NS1_11comp_targetILNS1_3genE5ELNS1_11target_archE942ELNS1_3gpuE9ELNS1_3repE0EEENS1_30default_config_static_selectorELNS0_4arch9wavefront6targetE1EEEvSP_, .Lfunc_end421-_ZN7rocprim17ROCPRIM_400000_NS6detail17trampoline_kernelINS0_14default_configENS1_29binary_search_config_selectorIfbEEZNS1_14transform_implILb0ES3_S5_N6thrust23THRUST_200600_302600_NS6detail15normal_iteratorINS8_10device_ptrIfEEEENSA_INSB_IbEEEEZNS1_13binary_searchIS3_S5_SD_SD_SF_NS1_16binary_search_opENS9_16wrapped_functionINS0_4lessIvEEbEEEE10hipError_tPvRmT1_T2_T3_mmT4_T5_P12ihipStream_tbEUlRKfE_EESM_SQ_SR_mSS_SV_bEUlT_E_NS1_11comp_targetILNS1_3genE5ELNS1_11target_archE942ELNS1_3gpuE9ELNS1_3repE0EEENS1_30default_config_static_selectorELNS0_4arch9wavefront6targetE1EEEvSP_
                                        ; -- End function
	.section	.AMDGPU.csdata,"",@progbits
; Kernel info:
; codeLenInByte = 0
; NumSgprs: 4
; NumVgprs: 0
; NumAgprs: 0
; TotalNumVgprs: 0
; ScratchSize: 0
; MemoryBound: 0
; FloatMode: 240
; IeeeMode: 1
; LDSByteSize: 0 bytes/workgroup (compile time only)
; SGPRBlocks: 0
; VGPRBlocks: 0
; NumSGPRsForWavesPerEU: 4
; NumVGPRsForWavesPerEU: 1
; AccumOffset: 4
; Occupancy: 8
; WaveLimiterHint : 0
; COMPUTE_PGM_RSRC2:SCRATCH_EN: 0
; COMPUTE_PGM_RSRC2:USER_SGPR: 6
; COMPUTE_PGM_RSRC2:TRAP_HANDLER: 0
; COMPUTE_PGM_RSRC2:TGID_X_EN: 1
; COMPUTE_PGM_RSRC2:TGID_Y_EN: 0
; COMPUTE_PGM_RSRC2:TGID_Z_EN: 0
; COMPUTE_PGM_RSRC2:TIDIG_COMP_CNT: 0
; COMPUTE_PGM_RSRC3_GFX90A:ACCUM_OFFSET: 0
; COMPUTE_PGM_RSRC3_GFX90A:TG_SPLIT: 0
	.section	.text._ZN7rocprim17ROCPRIM_400000_NS6detail17trampoline_kernelINS0_14default_configENS1_29binary_search_config_selectorIfbEEZNS1_14transform_implILb0ES3_S5_N6thrust23THRUST_200600_302600_NS6detail15normal_iteratorINS8_10device_ptrIfEEEENSA_INSB_IbEEEEZNS1_13binary_searchIS3_S5_SD_SD_SF_NS1_16binary_search_opENS9_16wrapped_functionINS0_4lessIvEEbEEEE10hipError_tPvRmT1_T2_T3_mmT4_T5_P12ihipStream_tbEUlRKfE_EESM_SQ_SR_mSS_SV_bEUlT_E_NS1_11comp_targetILNS1_3genE4ELNS1_11target_archE910ELNS1_3gpuE8ELNS1_3repE0EEENS1_30default_config_static_selectorELNS0_4arch9wavefront6targetE1EEEvSP_,"axG",@progbits,_ZN7rocprim17ROCPRIM_400000_NS6detail17trampoline_kernelINS0_14default_configENS1_29binary_search_config_selectorIfbEEZNS1_14transform_implILb0ES3_S5_N6thrust23THRUST_200600_302600_NS6detail15normal_iteratorINS8_10device_ptrIfEEEENSA_INSB_IbEEEEZNS1_13binary_searchIS3_S5_SD_SD_SF_NS1_16binary_search_opENS9_16wrapped_functionINS0_4lessIvEEbEEEE10hipError_tPvRmT1_T2_T3_mmT4_T5_P12ihipStream_tbEUlRKfE_EESM_SQ_SR_mSS_SV_bEUlT_E_NS1_11comp_targetILNS1_3genE4ELNS1_11target_archE910ELNS1_3gpuE8ELNS1_3repE0EEENS1_30default_config_static_selectorELNS0_4arch9wavefront6targetE1EEEvSP_,comdat
	.protected	_ZN7rocprim17ROCPRIM_400000_NS6detail17trampoline_kernelINS0_14default_configENS1_29binary_search_config_selectorIfbEEZNS1_14transform_implILb0ES3_S5_N6thrust23THRUST_200600_302600_NS6detail15normal_iteratorINS8_10device_ptrIfEEEENSA_INSB_IbEEEEZNS1_13binary_searchIS3_S5_SD_SD_SF_NS1_16binary_search_opENS9_16wrapped_functionINS0_4lessIvEEbEEEE10hipError_tPvRmT1_T2_T3_mmT4_T5_P12ihipStream_tbEUlRKfE_EESM_SQ_SR_mSS_SV_bEUlT_E_NS1_11comp_targetILNS1_3genE4ELNS1_11target_archE910ELNS1_3gpuE8ELNS1_3repE0EEENS1_30default_config_static_selectorELNS0_4arch9wavefront6targetE1EEEvSP_ ; -- Begin function _ZN7rocprim17ROCPRIM_400000_NS6detail17trampoline_kernelINS0_14default_configENS1_29binary_search_config_selectorIfbEEZNS1_14transform_implILb0ES3_S5_N6thrust23THRUST_200600_302600_NS6detail15normal_iteratorINS8_10device_ptrIfEEEENSA_INSB_IbEEEEZNS1_13binary_searchIS3_S5_SD_SD_SF_NS1_16binary_search_opENS9_16wrapped_functionINS0_4lessIvEEbEEEE10hipError_tPvRmT1_T2_T3_mmT4_T5_P12ihipStream_tbEUlRKfE_EESM_SQ_SR_mSS_SV_bEUlT_E_NS1_11comp_targetILNS1_3genE4ELNS1_11target_archE910ELNS1_3gpuE8ELNS1_3repE0EEENS1_30default_config_static_selectorELNS0_4arch9wavefront6targetE1EEEvSP_
	.globl	_ZN7rocprim17ROCPRIM_400000_NS6detail17trampoline_kernelINS0_14default_configENS1_29binary_search_config_selectorIfbEEZNS1_14transform_implILb0ES3_S5_N6thrust23THRUST_200600_302600_NS6detail15normal_iteratorINS8_10device_ptrIfEEEENSA_INSB_IbEEEEZNS1_13binary_searchIS3_S5_SD_SD_SF_NS1_16binary_search_opENS9_16wrapped_functionINS0_4lessIvEEbEEEE10hipError_tPvRmT1_T2_T3_mmT4_T5_P12ihipStream_tbEUlRKfE_EESM_SQ_SR_mSS_SV_bEUlT_E_NS1_11comp_targetILNS1_3genE4ELNS1_11target_archE910ELNS1_3gpuE8ELNS1_3repE0EEENS1_30default_config_static_selectorELNS0_4arch9wavefront6targetE1EEEvSP_
	.p2align	8
	.type	_ZN7rocprim17ROCPRIM_400000_NS6detail17trampoline_kernelINS0_14default_configENS1_29binary_search_config_selectorIfbEEZNS1_14transform_implILb0ES3_S5_N6thrust23THRUST_200600_302600_NS6detail15normal_iteratorINS8_10device_ptrIfEEEENSA_INSB_IbEEEEZNS1_13binary_searchIS3_S5_SD_SD_SF_NS1_16binary_search_opENS9_16wrapped_functionINS0_4lessIvEEbEEEE10hipError_tPvRmT1_T2_T3_mmT4_T5_P12ihipStream_tbEUlRKfE_EESM_SQ_SR_mSS_SV_bEUlT_E_NS1_11comp_targetILNS1_3genE4ELNS1_11target_archE910ELNS1_3gpuE8ELNS1_3repE0EEENS1_30default_config_static_selectorELNS0_4arch9wavefront6targetE1EEEvSP_,@function
_ZN7rocprim17ROCPRIM_400000_NS6detail17trampoline_kernelINS0_14default_configENS1_29binary_search_config_selectorIfbEEZNS1_14transform_implILb0ES3_S5_N6thrust23THRUST_200600_302600_NS6detail15normal_iteratorINS8_10device_ptrIfEEEENSA_INSB_IbEEEEZNS1_13binary_searchIS3_S5_SD_SD_SF_NS1_16binary_search_opENS9_16wrapped_functionINS0_4lessIvEEbEEEE10hipError_tPvRmT1_T2_T3_mmT4_T5_P12ihipStream_tbEUlRKfE_EESM_SQ_SR_mSS_SV_bEUlT_E_NS1_11comp_targetILNS1_3genE4ELNS1_11target_archE910ELNS1_3gpuE8ELNS1_3repE0EEENS1_30default_config_static_selectorELNS0_4arch9wavefront6targetE1EEEvSP_: ; @_ZN7rocprim17ROCPRIM_400000_NS6detail17trampoline_kernelINS0_14default_configENS1_29binary_search_config_selectorIfbEEZNS1_14transform_implILb0ES3_S5_N6thrust23THRUST_200600_302600_NS6detail15normal_iteratorINS8_10device_ptrIfEEEENSA_INSB_IbEEEEZNS1_13binary_searchIS3_S5_SD_SD_SF_NS1_16binary_search_opENS9_16wrapped_functionINS0_4lessIvEEbEEEE10hipError_tPvRmT1_T2_T3_mmT4_T5_P12ihipStream_tbEUlRKfE_EESM_SQ_SR_mSS_SV_bEUlT_E_NS1_11comp_targetILNS1_3genE4ELNS1_11target_archE910ELNS1_3gpuE8ELNS1_3repE0EEENS1_30default_config_static_selectorELNS0_4arch9wavefront6targetE1EEEvSP_
; %bb.0:
	s_load_dwordx4 s[12:15], s[4:5], 0x0
	s_load_dwordx4 s[0:3], s[4:5], 0x18
	s_load_dwordx2 s[10:11], s[4:5], 0x28
	s_load_dword s7, s[4:5], 0x38
	s_waitcnt lgkmcnt(0)
	s_lshl_b64 s[8:9], s[14:15], 2
	s_add_u32 s16, s12, s8
	s_addc_u32 s17, s13, s9
	s_add_u32 s14, s0, s14
	s_addc_u32 s15, s1, s15
	s_lshl_b32 s8, s6, 8
	s_add_i32 s7, s7, -1
	s_mov_b32 s9, 0
	s_cmp_lg_u32 s6, s7
	s_mov_b64 s[0:1], -1
	s_cbranch_scc0 .LBB422_8
; %bb.1:
	s_lshl_b64 s[0:1], s[8:9], 2
	s_add_u32 s0, s16, s0
	s_addc_u32 s1, s17, s1
	v_lshlrev_b32_e32 v1, 2, v0
	v_mov_b32_e32 v3, s1
	v_add_co_u32_e32 v2, vcc, s0, v1
	v_addc_co_u32_e32 v3, vcc, 0, v3, vcc
	flat_load_dword v1, v[2:3]
	s_mov_b64 s[0:1], 0
	s_cmp_eq_u64 s[10:11], 0
	v_pk_mov_b32 v[2:3], 0, 0
	s_cbranch_scc1 .LBB422_5
; %bb.2:
	v_pk_mov_b32 v[2:3], 0, 0
	v_pk_mov_b32 v[4:5], s[10:11], s[10:11] op_sel:[0,1]
	v_mov_b32_e32 v6, s3
.LBB422_3:                              ; =>This Inner Loop Header: Depth=1
	v_sub_co_u32_e32 v8, vcc, v4, v2
	v_subb_co_u32_e32 v9, vcc, v5, v3, vcc
	v_lshrrev_b64 v[10:11], 1, v[8:9]
	v_add_co_u32_e32 v7, vcc, v10, v2
	v_lshrrev_b64 v[8:9], 6, v[8:9]
	v_addc_co_u32_e32 v10, vcc, v11, v3, vcc
	v_add_co_u32_e32 v8, vcc, v7, v8
	v_addc_co_u32_e32 v9, vcc, v10, v9, vcc
	v_lshlrev_b64 v[10:11], 2, v[8:9]
	v_add_co_u32_e32 v10, vcc, s2, v10
	v_addc_co_u32_e32 v11, vcc, v6, v11, vcc
	global_load_dword v7, v[10:11], off
	v_add_co_u32_e32 v10, vcc, 1, v8
	v_addc_co_u32_e32 v11, vcc, 0, v9, vcc
	s_waitcnt vmcnt(0) lgkmcnt(0)
	v_cmp_lt_f32_e32 vcc, v7, v1
	v_cndmask_b32_e32 v5, v9, v5, vcc
	v_cndmask_b32_e32 v4, v8, v4, vcc
	;; [unrolled: 1-line block ×4, first 2 shown]
	v_cmp_ge_u64_e32 vcc, v[2:3], v[4:5]
	s_or_b64 s[0:1], vcc, s[0:1]
	s_andn2_b64 exec, exec, s[0:1]
	s_cbranch_execnz .LBB422_3
; %bb.4:
	s_or_b64 exec, exec, s[0:1]
.LBB422_5:
	v_cmp_ne_u64_e32 vcc, s[10:11], v[2:3]
	s_mov_b64 s[0:1], 0
	s_mov_b64 s[12:13], 0
	s_and_saveexec_b64 s[6:7], vcc
	s_cbranch_execz .LBB422_7
; %bb.6:
	v_lshlrev_b64 v[2:3], 2, v[2:3]
	v_mov_b32_e32 v4, s3
	v_add_co_u32_e32 v2, vcc, s2, v2
	v_addc_co_u32_e32 v3, vcc, v4, v3, vcc
	global_load_dword v2, v[2:3], off
	s_waitcnt vmcnt(0) lgkmcnt(0)
	v_cmp_ngt_f32_e32 vcc, v2, v1
	s_and_b64 s[12:13], vcc, exec
.LBB422_7:
	s_or_b64 exec, exec, s[6:7]
	s_add_u32 s6, s14, s8
	s_addc_u32 s7, s15, 0
	v_mov_b32_e32 v3, s7
	v_add_co_u32_e32 v2, vcc, s6, v0
	s_waitcnt vmcnt(0) lgkmcnt(0)
	v_cndmask_b32_e64 v1, 0, 1, s[12:13]
	v_addc_co_u32_e32 v3, vcc, 0, v3, vcc
	flat_store_byte v[2:3], v1
.LBB422_8:
	s_and_b64 vcc, exec, s[0:1]
	s_cbranch_vccz .LBB422_13
; %bb.9:
	s_load_dword s0, s[4:5], 0x10
                                        ; implicit-def: $vgpr1
	s_waitcnt lgkmcnt(0)
	s_sub_i32 s0, s0, s8
	v_cmp_gt_u32_e32 vcc, s0, v0
	s_and_saveexec_b64 s[4:5], vcc
	s_cbranch_execnz .LBB422_14
; %bb.10:
	s_or_b64 exec, exec, s[4:5]
                                        ; implicit-def: $vgpr2
	s_and_saveexec_b64 s[4:5], vcc
	s_cbranch_execnz .LBB422_15
.LBB422_11:
	s_or_b64 exec, exec, s[4:5]
	s_and_saveexec_b64 s[0:1], vcc
	s_cbranch_execz .LBB422_13
.LBB422_12:
	s_add_u32 s0, s14, s8
	s_addc_u32 s1, s15, 0
	s_waitcnt vmcnt(0) lgkmcnt(0)
	v_mov_b32_e32 v1, s1
	v_add_co_u32_e32 v0, vcc, s0, v0
	v_addc_co_u32_e32 v1, vcc, 0, v1, vcc
	flat_store_byte v[0:1], v2
.LBB422_13:
	s_endpgm
.LBB422_14:
	s_lshl_b64 s[0:1], s[8:9], 2
	s_add_u32 s0, s16, s0
	s_addc_u32 s1, s17, s1
	v_lshlrev_b32_e32 v1, 2, v0
	v_mov_b32_e32 v3, s1
	v_add_co_u32_e64 v2, s[0:1], s0, v1
	v_addc_co_u32_e64 v3, s[0:1], 0, v3, s[0:1]
	flat_load_dword v1, v[2:3]
	s_or_b64 exec, exec, s[4:5]
                                        ; implicit-def: $vgpr2
	s_and_saveexec_b64 s[4:5], vcc
	s_cbranch_execz .LBB422_11
.LBB422_15:
	s_mov_b64 s[6:7], 0
	s_cmp_eq_u64 s[10:11], 0
	v_pk_mov_b32 v[2:3], 0, 0
	s_cbranch_scc1 .LBB422_19
; %bb.16:
	v_pk_mov_b32 v[2:3], 0, 0
	v_pk_mov_b32 v[4:5], s[10:11], s[10:11] op_sel:[0,1]
	v_mov_b32_e32 v6, s3
.LBB422_17:                             ; =>This Inner Loop Header: Depth=1
	v_sub_co_u32_e64 v8, s[0:1], v4, v2
	v_subb_co_u32_e64 v9, s[0:1], v5, v3, s[0:1]
	v_lshrrev_b64 v[10:11], 1, v[8:9]
	v_add_co_u32_e64 v7, s[0:1], v10, v2
	v_lshrrev_b64 v[8:9], 6, v[8:9]
	v_addc_co_u32_e64 v10, s[0:1], v11, v3, s[0:1]
	v_add_co_u32_e64 v8, s[0:1], v7, v8
	v_addc_co_u32_e64 v9, s[0:1], v10, v9, s[0:1]
	v_lshlrev_b64 v[10:11], 2, v[8:9]
	v_add_co_u32_e64 v10, s[0:1], s2, v10
	v_addc_co_u32_e64 v11, s[0:1], v6, v11, s[0:1]
	global_load_dword v7, v[10:11], off
	v_add_co_u32_e64 v10, s[0:1], 1, v8
	v_addc_co_u32_e64 v11, s[0:1], 0, v9, s[0:1]
	s_waitcnt vmcnt(0) lgkmcnt(0)
	v_cmp_lt_f32_e64 s[0:1], v7, v1
	v_cndmask_b32_e64 v5, v9, v5, s[0:1]
	v_cndmask_b32_e64 v4, v8, v4, s[0:1]
	;; [unrolled: 1-line block ×4, first 2 shown]
	v_cmp_ge_u64_e64 s[0:1], v[2:3], v[4:5]
	s_or_b64 s[6:7], s[0:1], s[6:7]
	s_andn2_b64 exec, exec, s[6:7]
	s_cbranch_execnz .LBB422_17
; %bb.18:
	s_or_b64 exec, exec, s[6:7]
.LBB422_19:
	v_cmp_ne_u64_e64 s[0:1], s[10:11], v[2:3]
	s_mov_b64 s[10:11], 0
	s_and_saveexec_b64 s[6:7], s[0:1]
	s_cbranch_execz .LBB422_21
; %bb.20:
	v_lshlrev_b64 v[2:3], 2, v[2:3]
	v_mov_b32_e32 v4, s3
	v_add_co_u32_e64 v2, s[0:1], s2, v2
	v_addc_co_u32_e64 v3, s[0:1], v4, v3, s[0:1]
	global_load_dword v2, v[2:3], off
	s_waitcnt vmcnt(0) lgkmcnt(0)
	v_cmp_ngt_f32_e64 s[0:1], v2, v1
	s_and_b64 s[10:11], s[0:1], exec
.LBB422_21:
	s_or_b64 exec, exec, s[6:7]
	v_cndmask_b32_e64 v2, 0, 1, s[10:11]
	s_or_b64 exec, exec, s[4:5]
	s_and_saveexec_b64 s[0:1], vcc
	s_cbranch_execnz .LBB422_12
	s_branch .LBB422_13
	.section	.rodata,"a",@progbits
	.p2align	6, 0x0
	.amdhsa_kernel _ZN7rocprim17ROCPRIM_400000_NS6detail17trampoline_kernelINS0_14default_configENS1_29binary_search_config_selectorIfbEEZNS1_14transform_implILb0ES3_S5_N6thrust23THRUST_200600_302600_NS6detail15normal_iteratorINS8_10device_ptrIfEEEENSA_INSB_IbEEEEZNS1_13binary_searchIS3_S5_SD_SD_SF_NS1_16binary_search_opENS9_16wrapped_functionINS0_4lessIvEEbEEEE10hipError_tPvRmT1_T2_T3_mmT4_T5_P12ihipStream_tbEUlRKfE_EESM_SQ_SR_mSS_SV_bEUlT_E_NS1_11comp_targetILNS1_3genE4ELNS1_11target_archE910ELNS1_3gpuE8ELNS1_3repE0EEENS1_30default_config_static_selectorELNS0_4arch9wavefront6targetE1EEEvSP_
		.amdhsa_group_segment_fixed_size 0
		.amdhsa_private_segment_fixed_size 0
		.amdhsa_kernarg_size 312
		.amdhsa_user_sgpr_count 6
		.amdhsa_user_sgpr_private_segment_buffer 1
		.amdhsa_user_sgpr_dispatch_ptr 0
		.amdhsa_user_sgpr_queue_ptr 0
		.amdhsa_user_sgpr_kernarg_segment_ptr 1
		.amdhsa_user_sgpr_dispatch_id 0
		.amdhsa_user_sgpr_flat_scratch_init 0
		.amdhsa_user_sgpr_kernarg_preload_length 0
		.amdhsa_user_sgpr_kernarg_preload_offset 0
		.amdhsa_user_sgpr_private_segment_size 0
		.amdhsa_uses_dynamic_stack 0
		.amdhsa_system_sgpr_private_segment_wavefront_offset 0
		.amdhsa_system_sgpr_workgroup_id_x 1
		.amdhsa_system_sgpr_workgroup_id_y 0
		.amdhsa_system_sgpr_workgroup_id_z 0
		.amdhsa_system_sgpr_workgroup_info 0
		.amdhsa_system_vgpr_workitem_id 0
		.amdhsa_next_free_vgpr 12
		.amdhsa_next_free_sgpr 18
		.amdhsa_accum_offset 12
		.amdhsa_reserve_vcc 1
		.amdhsa_reserve_flat_scratch 0
		.amdhsa_float_round_mode_32 0
		.amdhsa_float_round_mode_16_64 0
		.amdhsa_float_denorm_mode_32 3
		.amdhsa_float_denorm_mode_16_64 3
		.amdhsa_dx10_clamp 1
		.amdhsa_ieee_mode 1
		.amdhsa_fp16_overflow 0
		.amdhsa_tg_split 0
		.amdhsa_exception_fp_ieee_invalid_op 0
		.amdhsa_exception_fp_denorm_src 0
		.amdhsa_exception_fp_ieee_div_zero 0
		.amdhsa_exception_fp_ieee_overflow 0
		.amdhsa_exception_fp_ieee_underflow 0
		.amdhsa_exception_fp_ieee_inexact 0
		.amdhsa_exception_int_div_zero 0
	.end_amdhsa_kernel
	.section	.text._ZN7rocprim17ROCPRIM_400000_NS6detail17trampoline_kernelINS0_14default_configENS1_29binary_search_config_selectorIfbEEZNS1_14transform_implILb0ES3_S5_N6thrust23THRUST_200600_302600_NS6detail15normal_iteratorINS8_10device_ptrIfEEEENSA_INSB_IbEEEEZNS1_13binary_searchIS3_S5_SD_SD_SF_NS1_16binary_search_opENS9_16wrapped_functionINS0_4lessIvEEbEEEE10hipError_tPvRmT1_T2_T3_mmT4_T5_P12ihipStream_tbEUlRKfE_EESM_SQ_SR_mSS_SV_bEUlT_E_NS1_11comp_targetILNS1_3genE4ELNS1_11target_archE910ELNS1_3gpuE8ELNS1_3repE0EEENS1_30default_config_static_selectorELNS0_4arch9wavefront6targetE1EEEvSP_,"axG",@progbits,_ZN7rocprim17ROCPRIM_400000_NS6detail17trampoline_kernelINS0_14default_configENS1_29binary_search_config_selectorIfbEEZNS1_14transform_implILb0ES3_S5_N6thrust23THRUST_200600_302600_NS6detail15normal_iteratorINS8_10device_ptrIfEEEENSA_INSB_IbEEEEZNS1_13binary_searchIS3_S5_SD_SD_SF_NS1_16binary_search_opENS9_16wrapped_functionINS0_4lessIvEEbEEEE10hipError_tPvRmT1_T2_T3_mmT4_T5_P12ihipStream_tbEUlRKfE_EESM_SQ_SR_mSS_SV_bEUlT_E_NS1_11comp_targetILNS1_3genE4ELNS1_11target_archE910ELNS1_3gpuE8ELNS1_3repE0EEENS1_30default_config_static_selectorELNS0_4arch9wavefront6targetE1EEEvSP_,comdat
.Lfunc_end422:
	.size	_ZN7rocprim17ROCPRIM_400000_NS6detail17trampoline_kernelINS0_14default_configENS1_29binary_search_config_selectorIfbEEZNS1_14transform_implILb0ES3_S5_N6thrust23THRUST_200600_302600_NS6detail15normal_iteratorINS8_10device_ptrIfEEEENSA_INSB_IbEEEEZNS1_13binary_searchIS3_S5_SD_SD_SF_NS1_16binary_search_opENS9_16wrapped_functionINS0_4lessIvEEbEEEE10hipError_tPvRmT1_T2_T3_mmT4_T5_P12ihipStream_tbEUlRKfE_EESM_SQ_SR_mSS_SV_bEUlT_E_NS1_11comp_targetILNS1_3genE4ELNS1_11target_archE910ELNS1_3gpuE8ELNS1_3repE0EEENS1_30default_config_static_selectorELNS0_4arch9wavefront6targetE1EEEvSP_, .Lfunc_end422-_ZN7rocprim17ROCPRIM_400000_NS6detail17trampoline_kernelINS0_14default_configENS1_29binary_search_config_selectorIfbEEZNS1_14transform_implILb0ES3_S5_N6thrust23THRUST_200600_302600_NS6detail15normal_iteratorINS8_10device_ptrIfEEEENSA_INSB_IbEEEEZNS1_13binary_searchIS3_S5_SD_SD_SF_NS1_16binary_search_opENS9_16wrapped_functionINS0_4lessIvEEbEEEE10hipError_tPvRmT1_T2_T3_mmT4_T5_P12ihipStream_tbEUlRKfE_EESM_SQ_SR_mSS_SV_bEUlT_E_NS1_11comp_targetILNS1_3genE4ELNS1_11target_archE910ELNS1_3gpuE8ELNS1_3repE0EEENS1_30default_config_static_selectorELNS0_4arch9wavefront6targetE1EEEvSP_
                                        ; -- End function
	.section	.AMDGPU.csdata,"",@progbits
; Kernel info:
; codeLenInByte = 848
; NumSgprs: 22
; NumVgprs: 12
; NumAgprs: 0
; TotalNumVgprs: 12
; ScratchSize: 0
; MemoryBound: 0
; FloatMode: 240
; IeeeMode: 1
; LDSByteSize: 0 bytes/workgroup (compile time only)
; SGPRBlocks: 2
; VGPRBlocks: 1
; NumSGPRsForWavesPerEU: 22
; NumVGPRsForWavesPerEU: 12
; AccumOffset: 12
; Occupancy: 8
; WaveLimiterHint : 0
; COMPUTE_PGM_RSRC2:SCRATCH_EN: 0
; COMPUTE_PGM_RSRC2:USER_SGPR: 6
; COMPUTE_PGM_RSRC2:TRAP_HANDLER: 0
; COMPUTE_PGM_RSRC2:TGID_X_EN: 1
; COMPUTE_PGM_RSRC2:TGID_Y_EN: 0
; COMPUTE_PGM_RSRC2:TGID_Z_EN: 0
; COMPUTE_PGM_RSRC2:TIDIG_COMP_CNT: 0
; COMPUTE_PGM_RSRC3_GFX90A:ACCUM_OFFSET: 2
; COMPUTE_PGM_RSRC3_GFX90A:TG_SPLIT: 0
	.section	.text._ZN7rocprim17ROCPRIM_400000_NS6detail17trampoline_kernelINS0_14default_configENS1_29binary_search_config_selectorIfbEEZNS1_14transform_implILb0ES3_S5_N6thrust23THRUST_200600_302600_NS6detail15normal_iteratorINS8_10device_ptrIfEEEENSA_INSB_IbEEEEZNS1_13binary_searchIS3_S5_SD_SD_SF_NS1_16binary_search_opENS9_16wrapped_functionINS0_4lessIvEEbEEEE10hipError_tPvRmT1_T2_T3_mmT4_T5_P12ihipStream_tbEUlRKfE_EESM_SQ_SR_mSS_SV_bEUlT_E_NS1_11comp_targetILNS1_3genE3ELNS1_11target_archE908ELNS1_3gpuE7ELNS1_3repE0EEENS1_30default_config_static_selectorELNS0_4arch9wavefront6targetE1EEEvSP_,"axG",@progbits,_ZN7rocprim17ROCPRIM_400000_NS6detail17trampoline_kernelINS0_14default_configENS1_29binary_search_config_selectorIfbEEZNS1_14transform_implILb0ES3_S5_N6thrust23THRUST_200600_302600_NS6detail15normal_iteratorINS8_10device_ptrIfEEEENSA_INSB_IbEEEEZNS1_13binary_searchIS3_S5_SD_SD_SF_NS1_16binary_search_opENS9_16wrapped_functionINS0_4lessIvEEbEEEE10hipError_tPvRmT1_T2_T3_mmT4_T5_P12ihipStream_tbEUlRKfE_EESM_SQ_SR_mSS_SV_bEUlT_E_NS1_11comp_targetILNS1_3genE3ELNS1_11target_archE908ELNS1_3gpuE7ELNS1_3repE0EEENS1_30default_config_static_selectorELNS0_4arch9wavefront6targetE1EEEvSP_,comdat
	.protected	_ZN7rocprim17ROCPRIM_400000_NS6detail17trampoline_kernelINS0_14default_configENS1_29binary_search_config_selectorIfbEEZNS1_14transform_implILb0ES3_S5_N6thrust23THRUST_200600_302600_NS6detail15normal_iteratorINS8_10device_ptrIfEEEENSA_INSB_IbEEEEZNS1_13binary_searchIS3_S5_SD_SD_SF_NS1_16binary_search_opENS9_16wrapped_functionINS0_4lessIvEEbEEEE10hipError_tPvRmT1_T2_T3_mmT4_T5_P12ihipStream_tbEUlRKfE_EESM_SQ_SR_mSS_SV_bEUlT_E_NS1_11comp_targetILNS1_3genE3ELNS1_11target_archE908ELNS1_3gpuE7ELNS1_3repE0EEENS1_30default_config_static_selectorELNS0_4arch9wavefront6targetE1EEEvSP_ ; -- Begin function _ZN7rocprim17ROCPRIM_400000_NS6detail17trampoline_kernelINS0_14default_configENS1_29binary_search_config_selectorIfbEEZNS1_14transform_implILb0ES3_S5_N6thrust23THRUST_200600_302600_NS6detail15normal_iteratorINS8_10device_ptrIfEEEENSA_INSB_IbEEEEZNS1_13binary_searchIS3_S5_SD_SD_SF_NS1_16binary_search_opENS9_16wrapped_functionINS0_4lessIvEEbEEEE10hipError_tPvRmT1_T2_T3_mmT4_T5_P12ihipStream_tbEUlRKfE_EESM_SQ_SR_mSS_SV_bEUlT_E_NS1_11comp_targetILNS1_3genE3ELNS1_11target_archE908ELNS1_3gpuE7ELNS1_3repE0EEENS1_30default_config_static_selectorELNS0_4arch9wavefront6targetE1EEEvSP_
	.globl	_ZN7rocprim17ROCPRIM_400000_NS6detail17trampoline_kernelINS0_14default_configENS1_29binary_search_config_selectorIfbEEZNS1_14transform_implILb0ES3_S5_N6thrust23THRUST_200600_302600_NS6detail15normal_iteratorINS8_10device_ptrIfEEEENSA_INSB_IbEEEEZNS1_13binary_searchIS3_S5_SD_SD_SF_NS1_16binary_search_opENS9_16wrapped_functionINS0_4lessIvEEbEEEE10hipError_tPvRmT1_T2_T3_mmT4_T5_P12ihipStream_tbEUlRKfE_EESM_SQ_SR_mSS_SV_bEUlT_E_NS1_11comp_targetILNS1_3genE3ELNS1_11target_archE908ELNS1_3gpuE7ELNS1_3repE0EEENS1_30default_config_static_selectorELNS0_4arch9wavefront6targetE1EEEvSP_
	.p2align	8
	.type	_ZN7rocprim17ROCPRIM_400000_NS6detail17trampoline_kernelINS0_14default_configENS1_29binary_search_config_selectorIfbEEZNS1_14transform_implILb0ES3_S5_N6thrust23THRUST_200600_302600_NS6detail15normal_iteratorINS8_10device_ptrIfEEEENSA_INSB_IbEEEEZNS1_13binary_searchIS3_S5_SD_SD_SF_NS1_16binary_search_opENS9_16wrapped_functionINS0_4lessIvEEbEEEE10hipError_tPvRmT1_T2_T3_mmT4_T5_P12ihipStream_tbEUlRKfE_EESM_SQ_SR_mSS_SV_bEUlT_E_NS1_11comp_targetILNS1_3genE3ELNS1_11target_archE908ELNS1_3gpuE7ELNS1_3repE0EEENS1_30default_config_static_selectorELNS0_4arch9wavefront6targetE1EEEvSP_,@function
_ZN7rocprim17ROCPRIM_400000_NS6detail17trampoline_kernelINS0_14default_configENS1_29binary_search_config_selectorIfbEEZNS1_14transform_implILb0ES3_S5_N6thrust23THRUST_200600_302600_NS6detail15normal_iteratorINS8_10device_ptrIfEEEENSA_INSB_IbEEEEZNS1_13binary_searchIS3_S5_SD_SD_SF_NS1_16binary_search_opENS9_16wrapped_functionINS0_4lessIvEEbEEEE10hipError_tPvRmT1_T2_T3_mmT4_T5_P12ihipStream_tbEUlRKfE_EESM_SQ_SR_mSS_SV_bEUlT_E_NS1_11comp_targetILNS1_3genE3ELNS1_11target_archE908ELNS1_3gpuE7ELNS1_3repE0EEENS1_30default_config_static_selectorELNS0_4arch9wavefront6targetE1EEEvSP_: ; @_ZN7rocprim17ROCPRIM_400000_NS6detail17trampoline_kernelINS0_14default_configENS1_29binary_search_config_selectorIfbEEZNS1_14transform_implILb0ES3_S5_N6thrust23THRUST_200600_302600_NS6detail15normal_iteratorINS8_10device_ptrIfEEEENSA_INSB_IbEEEEZNS1_13binary_searchIS3_S5_SD_SD_SF_NS1_16binary_search_opENS9_16wrapped_functionINS0_4lessIvEEbEEEE10hipError_tPvRmT1_T2_T3_mmT4_T5_P12ihipStream_tbEUlRKfE_EESM_SQ_SR_mSS_SV_bEUlT_E_NS1_11comp_targetILNS1_3genE3ELNS1_11target_archE908ELNS1_3gpuE7ELNS1_3repE0EEENS1_30default_config_static_selectorELNS0_4arch9wavefront6targetE1EEEvSP_
; %bb.0:
	.section	.rodata,"a",@progbits
	.p2align	6, 0x0
	.amdhsa_kernel _ZN7rocprim17ROCPRIM_400000_NS6detail17trampoline_kernelINS0_14default_configENS1_29binary_search_config_selectorIfbEEZNS1_14transform_implILb0ES3_S5_N6thrust23THRUST_200600_302600_NS6detail15normal_iteratorINS8_10device_ptrIfEEEENSA_INSB_IbEEEEZNS1_13binary_searchIS3_S5_SD_SD_SF_NS1_16binary_search_opENS9_16wrapped_functionINS0_4lessIvEEbEEEE10hipError_tPvRmT1_T2_T3_mmT4_T5_P12ihipStream_tbEUlRKfE_EESM_SQ_SR_mSS_SV_bEUlT_E_NS1_11comp_targetILNS1_3genE3ELNS1_11target_archE908ELNS1_3gpuE7ELNS1_3repE0EEENS1_30default_config_static_selectorELNS0_4arch9wavefront6targetE1EEEvSP_
		.amdhsa_group_segment_fixed_size 0
		.amdhsa_private_segment_fixed_size 0
		.amdhsa_kernarg_size 56
		.amdhsa_user_sgpr_count 6
		.amdhsa_user_sgpr_private_segment_buffer 1
		.amdhsa_user_sgpr_dispatch_ptr 0
		.amdhsa_user_sgpr_queue_ptr 0
		.amdhsa_user_sgpr_kernarg_segment_ptr 1
		.amdhsa_user_sgpr_dispatch_id 0
		.amdhsa_user_sgpr_flat_scratch_init 0
		.amdhsa_user_sgpr_kernarg_preload_length 0
		.amdhsa_user_sgpr_kernarg_preload_offset 0
		.amdhsa_user_sgpr_private_segment_size 0
		.amdhsa_uses_dynamic_stack 0
		.amdhsa_system_sgpr_private_segment_wavefront_offset 0
		.amdhsa_system_sgpr_workgroup_id_x 1
		.amdhsa_system_sgpr_workgroup_id_y 0
		.amdhsa_system_sgpr_workgroup_id_z 0
		.amdhsa_system_sgpr_workgroup_info 0
		.amdhsa_system_vgpr_workitem_id 0
		.amdhsa_next_free_vgpr 1
		.amdhsa_next_free_sgpr 0
		.amdhsa_accum_offset 4
		.amdhsa_reserve_vcc 0
		.amdhsa_reserve_flat_scratch 0
		.amdhsa_float_round_mode_32 0
		.amdhsa_float_round_mode_16_64 0
		.amdhsa_float_denorm_mode_32 3
		.amdhsa_float_denorm_mode_16_64 3
		.amdhsa_dx10_clamp 1
		.amdhsa_ieee_mode 1
		.amdhsa_fp16_overflow 0
		.amdhsa_tg_split 0
		.amdhsa_exception_fp_ieee_invalid_op 0
		.amdhsa_exception_fp_denorm_src 0
		.amdhsa_exception_fp_ieee_div_zero 0
		.amdhsa_exception_fp_ieee_overflow 0
		.amdhsa_exception_fp_ieee_underflow 0
		.amdhsa_exception_fp_ieee_inexact 0
		.amdhsa_exception_int_div_zero 0
	.end_amdhsa_kernel
	.section	.text._ZN7rocprim17ROCPRIM_400000_NS6detail17trampoline_kernelINS0_14default_configENS1_29binary_search_config_selectorIfbEEZNS1_14transform_implILb0ES3_S5_N6thrust23THRUST_200600_302600_NS6detail15normal_iteratorINS8_10device_ptrIfEEEENSA_INSB_IbEEEEZNS1_13binary_searchIS3_S5_SD_SD_SF_NS1_16binary_search_opENS9_16wrapped_functionINS0_4lessIvEEbEEEE10hipError_tPvRmT1_T2_T3_mmT4_T5_P12ihipStream_tbEUlRKfE_EESM_SQ_SR_mSS_SV_bEUlT_E_NS1_11comp_targetILNS1_3genE3ELNS1_11target_archE908ELNS1_3gpuE7ELNS1_3repE0EEENS1_30default_config_static_selectorELNS0_4arch9wavefront6targetE1EEEvSP_,"axG",@progbits,_ZN7rocprim17ROCPRIM_400000_NS6detail17trampoline_kernelINS0_14default_configENS1_29binary_search_config_selectorIfbEEZNS1_14transform_implILb0ES3_S5_N6thrust23THRUST_200600_302600_NS6detail15normal_iteratorINS8_10device_ptrIfEEEENSA_INSB_IbEEEEZNS1_13binary_searchIS3_S5_SD_SD_SF_NS1_16binary_search_opENS9_16wrapped_functionINS0_4lessIvEEbEEEE10hipError_tPvRmT1_T2_T3_mmT4_T5_P12ihipStream_tbEUlRKfE_EESM_SQ_SR_mSS_SV_bEUlT_E_NS1_11comp_targetILNS1_3genE3ELNS1_11target_archE908ELNS1_3gpuE7ELNS1_3repE0EEENS1_30default_config_static_selectorELNS0_4arch9wavefront6targetE1EEEvSP_,comdat
.Lfunc_end423:
	.size	_ZN7rocprim17ROCPRIM_400000_NS6detail17trampoline_kernelINS0_14default_configENS1_29binary_search_config_selectorIfbEEZNS1_14transform_implILb0ES3_S5_N6thrust23THRUST_200600_302600_NS6detail15normal_iteratorINS8_10device_ptrIfEEEENSA_INSB_IbEEEEZNS1_13binary_searchIS3_S5_SD_SD_SF_NS1_16binary_search_opENS9_16wrapped_functionINS0_4lessIvEEbEEEE10hipError_tPvRmT1_T2_T3_mmT4_T5_P12ihipStream_tbEUlRKfE_EESM_SQ_SR_mSS_SV_bEUlT_E_NS1_11comp_targetILNS1_3genE3ELNS1_11target_archE908ELNS1_3gpuE7ELNS1_3repE0EEENS1_30default_config_static_selectorELNS0_4arch9wavefront6targetE1EEEvSP_, .Lfunc_end423-_ZN7rocprim17ROCPRIM_400000_NS6detail17trampoline_kernelINS0_14default_configENS1_29binary_search_config_selectorIfbEEZNS1_14transform_implILb0ES3_S5_N6thrust23THRUST_200600_302600_NS6detail15normal_iteratorINS8_10device_ptrIfEEEENSA_INSB_IbEEEEZNS1_13binary_searchIS3_S5_SD_SD_SF_NS1_16binary_search_opENS9_16wrapped_functionINS0_4lessIvEEbEEEE10hipError_tPvRmT1_T2_T3_mmT4_T5_P12ihipStream_tbEUlRKfE_EESM_SQ_SR_mSS_SV_bEUlT_E_NS1_11comp_targetILNS1_3genE3ELNS1_11target_archE908ELNS1_3gpuE7ELNS1_3repE0EEENS1_30default_config_static_selectorELNS0_4arch9wavefront6targetE1EEEvSP_
                                        ; -- End function
	.section	.AMDGPU.csdata,"",@progbits
; Kernel info:
; codeLenInByte = 0
; NumSgprs: 4
; NumVgprs: 0
; NumAgprs: 0
; TotalNumVgprs: 0
; ScratchSize: 0
; MemoryBound: 0
; FloatMode: 240
; IeeeMode: 1
; LDSByteSize: 0 bytes/workgroup (compile time only)
; SGPRBlocks: 0
; VGPRBlocks: 0
; NumSGPRsForWavesPerEU: 4
; NumVGPRsForWavesPerEU: 1
; AccumOffset: 4
; Occupancy: 8
; WaveLimiterHint : 0
; COMPUTE_PGM_RSRC2:SCRATCH_EN: 0
; COMPUTE_PGM_RSRC2:USER_SGPR: 6
; COMPUTE_PGM_RSRC2:TRAP_HANDLER: 0
; COMPUTE_PGM_RSRC2:TGID_X_EN: 1
; COMPUTE_PGM_RSRC2:TGID_Y_EN: 0
; COMPUTE_PGM_RSRC2:TGID_Z_EN: 0
; COMPUTE_PGM_RSRC2:TIDIG_COMP_CNT: 0
; COMPUTE_PGM_RSRC3_GFX90A:ACCUM_OFFSET: 0
; COMPUTE_PGM_RSRC3_GFX90A:TG_SPLIT: 0
	.section	.text._ZN7rocprim17ROCPRIM_400000_NS6detail17trampoline_kernelINS0_14default_configENS1_29binary_search_config_selectorIfbEEZNS1_14transform_implILb0ES3_S5_N6thrust23THRUST_200600_302600_NS6detail15normal_iteratorINS8_10device_ptrIfEEEENSA_INSB_IbEEEEZNS1_13binary_searchIS3_S5_SD_SD_SF_NS1_16binary_search_opENS9_16wrapped_functionINS0_4lessIvEEbEEEE10hipError_tPvRmT1_T2_T3_mmT4_T5_P12ihipStream_tbEUlRKfE_EESM_SQ_SR_mSS_SV_bEUlT_E_NS1_11comp_targetILNS1_3genE2ELNS1_11target_archE906ELNS1_3gpuE6ELNS1_3repE0EEENS1_30default_config_static_selectorELNS0_4arch9wavefront6targetE1EEEvSP_,"axG",@progbits,_ZN7rocprim17ROCPRIM_400000_NS6detail17trampoline_kernelINS0_14default_configENS1_29binary_search_config_selectorIfbEEZNS1_14transform_implILb0ES3_S5_N6thrust23THRUST_200600_302600_NS6detail15normal_iteratorINS8_10device_ptrIfEEEENSA_INSB_IbEEEEZNS1_13binary_searchIS3_S5_SD_SD_SF_NS1_16binary_search_opENS9_16wrapped_functionINS0_4lessIvEEbEEEE10hipError_tPvRmT1_T2_T3_mmT4_T5_P12ihipStream_tbEUlRKfE_EESM_SQ_SR_mSS_SV_bEUlT_E_NS1_11comp_targetILNS1_3genE2ELNS1_11target_archE906ELNS1_3gpuE6ELNS1_3repE0EEENS1_30default_config_static_selectorELNS0_4arch9wavefront6targetE1EEEvSP_,comdat
	.protected	_ZN7rocprim17ROCPRIM_400000_NS6detail17trampoline_kernelINS0_14default_configENS1_29binary_search_config_selectorIfbEEZNS1_14transform_implILb0ES3_S5_N6thrust23THRUST_200600_302600_NS6detail15normal_iteratorINS8_10device_ptrIfEEEENSA_INSB_IbEEEEZNS1_13binary_searchIS3_S5_SD_SD_SF_NS1_16binary_search_opENS9_16wrapped_functionINS0_4lessIvEEbEEEE10hipError_tPvRmT1_T2_T3_mmT4_T5_P12ihipStream_tbEUlRKfE_EESM_SQ_SR_mSS_SV_bEUlT_E_NS1_11comp_targetILNS1_3genE2ELNS1_11target_archE906ELNS1_3gpuE6ELNS1_3repE0EEENS1_30default_config_static_selectorELNS0_4arch9wavefront6targetE1EEEvSP_ ; -- Begin function _ZN7rocprim17ROCPRIM_400000_NS6detail17trampoline_kernelINS0_14default_configENS1_29binary_search_config_selectorIfbEEZNS1_14transform_implILb0ES3_S5_N6thrust23THRUST_200600_302600_NS6detail15normal_iteratorINS8_10device_ptrIfEEEENSA_INSB_IbEEEEZNS1_13binary_searchIS3_S5_SD_SD_SF_NS1_16binary_search_opENS9_16wrapped_functionINS0_4lessIvEEbEEEE10hipError_tPvRmT1_T2_T3_mmT4_T5_P12ihipStream_tbEUlRKfE_EESM_SQ_SR_mSS_SV_bEUlT_E_NS1_11comp_targetILNS1_3genE2ELNS1_11target_archE906ELNS1_3gpuE6ELNS1_3repE0EEENS1_30default_config_static_selectorELNS0_4arch9wavefront6targetE1EEEvSP_
	.globl	_ZN7rocprim17ROCPRIM_400000_NS6detail17trampoline_kernelINS0_14default_configENS1_29binary_search_config_selectorIfbEEZNS1_14transform_implILb0ES3_S5_N6thrust23THRUST_200600_302600_NS6detail15normal_iteratorINS8_10device_ptrIfEEEENSA_INSB_IbEEEEZNS1_13binary_searchIS3_S5_SD_SD_SF_NS1_16binary_search_opENS9_16wrapped_functionINS0_4lessIvEEbEEEE10hipError_tPvRmT1_T2_T3_mmT4_T5_P12ihipStream_tbEUlRKfE_EESM_SQ_SR_mSS_SV_bEUlT_E_NS1_11comp_targetILNS1_3genE2ELNS1_11target_archE906ELNS1_3gpuE6ELNS1_3repE0EEENS1_30default_config_static_selectorELNS0_4arch9wavefront6targetE1EEEvSP_
	.p2align	8
	.type	_ZN7rocprim17ROCPRIM_400000_NS6detail17trampoline_kernelINS0_14default_configENS1_29binary_search_config_selectorIfbEEZNS1_14transform_implILb0ES3_S5_N6thrust23THRUST_200600_302600_NS6detail15normal_iteratorINS8_10device_ptrIfEEEENSA_INSB_IbEEEEZNS1_13binary_searchIS3_S5_SD_SD_SF_NS1_16binary_search_opENS9_16wrapped_functionINS0_4lessIvEEbEEEE10hipError_tPvRmT1_T2_T3_mmT4_T5_P12ihipStream_tbEUlRKfE_EESM_SQ_SR_mSS_SV_bEUlT_E_NS1_11comp_targetILNS1_3genE2ELNS1_11target_archE906ELNS1_3gpuE6ELNS1_3repE0EEENS1_30default_config_static_selectorELNS0_4arch9wavefront6targetE1EEEvSP_,@function
_ZN7rocprim17ROCPRIM_400000_NS6detail17trampoline_kernelINS0_14default_configENS1_29binary_search_config_selectorIfbEEZNS1_14transform_implILb0ES3_S5_N6thrust23THRUST_200600_302600_NS6detail15normal_iteratorINS8_10device_ptrIfEEEENSA_INSB_IbEEEEZNS1_13binary_searchIS3_S5_SD_SD_SF_NS1_16binary_search_opENS9_16wrapped_functionINS0_4lessIvEEbEEEE10hipError_tPvRmT1_T2_T3_mmT4_T5_P12ihipStream_tbEUlRKfE_EESM_SQ_SR_mSS_SV_bEUlT_E_NS1_11comp_targetILNS1_3genE2ELNS1_11target_archE906ELNS1_3gpuE6ELNS1_3repE0EEENS1_30default_config_static_selectorELNS0_4arch9wavefront6targetE1EEEvSP_: ; @_ZN7rocprim17ROCPRIM_400000_NS6detail17trampoline_kernelINS0_14default_configENS1_29binary_search_config_selectorIfbEEZNS1_14transform_implILb0ES3_S5_N6thrust23THRUST_200600_302600_NS6detail15normal_iteratorINS8_10device_ptrIfEEEENSA_INSB_IbEEEEZNS1_13binary_searchIS3_S5_SD_SD_SF_NS1_16binary_search_opENS9_16wrapped_functionINS0_4lessIvEEbEEEE10hipError_tPvRmT1_T2_T3_mmT4_T5_P12ihipStream_tbEUlRKfE_EESM_SQ_SR_mSS_SV_bEUlT_E_NS1_11comp_targetILNS1_3genE2ELNS1_11target_archE906ELNS1_3gpuE6ELNS1_3repE0EEENS1_30default_config_static_selectorELNS0_4arch9wavefront6targetE1EEEvSP_
; %bb.0:
	.section	.rodata,"a",@progbits
	.p2align	6, 0x0
	.amdhsa_kernel _ZN7rocprim17ROCPRIM_400000_NS6detail17trampoline_kernelINS0_14default_configENS1_29binary_search_config_selectorIfbEEZNS1_14transform_implILb0ES3_S5_N6thrust23THRUST_200600_302600_NS6detail15normal_iteratorINS8_10device_ptrIfEEEENSA_INSB_IbEEEEZNS1_13binary_searchIS3_S5_SD_SD_SF_NS1_16binary_search_opENS9_16wrapped_functionINS0_4lessIvEEbEEEE10hipError_tPvRmT1_T2_T3_mmT4_T5_P12ihipStream_tbEUlRKfE_EESM_SQ_SR_mSS_SV_bEUlT_E_NS1_11comp_targetILNS1_3genE2ELNS1_11target_archE906ELNS1_3gpuE6ELNS1_3repE0EEENS1_30default_config_static_selectorELNS0_4arch9wavefront6targetE1EEEvSP_
		.amdhsa_group_segment_fixed_size 0
		.amdhsa_private_segment_fixed_size 0
		.amdhsa_kernarg_size 56
		.amdhsa_user_sgpr_count 6
		.amdhsa_user_sgpr_private_segment_buffer 1
		.amdhsa_user_sgpr_dispatch_ptr 0
		.amdhsa_user_sgpr_queue_ptr 0
		.amdhsa_user_sgpr_kernarg_segment_ptr 1
		.amdhsa_user_sgpr_dispatch_id 0
		.amdhsa_user_sgpr_flat_scratch_init 0
		.amdhsa_user_sgpr_kernarg_preload_length 0
		.amdhsa_user_sgpr_kernarg_preload_offset 0
		.amdhsa_user_sgpr_private_segment_size 0
		.amdhsa_uses_dynamic_stack 0
		.amdhsa_system_sgpr_private_segment_wavefront_offset 0
		.amdhsa_system_sgpr_workgroup_id_x 1
		.amdhsa_system_sgpr_workgroup_id_y 0
		.amdhsa_system_sgpr_workgroup_id_z 0
		.amdhsa_system_sgpr_workgroup_info 0
		.amdhsa_system_vgpr_workitem_id 0
		.amdhsa_next_free_vgpr 1
		.amdhsa_next_free_sgpr 0
		.amdhsa_accum_offset 4
		.amdhsa_reserve_vcc 0
		.amdhsa_reserve_flat_scratch 0
		.amdhsa_float_round_mode_32 0
		.amdhsa_float_round_mode_16_64 0
		.amdhsa_float_denorm_mode_32 3
		.amdhsa_float_denorm_mode_16_64 3
		.amdhsa_dx10_clamp 1
		.amdhsa_ieee_mode 1
		.amdhsa_fp16_overflow 0
		.amdhsa_tg_split 0
		.amdhsa_exception_fp_ieee_invalid_op 0
		.amdhsa_exception_fp_denorm_src 0
		.amdhsa_exception_fp_ieee_div_zero 0
		.amdhsa_exception_fp_ieee_overflow 0
		.amdhsa_exception_fp_ieee_underflow 0
		.amdhsa_exception_fp_ieee_inexact 0
		.amdhsa_exception_int_div_zero 0
	.end_amdhsa_kernel
	.section	.text._ZN7rocprim17ROCPRIM_400000_NS6detail17trampoline_kernelINS0_14default_configENS1_29binary_search_config_selectorIfbEEZNS1_14transform_implILb0ES3_S5_N6thrust23THRUST_200600_302600_NS6detail15normal_iteratorINS8_10device_ptrIfEEEENSA_INSB_IbEEEEZNS1_13binary_searchIS3_S5_SD_SD_SF_NS1_16binary_search_opENS9_16wrapped_functionINS0_4lessIvEEbEEEE10hipError_tPvRmT1_T2_T3_mmT4_T5_P12ihipStream_tbEUlRKfE_EESM_SQ_SR_mSS_SV_bEUlT_E_NS1_11comp_targetILNS1_3genE2ELNS1_11target_archE906ELNS1_3gpuE6ELNS1_3repE0EEENS1_30default_config_static_selectorELNS0_4arch9wavefront6targetE1EEEvSP_,"axG",@progbits,_ZN7rocprim17ROCPRIM_400000_NS6detail17trampoline_kernelINS0_14default_configENS1_29binary_search_config_selectorIfbEEZNS1_14transform_implILb0ES3_S5_N6thrust23THRUST_200600_302600_NS6detail15normal_iteratorINS8_10device_ptrIfEEEENSA_INSB_IbEEEEZNS1_13binary_searchIS3_S5_SD_SD_SF_NS1_16binary_search_opENS9_16wrapped_functionINS0_4lessIvEEbEEEE10hipError_tPvRmT1_T2_T3_mmT4_T5_P12ihipStream_tbEUlRKfE_EESM_SQ_SR_mSS_SV_bEUlT_E_NS1_11comp_targetILNS1_3genE2ELNS1_11target_archE906ELNS1_3gpuE6ELNS1_3repE0EEENS1_30default_config_static_selectorELNS0_4arch9wavefront6targetE1EEEvSP_,comdat
.Lfunc_end424:
	.size	_ZN7rocprim17ROCPRIM_400000_NS6detail17trampoline_kernelINS0_14default_configENS1_29binary_search_config_selectorIfbEEZNS1_14transform_implILb0ES3_S5_N6thrust23THRUST_200600_302600_NS6detail15normal_iteratorINS8_10device_ptrIfEEEENSA_INSB_IbEEEEZNS1_13binary_searchIS3_S5_SD_SD_SF_NS1_16binary_search_opENS9_16wrapped_functionINS0_4lessIvEEbEEEE10hipError_tPvRmT1_T2_T3_mmT4_T5_P12ihipStream_tbEUlRKfE_EESM_SQ_SR_mSS_SV_bEUlT_E_NS1_11comp_targetILNS1_3genE2ELNS1_11target_archE906ELNS1_3gpuE6ELNS1_3repE0EEENS1_30default_config_static_selectorELNS0_4arch9wavefront6targetE1EEEvSP_, .Lfunc_end424-_ZN7rocprim17ROCPRIM_400000_NS6detail17trampoline_kernelINS0_14default_configENS1_29binary_search_config_selectorIfbEEZNS1_14transform_implILb0ES3_S5_N6thrust23THRUST_200600_302600_NS6detail15normal_iteratorINS8_10device_ptrIfEEEENSA_INSB_IbEEEEZNS1_13binary_searchIS3_S5_SD_SD_SF_NS1_16binary_search_opENS9_16wrapped_functionINS0_4lessIvEEbEEEE10hipError_tPvRmT1_T2_T3_mmT4_T5_P12ihipStream_tbEUlRKfE_EESM_SQ_SR_mSS_SV_bEUlT_E_NS1_11comp_targetILNS1_3genE2ELNS1_11target_archE906ELNS1_3gpuE6ELNS1_3repE0EEENS1_30default_config_static_selectorELNS0_4arch9wavefront6targetE1EEEvSP_
                                        ; -- End function
	.section	.AMDGPU.csdata,"",@progbits
; Kernel info:
; codeLenInByte = 0
; NumSgprs: 4
; NumVgprs: 0
; NumAgprs: 0
; TotalNumVgprs: 0
; ScratchSize: 0
; MemoryBound: 0
; FloatMode: 240
; IeeeMode: 1
; LDSByteSize: 0 bytes/workgroup (compile time only)
; SGPRBlocks: 0
; VGPRBlocks: 0
; NumSGPRsForWavesPerEU: 4
; NumVGPRsForWavesPerEU: 1
; AccumOffset: 4
; Occupancy: 8
; WaveLimiterHint : 0
; COMPUTE_PGM_RSRC2:SCRATCH_EN: 0
; COMPUTE_PGM_RSRC2:USER_SGPR: 6
; COMPUTE_PGM_RSRC2:TRAP_HANDLER: 0
; COMPUTE_PGM_RSRC2:TGID_X_EN: 1
; COMPUTE_PGM_RSRC2:TGID_Y_EN: 0
; COMPUTE_PGM_RSRC2:TGID_Z_EN: 0
; COMPUTE_PGM_RSRC2:TIDIG_COMP_CNT: 0
; COMPUTE_PGM_RSRC3_GFX90A:ACCUM_OFFSET: 0
; COMPUTE_PGM_RSRC3_GFX90A:TG_SPLIT: 0
	.section	.text._ZN7rocprim17ROCPRIM_400000_NS6detail17trampoline_kernelINS0_14default_configENS1_29binary_search_config_selectorIfbEEZNS1_14transform_implILb0ES3_S5_N6thrust23THRUST_200600_302600_NS6detail15normal_iteratorINS8_10device_ptrIfEEEENSA_INSB_IbEEEEZNS1_13binary_searchIS3_S5_SD_SD_SF_NS1_16binary_search_opENS9_16wrapped_functionINS0_4lessIvEEbEEEE10hipError_tPvRmT1_T2_T3_mmT4_T5_P12ihipStream_tbEUlRKfE_EESM_SQ_SR_mSS_SV_bEUlT_E_NS1_11comp_targetILNS1_3genE10ELNS1_11target_archE1201ELNS1_3gpuE5ELNS1_3repE0EEENS1_30default_config_static_selectorELNS0_4arch9wavefront6targetE1EEEvSP_,"axG",@progbits,_ZN7rocprim17ROCPRIM_400000_NS6detail17trampoline_kernelINS0_14default_configENS1_29binary_search_config_selectorIfbEEZNS1_14transform_implILb0ES3_S5_N6thrust23THRUST_200600_302600_NS6detail15normal_iteratorINS8_10device_ptrIfEEEENSA_INSB_IbEEEEZNS1_13binary_searchIS3_S5_SD_SD_SF_NS1_16binary_search_opENS9_16wrapped_functionINS0_4lessIvEEbEEEE10hipError_tPvRmT1_T2_T3_mmT4_T5_P12ihipStream_tbEUlRKfE_EESM_SQ_SR_mSS_SV_bEUlT_E_NS1_11comp_targetILNS1_3genE10ELNS1_11target_archE1201ELNS1_3gpuE5ELNS1_3repE0EEENS1_30default_config_static_selectorELNS0_4arch9wavefront6targetE1EEEvSP_,comdat
	.protected	_ZN7rocprim17ROCPRIM_400000_NS6detail17trampoline_kernelINS0_14default_configENS1_29binary_search_config_selectorIfbEEZNS1_14transform_implILb0ES3_S5_N6thrust23THRUST_200600_302600_NS6detail15normal_iteratorINS8_10device_ptrIfEEEENSA_INSB_IbEEEEZNS1_13binary_searchIS3_S5_SD_SD_SF_NS1_16binary_search_opENS9_16wrapped_functionINS0_4lessIvEEbEEEE10hipError_tPvRmT1_T2_T3_mmT4_T5_P12ihipStream_tbEUlRKfE_EESM_SQ_SR_mSS_SV_bEUlT_E_NS1_11comp_targetILNS1_3genE10ELNS1_11target_archE1201ELNS1_3gpuE5ELNS1_3repE0EEENS1_30default_config_static_selectorELNS0_4arch9wavefront6targetE1EEEvSP_ ; -- Begin function _ZN7rocprim17ROCPRIM_400000_NS6detail17trampoline_kernelINS0_14default_configENS1_29binary_search_config_selectorIfbEEZNS1_14transform_implILb0ES3_S5_N6thrust23THRUST_200600_302600_NS6detail15normal_iteratorINS8_10device_ptrIfEEEENSA_INSB_IbEEEEZNS1_13binary_searchIS3_S5_SD_SD_SF_NS1_16binary_search_opENS9_16wrapped_functionINS0_4lessIvEEbEEEE10hipError_tPvRmT1_T2_T3_mmT4_T5_P12ihipStream_tbEUlRKfE_EESM_SQ_SR_mSS_SV_bEUlT_E_NS1_11comp_targetILNS1_3genE10ELNS1_11target_archE1201ELNS1_3gpuE5ELNS1_3repE0EEENS1_30default_config_static_selectorELNS0_4arch9wavefront6targetE1EEEvSP_
	.globl	_ZN7rocprim17ROCPRIM_400000_NS6detail17trampoline_kernelINS0_14default_configENS1_29binary_search_config_selectorIfbEEZNS1_14transform_implILb0ES3_S5_N6thrust23THRUST_200600_302600_NS6detail15normal_iteratorINS8_10device_ptrIfEEEENSA_INSB_IbEEEEZNS1_13binary_searchIS3_S5_SD_SD_SF_NS1_16binary_search_opENS9_16wrapped_functionINS0_4lessIvEEbEEEE10hipError_tPvRmT1_T2_T3_mmT4_T5_P12ihipStream_tbEUlRKfE_EESM_SQ_SR_mSS_SV_bEUlT_E_NS1_11comp_targetILNS1_3genE10ELNS1_11target_archE1201ELNS1_3gpuE5ELNS1_3repE0EEENS1_30default_config_static_selectorELNS0_4arch9wavefront6targetE1EEEvSP_
	.p2align	8
	.type	_ZN7rocprim17ROCPRIM_400000_NS6detail17trampoline_kernelINS0_14default_configENS1_29binary_search_config_selectorIfbEEZNS1_14transform_implILb0ES3_S5_N6thrust23THRUST_200600_302600_NS6detail15normal_iteratorINS8_10device_ptrIfEEEENSA_INSB_IbEEEEZNS1_13binary_searchIS3_S5_SD_SD_SF_NS1_16binary_search_opENS9_16wrapped_functionINS0_4lessIvEEbEEEE10hipError_tPvRmT1_T2_T3_mmT4_T5_P12ihipStream_tbEUlRKfE_EESM_SQ_SR_mSS_SV_bEUlT_E_NS1_11comp_targetILNS1_3genE10ELNS1_11target_archE1201ELNS1_3gpuE5ELNS1_3repE0EEENS1_30default_config_static_selectorELNS0_4arch9wavefront6targetE1EEEvSP_,@function
_ZN7rocprim17ROCPRIM_400000_NS6detail17trampoline_kernelINS0_14default_configENS1_29binary_search_config_selectorIfbEEZNS1_14transform_implILb0ES3_S5_N6thrust23THRUST_200600_302600_NS6detail15normal_iteratorINS8_10device_ptrIfEEEENSA_INSB_IbEEEEZNS1_13binary_searchIS3_S5_SD_SD_SF_NS1_16binary_search_opENS9_16wrapped_functionINS0_4lessIvEEbEEEE10hipError_tPvRmT1_T2_T3_mmT4_T5_P12ihipStream_tbEUlRKfE_EESM_SQ_SR_mSS_SV_bEUlT_E_NS1_11comp_targetILNS1_3genE10ELNS1_11target_archE1201ELNS1_3gpuE5ELNS1_3repE0EEENS1_30default_config_static_selectorELNS0_4arch9wavefront6targetE1EEEvSP_: ; @_ZN7rocprim17ROCPRIM_400000_NS6detail17trampoline_kernelINS0_14default_configENS1_29binary_search_config_selectorIfbEEZNS1_14transform_implILb0ES3_S5_N6thrust23THRUST_200600_302600_NS6detail15normal_iteratorINS8_10device_ptrIfEEEENSA_INSB_IbEEEEZNS1_13binary_searchIS3_S5_SD_SD_SF_NS1_16binary_search_opENS9_16wrapped_functionINS0_4lessIvEEbEEEE10hipError_tPvRmT1_T2_T3_mmT4_T5_P12ihipStream_tbEUlRKfE_EESM_SQ_SR_mSS_SV_bEUlT_E_NS1_11comp_targetILNS1_3genE10ELNS1_11target_archE1201ELNS1_3gpuE5ELNS1_3repE0EEENS1_30default_config_static_selectorELNS0_4arch9wavefront6targetE1EEEvSP_
; %bb.0:
	.section	.rodata,"a",@progbits
	.p2align	6, 0x0
	.amdhsa_kernel _ZN7rocprim17ROCPRIM_400000_NS6detail17trampoline_kernelINS0_14default_configENS1_29binary_search_config_selectorIfbEEZNS1_14transform_implILb0ES3_S5_N6thrust23THRUST_200600_302600_NS6detail15normal_iteratorINS8_10device_ptrIfEEEENSA_INSB_IbEEEEZNS1_13binary_searchIS3_S5_SD_SD_SF_NS1_16binary_search_opENS9_16wrapped_functionINS0_4lessIvEEbEEEE10hipError_tPvRmT1_T2_T3_mmT4_T5_P12ihipStream_tbEUlRKfE_EESM_SQ_SR_mSS_SV_bEUlT_E_NS1_11comp_targetILNS1_3genE10ELNS1_11target_archE1201ELNS1_3gpuE5ELNS1_3repE0EEENS1_30default_config_static_selectorELNS0_4arch9wavefront6targetE1EEEvSP_
		.amdhsa_group_segment_fixed_size 0
		.amdhsa_private_segment_fixed_size 0
		.amdhsa_kernarg_size 56
		.amdhsa_user_sgpr_count 6
		.amdhsa_user_sgpr_private_segment_buffer 1
		.amdhsa_user_sgpr_dispatch_ptr 0
		.amdhsa_user_sgpr_queue_ptr 0
		.amdhsa_user_sgpr_kernarg_segment_ptr 1
		.amdhsa_user_sgpr_dispatch_id 0
		.amdhsa_user_sgpr_flat_scratch_init 0
		.amdhsa_user_sgpr_kernarg_preload_length 0
		.amdhsa_user_sgpr_kernarg_preload_offset 0
		.amdhsa_user_sgpr_private_segment_size 0
		.amdhsa_uses_dynamic_stack 0
		.amdhsa_system_sgpr_private_segment_wavefront_offset 0
		.amdhsa_system_sgpr_workgroup_id_x 1
		.amdhsa_system_sgpr_workgroup_id_y 0
		.amdhsa_system_sgpr_workgroup_id_z 0
		.amdhsa_system_sgpr_workgroup_info 0
		.amdhsa_system_vgpr_workitem_id 0
		.amdhsa_next_free_vgpr 1
		.amdhsa_next_free_sgpr 0
		.amdhsa_accum_offset 4
		.amdhsa_reserve_vcc 0
		.amdhsa_reserve_flat_scratch 0
		.amdhsa_float_round_mode_32 0
		.amdhsa_float_round_mode_16_64 0
		.amdhsa_float_denorm_mode_32 3
		.amdhsa_float_denorm_mode_16_64 3
		.amdhsa_dx10_clamp 1
		.amdhsa_ieee_mode 1
		.amdhsa_fp16_overflow 0
		.amdhsa_tg_split 0
		.amdhsa_exception_fp_ieee_invalid_op 0
		.amdhsa_exception_fp_denorm_src 0
		.amdhsa_exception_fp_ieee_div_zero 0
		.amdhsa_exception_fp_ieee_overflow 0
		.amdhsa_exception_fp_ieee_underflow 0
		.amdhsa_exception_fp_ieee_inexact 0
		.amdhsa_exception_int_div_zero 0
	.end_amdhsa_kernel
	.section	.text._ZN7rocprim17ROCPRIM_400000_NS6detail17trampoline_kernelINS0_14default_configENS1_29binary_search_config_selectorIfbEEZNS1_14transform_implILb0ES3_S5_N6thrust23THRUST_200600_302600_NS6detail15normal_iteratorINS8_10device_ptrIfEEEENSA_INSB_IbEEEEZNS1_13binary_searchIS3_S5_SD_SD_SF_NS1_16binary_search_opENS9_16wrapped_functionINS0_4lessIvEEbEEEE10hipError_tPvRmT1_T2_T3_mmT4_T5_P12ihipStream_tbEUlRKfE_EESM_SQ_SR_mSS_SV_bEUlT_E_NS1_11comp_targetILNS1_3genE10ELNS1_11target_archE1201ELNS1_3gpuE5ELNS1_3repE0EEENS1_30default_config_static_selectorELNS0_4arch9wavefront6targetE1EEEvSP_,"axG",@progbits,_ZN7rocprim17ROCPRIM_400000_NS6detail17trampoline_kernelINS0_14default_configENS1_29binary_search_config_selectorIfbEEZNS1_14transform_implILb0ES3_S5_N6thrust23THRUST_200600_302600_NS6detail15normal_iteratorINS8_10device_ptrIfEEEENSA_INSB_IbEEEEZNS1_13binary_searchIS3_S5_SD_SD_SF_NS1_16binary_search_opENS9_16wrapped_functionINS0_4lessIvEEbEEEE10hipError_tPvRmT1_T2_T3_mmT4_T5_P12ihipStream_tbEUlRKfE_EESM_SQ_SR_mSS_SV_bEUlT_E_NS1_11comp_targetILNS1_3genE10ELNS1_11target_archE1201ELNS1_3gpuE5ELNS1_3repE0EEENS1_30default_config_static_selectorELNS0_4arch9wavefront6targetE1EEEvSP_,comdat
.Lfunc_end425:
	.size	_ZN7rocprim17ROCPRIM_400000_NS6detail17trampoline_kernelINS0_14default_configENS1_29binary_search_config_selectorIfbEEZNS1_14transform_implILb0ES3_S5_N6thrust23THRUST_200600_302600_NS6detail15normal_iteratorINS8_10device_ptrIfEEEENSA_INSB_IbEEEEZNS1_13binary_searchIS3_S5_SD_SD_SF_NS1_16binary_search_opENS9_16wrapped_functionINS0_4lessIvEEbEEEE10hipError_tPvRmT1_T2_T3_mmT4_T5_P12ihipStream_tbEUlRKfE_EESM_SQ_SR_mSS_SV_bEUlT_E_NS1_11comp_targetILNS1_3genE10ELNS1_11target_archE1201ELNS1_3gpuE5ELNS1_3repE0EEENS1_30default_config_static_selectorELNS0_4arch9wavefront6targetE1EEEvSP_, .Lfunc_end425-_ZN7rocprim17ROCPRIM_400000_NS6detail17trampoline_kernelINS0_14default_configENS1_29binary_search_config_selectorIfbEEZNS1_14transform_implILb0ES3_S5_N6thrust23THRUST_200600_302600_NS6detail15normal_iteratorINS8_10device_ptrIfEEEENSA_INSB_IbEEEEZNS1_13binary_searchIS3_S5_SD_SD_SF_NS1_16binary_search_opENS9_16wrapped_functionINS0_4lessIvEEbEEEE10hipError_tPvRmT1_T2_T3_mmT4_T5_P12ihipStream_tbEUlRKfE_EESM_SQ_SR_mSS_SV_bEUlT_E_NS1_11comp_targetILNS1_3genE10ELNS1_11target_archE1201ELNS1_3gpuE5ELNS1_3repE0EEENS1_30default_config_static_selectorELNS0_4arch9wavefront6targetE1EEEvSP_
                                        ; -- End function
	.section	.AMDGPU.csdata,"",@progbits
; Kernel info:
; codeLenInByte = 0
; NumSgprs: 4
; NumVgprs: 0
; NumAgprs: 0
; TotalNumVgprs: 0
; ScratchSize: 0
; MemoryBound: 0
; FloatMode: 240
; IeeeMode: 1
; LDSByteSize: 0 bytes/workgroup (compile time only)
; SGPRBlocks: 0
; VGPRBlocks: 0
; NumSGPRsForWavesPerEU: 4
; NumVGPRsForWavesPerEU: 1
; AccumOffset: 4
; Occupancy: 8
; WaveLimiterHint : 0
; COMPUTE_PGM_RSRC2:SCRATCH_EN: 0
; COMPUTE_PGM_RSRC2:USER_SGPR: 6
; COMPUTE_PGM_RSRC2:TRAP_HANDLER: 0
; COMPUTE_PGM_RSRC2:TGID_X_EN: 1
; COMPUTE_PGM_RSRC2:TGID_Y_EN: 0
; COMPUTE_PGM_RSRC2:TGID_Z_EN: 0
; COMPUTE_PGM_RSRC2:TIDIG_COMP_CNT: 0
; COMPUTE_PGM_RSRC3_GFX90A:ACCUM_OFFSET: 0
; COMPUTE_PGM_RSRC3_GFX90A:TG_SPLIT: 0
	.section	.text._ZN7rocprim17ROCPRIM_400000_NS6detail17trampoline_kernelINS0_14default_configENS1_29binary_search_config_selectorIfbEEZNS1_14transform_implILb0ES3_S5_N6thrust23THRUST_200600_302600_NS6detail15normal_iteratorINS8_10device_ptrIfEEEENSA_INSB_IbEEEEZNS1_13binary_searchIS3_S5_SD_SD_SF_NS1_16binary_search_opENS9_16wrapped_functionINS0_4lessIvEEbEEEE10hipError_tPvRmT1_T2_T3_mmT4_T5_P12ihipStream_tbEUlRKfE_EESM_SQ_SR_mSS_SV_bEUlT_E_NS1_11comp_targetILNS1_3genE10ELNS1_11target_archE1200ELNS1_3gpuE4ELNS1_3repE0EEENS1_30default_config_static_selectorELNS0_4arch9wavefront6targetE1EEEvSP_,"axG",@progbits,_ZN7rocprim17ROCPRIM_400000_NS6detail17trampoline_kernelINS0_14default_configENS1_29binary_search_config_selectorIfbEEZNS1_14transform_implILb0ES3_S5_N6thrust23THRUST_200600_302600_NS6detail15normal_iteratorINS8_10device_ptrIfEEEENSA_INSB_IbEEEEZNS1_13binary_searchIS3_S5_SD_SD_SF_NS1_16binary_search_opENS9_16wrapped_functionINS0_4lessIvEEbEEEE10hipError_tPvRmT1_T2_T3_mmT4_T5_P12ihipStream_tbEUlRKfE_EESM_SQ_SR_mSS_SV_bEUlT_E_NS1_11comp_targetILNS1_3genE10ELNS1_11target_archE1200ELNS1_3gpuE4ELNS1_3repE0EEENS1_30default_config_static_selectorELNS0_4arch9wavefront6targetE1EEEvSP_,comdat
	.protected	_ZN7rocprim17ROCPRIM_400000_NS6detail17trampoline_kernelINS0_14default_configENS1_29binary_search_config_selectorIfbEEZNS1_14transform_implILb0ES3_S5_N6thrust23THRUST_200600_302600_NS6detail15normal_iteratorINS8_10device_ptrIfEEEENSA_INSB_IbEEEEZNS1_13binary_searchIS3_S5_SD_SD_SF_NS1_16binary_search_opENS9_16wrapped_functionINS0_4lessIvEEbEEEE10hipError_tPvRmT1_T2_T3_mmT4_T5_P12ihipStream_tbEUlRKfE_EESM_SQ_SR_mSS_SV_bEUlT_E_NS1_11comp_targetILNS1_3genE10ELNS1_11target_archE1200ELNS1_3gpuE4ELNS1_3repE0EEENS1_30default_config_static_selectorELNS0_4arch9wavefront6targetE1EEEvSP_ ; -- Begin function _ZN7rocprim17ROCPRIM_400000_NS6detail17trampoline_kernelINS0_14default_configENS1_29binary_search_config_selectorIfbEEZNS1_14transform_implILb0ES3_S5_N6thrust23THRUST_200600_302600_NS6detail15normal_iteratorINS8_10device_ptrIfEEEENSA_INSB_IbEEEEZNS1_13binary_searchIS3_S5_SD_SD_SF_NS1_16binary_search_opENS9_16wrapped_functionINS0_4lessIvEEbEEEE10hipError_tPvRmT1_T2_T3_mmT4_T5_P12ihipStream_tbEUlRKfE_EESM_SQ_SR_mSS_SV_bEUlT_E_NS1_11comp_targetILNS1_3genE10ELNS1_11target_archE1200ELNS1_3gpuE4ELNS1_3repE0EEENS1_30default_config_static_selectorELNS0_4arch9wavefront6targetE1EEEvSP_
	.globl	_ZN7rocprim17ROCPRIM_400000_NS6detail17trampoline_kernelINS0_14default_configENS1_29binary_search_config_selectorIfbEEZNS1_14transform_implILb0ES3_S5_N6thrust23THRUST_200600_302600_NS6detail15normal_iteratorINS8_10device_ptrIfEEEENSA_INSB_IbEEEEZNS1_13binary_searchIS3_S5_SD_SD_SF_NS1_16binary_search_opENS9_16wrapped_functionINS0_4lessIvEEbEEEE10hipError_tPvRmT1_T2_T3_mmT4_T5_P12ihipStream_tbEUlRKfE_EESM_SQ_SR_mSS_SV_bEUlT_E_NS1_11comp_targetILNS1_3genE10ELNS1_11target_archE1200ELNS1_3gpuE4ELNS1_3repE0EEENS1_30default_config_static_selectorELNS0_4arch9wavefront6targetE1EEEvSP_
	.p2align	8
	.type	_ZN7rocprim17ROCPRIM_400000_NS6detail17trampoline_kernelINS0_14default_configENS1_29binary_search_config_selectorIfbEEZNS1_14transform_implILb0ES3_S5_N6thrust23THRUST_200600_302600_NS6detail15normal_iteratorINS8_10device_ptrIfEEEENSA_INSB_IbEEEEZNS1_13binary_searchIS3_S5_SD_SD_SF_NS1_16binary_search_opENS9_16wrapped_functionINS0_4lessIvEEbEEEE10hipError_tPvRmT1_T2_T3_mmT4_T5_P12ihipStream_tbEUlRKfE_EESM_SQ_SR_mSS_SV_bEUlT_E_NS1_11comp_targetILNS1_3genE10ELNS1_11target_archE1200ELNS1_3gpuE4ELNS1_3repE0EEENS1_30default_config_static_selectorELNS0_4arch9wavefront6targetE1EEEvSP_,@function
_ZN7rocprim17ROCPRIM_400000_NS6detail17trampoline_kernelINS0_14default_configENS1_29binary_search_config_selectorIfbEEZNS1_14transform_implILb0ES3_S5_N6thrust23THRUST_200600_302600_NS6detail15normal_iteratorINS8_10device_ptrIfEEEENSA_INSB_IbEEEEZNS1_13binary_searchIS3_S5_SD_SD_SF_NS1_16binary_search_opENS9_16wrapped_functionINS0_4lessIvEEbEEEE10hipError_tPvRmT1_T2_T3_mmT4_T5_P12ihipStream_tbEUlRKfE_EESM_SQ_SR_mSS_SV_bEUlT_E_NS1_11comp_targetILNS1_3genE10ELNS1_11target_archE1200ELNS1_3gpuE4ELNS1_3repE0EEENS1_30default_config_static_selectorELNS0_4arch9wavefront6targetE1EEEvSP_: ; @_ZN7rocprim17ROCPRIM_400000_NS6detail17trampoline_kernelINS0_14default_configENS1_29binary_search_config_selectorIfbEEZNS1_14transform_implILb0ES3_S5_N6thrust23THRUST_200600_302600_NS6detail15normal_iteratorINS8_10device_ptrIfEEEENSA_INSB_IbEEEEZNS1_13binary_searchIS3_S5_SD_SD_SF_NS1_16binary_search_opENS9_16wrapped_functionINS0_4lessIvEEbEEEE10hipError_tPvRmT1_T2_T3_mmT4_T5_P12ihipStream_tbEUlRKfE_EESM_SQ_SR_mSS_SV_bEUlT_E_NS1_11comp_targetILNS1_3genE10ELNS1_11target_archE1200ELNS1_3gpuE4ELNS1_3repE0EEENS1_30default_config_static_selectorELNS0_4arch9wavefront6targetE1EEEvSP_
; %bb.0:
	.section	.rodata,"a",@progbits
	.p2align	6, 0x0
	.amdhsa_kernel _ZN7rocprim17ROCPRIM_400000_NS6detail17trampoline_kernelINS0_14default_configENS1_29binary_search_config_selectorIfbEEZNS1_14transform_implILb0ES3_S5_N6thrust23THRUST_200600_302600_NS6detail15normal_iteratorINS8_10device_ptrIfEEEENSA_INSB_IbEEEEZNS1_13binary_searchIS3_S5_SD_SD_SF_NS1_16binary_search_opENS9_16wrapped_functionINS0_4lessIvEEbEEEE10hipError_tPvRmT1_T2_T3_mmT4_T5_P12ihipStream_tbEUlRKfE_EESM_SQ_SR_mSS_SV_bEUlT_E_NS1_11comp_targetILNS1_3genE10ELNS1_11target_archE1200ELNS1_3gpuE4ELNS1_3repE0EEENS1_30default_config_static_selectorELNS0_4arch9wavefront6targetE1EEEvSP_
		.amdhsa_group_segment_fixed_size 0
		.amdhsa_private_segment_fixed_size 0
		.amdhsa_kernarg_size 56
		.amdhsa_user_sgpr_count 6
		.amdhsa_user_sgpr_private_segment_buffer 1
		.amdhsa_user_sgpr_dispatch_ptr 0
		.amdhsa_user_sgpr_queue_ptr 0
		.amdhsa_user_sgpr_kernarg_segment_ptr 1
		.amdhsa_user_sgpr_dispatch_id 0
		.amdhsa_user_sgpr_flat_scratch_init 0
		.amdhsa_user_sgpr_kernarg_preload_length 0
		.amdhsa_user_sgpr_kernarg_preload_offset 0
		.amdhsa_user_sgpr_private_segment_size 0
		.amdhsa_uses_dynamic_stack 0
		.amdhsa_system_sgpr_private_segment_wavefront_offset 0
		.amdhsa_system_sgpr_workgroup_id_x 1
		.amdhsa_system_sgpr_workgroup_id_y 0
		.amdhsa_system_sgpr_workgroup_id_z 0
		.amdhsa_system_sgpr_workgroup_info 0
		.amdhsa_system_vgpr_workitem_id 0
		.amdhsa_next_free_vgpr 1
		.amdhsa_next_free_sgpr 0
		.amdhsa_accum_offset 4
		.amdhsa_reserve_vcc 0
		.amdhsa_reserve_flat_scratch 0
		.amdhsa_float_round_mode_32 0
		.amdhsa_float_round_mode_16_64 0
		.amdhsa_float_denorm_mode_32 3
		.amdhsa_float_denorm_mode_16_64 3
		.amdhsa_dx10_clamp 1
		.amdhsa_ieee_mode 1
		.amdhsa_fp16_overflow 0
		.amdhsa_tg_split 0
		.amdhsa_exception_fp_ieee_invalid_op 0
		.amdhsa_exception_fp_denorm_src 0
		.amdhsa_exception_fp_ieee_div_zero 0
		.amdhsa_exception_fp_ieee_overflow 0
		.amdhsa_exception_fp_ieee_underflow 0
		.amdhsa_exception_fp_ieee_inexact 0
		.amdhsa_exception_int_div_zero 0
	.end_amdhsa_kernel
	.section	.text._ZN7rocprim17ROCPRIM_400000_NS6detail17trampoline_kernelINS0_14default_configENS1_29binary_search_config_selectorIfbEEZNS1_14transform_implILb0ES3_S5_N6thrust23THRUST_200600_302600_NS6detail15normal_iteratorINS8_10device_ptrIfEEEENSA_INSB_IbEEEEZNS1_13binary_searchIS3_S5_SD_SD_SF_NS1_16binary_search_opENS9_16wrapped_functionINS0_4lessIvEEbEEEE10hipError_tPvRmT1_T2_T3_mmT4_T5_P12ihipStream_tbEUlRKfE_EESM_SQ_SR_mSS_SV_bEUlT_E_NS1_11comp_targetILNS1_3genE10ELNS1_11target_archE1200ELNS1_3gpuE4ELNS1_3repE0EEENS1_30default_config_static_selectorELNS0_4arch9wavefront6targetE1EEEvSP_,"axG",@progbits,_ZN7rocprim17ROCPRIM_400000_NS6detail17trampoline_kernelINS0_14default_configENS1_29binary_search_config_selectorIfbEEZNS1_14transform_implILb0ES3_S5_N6thrust23THRUST_200600_302600_NS6detail15normal_iteratorINS8_10device_ptrIfEEEENSA_INSB_IbEEEEZNS1_13binary_searchIS3_S5_SD_SD_SF_NS1_16binary_search_opENS9_16wrapped_functionINS0_4lessIvEEbEEEE10hipError_tPvRmT1_T2_T3_mmT4_T5_P12ihipStream_tbEUlRKfE_EESM_SQ_SR_mSS_SV_bEUlT_E_NS1_11comp_targetILNS1_3genE10ELNS1_11target_archE1200ELNS1_3gpuE4ELNS1_3repE0EEENS1_30default_config_static_selectorELNS0_4arch9wavefront6targetE1EEEvSP_,comdat
.Lfunc_end426:
	.size	_ZN7rocprim17ROCPRIM_400000_NS6detail17trampoline_kernelINS0_14default_configENS1_29binary_search_config_selectorIfbEEZNS1_14transform_implILb0ES3_S5_N6thrust23THRUST_200600_302600_NS6detail15normal_iteratorINS8_10device_ptrIfEEEENSA_INSB_IbEEEEZNS1_13binary_searchIS3_S5_SD_SD_SF_NS1_16binary_search_opENS9_16wrapped_functionINS0_4lessIvEEbEEEE10hipError_tPvRmT1_T2_T3_mmT4_T5_P12ihipStream_tbEUlRKfE_EESM_SQ_SR_mSS_SV_bEUlT_E_NS1_11comp_targetILNS1_3genE10ELNS1_11target_archE1200ELNS1_3gpuE4ELNS1_3repE0EEENS1_30default_config_static_selectorELNS0_4arch9wavefront6targetE1EEEvSP_, .Lfunc_end426-_ZN7rocprim17ROCPRIM_400000_NS6detail17trampoline_kernelINS0_14default_configENS1_29binary_search_config_selectorIfbEEZNS1_14transform_implILb0ES3_S5_N6thrust23THRUST_200600_302600_NS6detail15normal_iteratorINS8_10device_ptrIfEEEENSA_INSB_IbEEEEZNS1_13binary_searchIS3_S5_SD_SD_SF_NS1_16binary_search_opENS9_16wrapped_functionINS0_4lessIvEEbEEEE10hipError_tPvRmT1_T2_T3_mmT4_T5_P12ihipStream_tbEUlRKfE_EESM_SQ_SR_mSS_SV_bEUlT_E_NS1_11comp_targetILNS1_3genE10ELNS1_11target_archE1200ELNS1_3gpuE4ELNS1_3repE0EEENS1_30default_config_static_selectorELNS0_4arch9wavefront6targetE1EEEvSP_
                                        ; -- End function
	.section	.AMDGPU.csdata,"",@progbits
; Kernel info:
; codeLenInByte = 0
; NumSgprs: 4
; NumVgprs: 0
; NumAgprs: 0
; TotalNumVgprs: 0
; ScratchSize: 0
; MemoryBound: 0
; FloatMode: 240
; IeeeMode: 1
; LDSByteSize: 0 bytes/workgroup (compile time only)
; SGPRBlocks: 0
; VGPRBlocks: 0
; NumSGPRsForWavesPerEU: 4
; NumVGPRsForWavesPerEU: 1
; AccumOffset: 4
; Occupancy: 8
; WaveLimiterHint : 0
; COMPUTE_PGM_RSRC2:SCRATCH_EN: 0
; COMPUTE_PGM_RSRC2:USER_SGPR: 6
; COMPUTE_PGM_RSRC2:TRAP_HANDLER: 0
; COMPUTE_PGM_RSRC2:TGID_X_EN: 1
; COMPUTE_PGM_RSRC2:TGID_Y_EN: 0
; COMPUTE_PGM_RSRC2:TGID_Z_EN: 0
; COMPUTE_PGM_RSRC2:TIDIG_COMP_CNT: 0
; COMPUTE_PGM_RSRC3_GFX90A:ACCUM_OFFSET: 0
; COMPUTE_PGM_RSRC3_GFX90A:TG_SPLIT: 0
	.section	.text._ZN7rocprim17ROCPRIM_400000_NS6detail17trampoline_kernelINS0_14default_configENS1_29binary_search_config_selectorIfbEEZNS1_14transform_implILb0ES3_S5_N6thrust23THRUST_200600_302600_NS6detail15normal_iteratorINS8_10device_ptrIfEEEENSA_INSB_IbEEEEZNS1_13binary_searchIS3_S5_SD_SD_SF_NS1_16binary_search_opENS9_16wrapped_functionINS0_4lessIvEEbEEEE10hipError_tPvRmT1_T2_T3_mmT4_T5_P12ihipStream_tbEUlRKfE_EESM_SQ_SR_mSS_SV_bEUlT_E_NS1_11comp_targetILNS1_3genE9ELNS1_11target_archE1100ELNS1_3gpuE3ELNS1_3repE0EEENS1_30default_config_static_selectorELNS0_4arch9wavefront6targetE1EEEvSP_,"axG",@progbits,_ZN7rocprim17ROCPRIM_400000_NS6detail17trampoline_kernelINS0_14default_configENS1_29binary_search_config_selectorIfbEEZNS1_14transform_implILb0ES3_S5_N6thrust23THRUST_200600_302600_NS6detail15normal_iteratorINS8_10device_ptrIfEEEENSA_INSB_IbEEEEZNS1_13binary_searchIS3_S5_SD_SD_SF_NS1_16binary_search_opENS9_16wrapped_functionINS0_4lessIvEEbEEEE10hipError_tPvRmT1_T2_T3_mmT4_T5_P12ihipStream_tbEUlRKfE_EESM_SQ_SR_mSS_SV_bEUlT_E_NS1_11comp_targetILNS1_3genE9ELNS1_11target_archE1100ELNS1_3gpuE3ELNS1_3repE0EEENS1_30default_config_static_selectorELNS0_4arch9wavefront6targetE1EEEvSP_,comdat
	.protected	_ZN7rocprim17ROCPRIM_400000_NS6detail17trampoline_kernelINS0_14default_configENS1_29binary_search_config_selectorIfbEEZNS1_14transform_implILb0ES3_S5_N6thrust23THRUST_200600_302600_NS6detail15normal_iteratorINS8_10device_ptrIfEEEENSA_INSB_IbEEEEZNS1_13binary_searchIS3_S5_SD_SD_SF_NS1_16binary_search_opENS9_16wrapped_functionINS0_4lessIvEEbEEEE10hipError_tPvRmT1_T2_T3_mmT4_T5_P12ihipStream_tbEUlRKfE_EESM_SQ_SR_mSS_SV_bEUlT_E_NS1_11comp_targetILNS1_3genE9ELNS1_11target_archE1100ELNS1_3gpuE3ELNS1_3repE0EEENS1_30default_config_static_selectorELNS0_4arch9wavefront6targetE1EEEvSP_ ; -- Begin function _ZN7rocprim17ROCPRIM_400000_NS6detail17trampoline_kernelINS0_14default_configENS1_29binary_search_config_selectorIfbEEZNS1_14transform_implILb0ES3_S5_N6thrust23THRUST_200600_302600_NS6detail15normal_iteratorINS8_10device_ptrIfEEEENSA_INSB_IbEEEEZNS1_13binary_searchIS3_S5_SD_SD_SF_NS1_16binary_search_opENS9_16wrapped_functionINS0_4lessIvEEbEEEE10hipError_tPvRmT1_T2_T3_mmT4_T5_P12ihipStream_tbEUlRKfE_EESM_SQ_SR_mSS_SV_bEUlT_E_NS1_11comp_targetILNS1_3genE9ELNS1_11target_archE1100ELNS1_3gpuE3ELNS1_3repE0EEENS1_30default_config_static_selectorELNS0_4arch9wavefront6targetE1EEEvSP_
	.globl	_ZN7rocprim17ROCPRIM_400000_NS6detail17trampoline_kernelINS0_14default_configENS1_29binary_search_config_selectorIfbEEZNS1_14transform_implILb0ES3_S5_N6thrust23THRUST_200600_302600_NS6detail15normal_iteratorINS8_10device_ptrIfEEEENSA_INSB_IbEEEEZNS1_13binary_searchIS3_S5_SD_SD_SF_NS1_16binary_search_opENS9_16wrapped_functionINS0_4lessIvEEbEEEE10hipError_tPvRmT1_T2_T3_mmT4_T5_P12ihipStream_tbEUlRKfE_EESM_SQ_SR_mSS_SV_bEUlT_E_NS1_11comp_targetILNS1_3genE9ELNS1_11target_archE1100ELNS1_3gpuE3ELNS1_3repE0EEENS1_30default_config_static_selectorELNS0_4arch9wavefront6targetE1EEEvSP_
	.p2align	8
	.type	_ZN7rocprim17ROCPRIM_400000_NS6detail17trampoline_kernelINS0_14default_configENS1_29binary_search_config_selectorIfbEEZNS1_14transform_implILb0ES3_S5_N6thrust23THRUST_200600_302600_NS6detail15normal_iteratorINS8_10device_ptrIfEEEENSA_INSB_IbEEEEZNS1_13binary_searchIS3_S5_SD_SD_SF_NS1_16binary_search_opENS9_16wrapped_functionINS0_4lessIvEEbEEEE10hipError_tPvRmT1_T2_T3_mmT4_T5_P12ihipStream_tbEUlRKfE_EESM_SQ_SR_mSS_SV_bEUlT_E_NS1_11comp_targetILNS1_3genE9ELNS1_11target_archE1100ELNS1_3gpuE3ELNS1_3repE0EEENS1_30default_config_static_selectorELNS0_4arch9wavefront6targetE1EEEvSP_,@function
_ZN7rocprim17ROCPRIM_400000_NS6detail17trampoline_kernelINS0_14default_configENS1_29binary_search_config_selectorIfbEEZNS1_14transform_implILb0ES3_S5_N6thrust23THRUST_200600_302600_NS6detail15normal_iteratorINS8_10device_ptrIfEEEENSA_INSB_IbEEEEZNS1_13binary_searchIS3_S5_SD_SD_SF_NS1_16binary_search_opENS9_16wrapped_functionINS0_4lessIvEEbEEEE10hipError_tPvRmT1_T2_T3_mmT4_T5_P12ihipStream_tbEUlRKfE_EESM_SQ_SR_mSS_SV_bEUlT_E_NS1_11comp_targetILNS1_3genE9ELNS1_11target_archE1100ELNS1_3gpuE3ELNS1_3repE0EEENS1_30default_config_static_selectorELNS0_4arch9wavefront6targetE1EEEvSP_: ; @_ZN7rocprim17ROCPRIM_400000_NS6detail17trampoline_kernelINS0_14default_configENS1_29binary_search_config_selectorIfbEEZNS1_14transform_implILb0ES3_S5_N6thrust23THRUST_200600_302600_NS6detail15normal_iteratorINS8_10device_ptrIfEEEENSA_INSB_IbEEEEZNS1_13binary_searchIS3_S5_SD_SD_SF_NS1_16binary_search_opENS9_16wrapped_functionINS0_4lessIvEEbEEEE10hipError_tPvRmT1_T2_T3_mmT4_T5_P12ihipStream_tbEUlRKfE_EESM_SQ_SR_mSS_SV_bEUlT_E_NS1_11comp_targetILNS1_3genE9ELNS1_11target_archE1100ELNS1_3gpuE3ELNS1_3repE0EEENS1_30default_config_static_selectorELNS0_4arch9wavefront6targetE1EEEvSP_
; %bb.0:
	.section	.rodata,"a",@progbits
	.p2align	6, 0x0
	.amdhsa_kernel _ZN7rocprim17ROCPRIM_400000_NS6detail17trampoline_kernelINS0_14default_configENS1_29binary_search_config_selectorIfbEEZNS1_14transform_implILb0ES3_S5_N6thrust23THRUST_200600_302600_NS6detail15normal_iteratorINS8_10device_ptrIfEEEENSA_INSB_IbEEEEZNS1_13binary_searchIS3_S5_SD_SD_SF_NS1_16binary_search_opENS9_16wrapped_functionINS0_4lessIvEEbEEEE10hipError_tPvRmT1_T2_T3_mmT4_T5_P12ihipStream_tbEUlRKfE_EESM_SQ_SR_mSS_SV_bEUlT_E_NS1_11comp_targetILNS1_3genE9ELNS1_11target_archE1100ELNS1_3gpuE3ELNS1_3repE0EEENS1_30default_config_static_selectorELNS0_4arch9wavefront6targetE1EEEvSP_
		.amdhsa_group_segment_fixed_size 0
		.amdhsa_private_segment_fixed_size 0
		.amdhsa_kernarg_size 56
		.amdhsa_user_sgpr_count 6
		.amdhsa_user_sgpr_private_segment_buffer 1
		.amdhsa_user_sgpr_dispatch_ptr 0
		.amdhsa_user_sgpr_queue_ptr 0
		.amdhsa_user_sgpr_kernarg_segment_ptr 1
		.amdhsa_user_sgpr_dispatch_id 0
		.amdhsa_user_sgpr_flat_scratch_init 0
		.amdhsa_user_sgpr_kernarg_preload_length 0
		.amdhsa_user_sgpr_kernarg_preload_offset 0
		.amdhsa_user_sgpr_private_segment_size 0
		.amdhsa_uses_dynamic_stack 0
		.amdhsa_system_sgpr_private_segment_wavefront_offset 0
		.amdhsa_system_sgpr_workgroup_id_x 1
		.amdhsa_system_sgpr_workgroup_id_y 0
		.amdhsa_system_sgpr_workgroup_id_z 0
		.amdhsa_system_sgpr_workgroup_info 0
		.amdhsa_system_vgpr_workitem_id 0
		.amdhsa_next_free_vgpr 1
		.amdhsa_next_free_sgpr 0
		.amdhsa_accum_offset 4
		.amdhsa_reserve_vcc 0
		.amdhsa_reserve_flat_scratch 0
		.amdhsa_float_round_mode_32 0
		.amdhsa_float_round_mode_16_64 0
		.amdhsa_float_denorm_mode_32 3
		.amdhsa_float_denorm_mode_16_64 3
		.amdhsa_dx10_clamp 1
		.amdhsa_ieee_mode 1
		.amdhsa_fp16_overflow 0
		.amdhsa_tg_split 0
		.amdhsa_exception_fp_ieee_invalid_op 0
		.amdhsa_exception_fp_denorm_src 0
		.amdhsa_exception_fp_ieee_div_zero 0
		.amdhsa_exception_fp_ieee_overflow 0
		.amdhsa_exception_fp_ieee_underflow 0
		.amdhsa_exception_fp_ieee_inexact 0
		.amdhsa_exception_int_div_zero 0
	.end_amdhsa_kernel
	.section	.text._ZN7rocprim17ROCPRIM_400000_NS6detail17trampoline_kernelINS0_14default_configENS1_29binary_search_config_selectorIfbEEZNS1_14transform_implILb0ES3_S5_N6thrust23THRUST_200600_302600_NS6detail15normal_iteratorINS8_10device_ptrIfEEEENSA_INSB_IbEEEEZNS1_13binary_searchIS3_S5_SD_SD_SF_NS1_16binary_search_opENS9_16wrapped_functionINS0_4lessIvEEbEEEE10hipError_tPvRmT1_T2_T3_mmT4_T5_P12ihipStream_tbEUlRKfE_EESM_SQ_SR_mSS_SV_bEUlT_E_NS1_11comp_targetILNS1_3genE9ELNS1_11target_archE1100ELNS1_3gpuE3ELNS1_3repE0EEENS1_30default_config_static_selectorELNS0_4arch9wavefront6targetE1EEEvSP_,"axG",@progbits,_ZN7rocprim17ROCPRIM_400000_NS6detail17trampoline_kernelINS0_14default_configENS1_29binary_search_config_selectorIfbEEZNS1_14transform_implILb0ES3_S5_N6thrust23THRUST_200600_302600_NS6detail15normal_iteratorINS8_10device_ptrIfEEEENSA_INSB_IbEEEEZNS1_13binary_searchIS3_S5_SD_SD_SF_NS1_16binary_search_opENS9_16wrapped_functionINS0_4lessIvEEbEEEE10hipError_tPvRmT1_T2_T3_mmT4_T5_P12ihipStream_tbEUlRKfE_EESM_SQ_SR_mSS_SV_bEUlT_E_NS1_11comp_targetILNS1_3genE9ELNS1_11target_archE1100ELNS1_3gpuE3ELNS1_3repE0EEENS1_30default_config_static_selectorELNS0_4arch9wavefront6targetE1EEEvSP_,comdat
.Lfunc_end427:
	.size	_ZN7rocprim17ROCPRIM_400000_NS6detail17trampoline_kernelINS0_14default_configENS1_29binary_search_config_selectorIfbEEZNS1_14transform_implILb0ES3_S5_N6thrust23THRUST_200600_302600_NS6detail15normal_iteratorINS8_10device_ptrIfEEEENSA_INSB_IbEEEEZNS1_13binary_searchIS3_S5_SD_SD_SF_NS1_16binary_search_opENS9_16wrapped_functionINS0_4lessIvEEbEEEE10hipError_tPvRmT1_T2_T3_mmT4_T5_P12ihipStream_tbEUlRKfE_EESM_SQ_SR_mSS_SV_bEUlT_E_NS1_11comp_targetILNS1_3genE9ELNS1_11target_archE1100ELNS1_3gpuE3ELNS1_3repE0EEENS1_30default_config_static_selectorELNS0_4arch9wavefront6targetE1EEEvSP_, .Lfunc_end427-_ZN7rocprim17ROCPRIM_400000_NS6detail17trampoline_kernelINS0_14default_configENS1_29binary_search_config_selectorIfbEEZNS1_14transform_implILb0ES3_S5_N6thrust23THRUST_200600_302600_NS6detail15normal_iteratorINS8_10device_ptrIfEEEENSA_INSB_IbEEEEZNS1_13binary_searchIS3_S5_SD_SD_SF_NS1_16binary_search_opENS9_16wrapped_functionINS0_4lessIvEEbEEEE10hipError_tPvRmT1_T2_T3_mmT4_T5_P12ihipStream_tbEUlRKfE_EESM_SQ_SR_mSS_SV_bEUlT_E_NS1_11comp_targetILNS1_3genE9ELNS1_11target_archE1100ELNS1_3gpuE3ELNS1_3repE0EEENS1_30default_config_static_selectorELNS0_4arch9wavefront6targetE1EEEvSP_
                                        ; -- End function
	.section	.AMDGPU.csdata,"",@progbits
; Kernel info:
; codeLenInByte = 0
; NumSgprs: 4
; NumVgprs: 0
; NumAgprs: 0
; TotalNumVgprs: 0
; ScratchSize: 0
; MemoryBound: 0
; FloatMode: 240
; IeeeMode: 1
; LDSByteSize: 0 bytes/workgroup (compile time only)
; SGPRBlocks: 0
; VGPRBlocks: 0
; NumSGPRsForWavesPerEU: 4
; NumVGPRsForWavesPerEU: 1
; AccumOffset: 4
; Occupancy: 8
; WaveLimiterHint : 0
; COMPUTE_PGM_RSRC2:SCRATCH_EN: 0
; COMPUTE_PGM_RSRC2:USER_SGPR: 6
; COMPUTE_PGM_RSRC2:TRAP_HANDLER: 0
; COMPUTE_PGM_RSRC2:TGID_X_EN: 1
; COMPUTE_PGM_RSRC2:TGID_Y_EN: 0
; COMPUTE_PGM_RSRC2:TGID_Z_EN: 0
; COMPUTE_PGM_RSRC2:TIDIG_COMP_CNT: 0
; COMPUTE_PGM_RSRC3_GFX90A:ACCUM_OFFSET: 0
; COMPUTE_PGM_RSRC3_GFX90A:TG_SPLIT: 0
	.section	.text._ZN7rocprim17ROCPRIM_400000_NS6detail17trampoline_kernelINS0_14default_configENS1_29binary_search_config_selectorIfbEEZNS1_14transform_implILb0ES3_S5_N6thrust23THRUST_200600_302600_NS6detail15normal_iteratorINS8_10device_ptrIfEEEENSA_INSB_IbEEEEZNS1_13binary_searchIS3_S5_SD_SD_SF_NS1_16binary_search_opENS9_16wrapped_functionINS0_4lessIvEEbEEEE10hipError_tPvRmT1_T2_T3_mmT4_T5_P12ihipStream_tbEUlRKfE_EESM_SQ_SR_mSS_SV_bEUlT_E_NS1_11comp_targetILNS1_3genE8ELNS1_11target_archE1030ELNS1_3gpuE2ELNS1_3repE0EEENS1_30default_config_static_selectorELNS0_4arch9wavefront6targetE1EEEvSP_,"axG",@progbits,_ZN7rocprim17ROCPRIM_400000_NS6detail17trampoline_kernelINS0_14default_configENS1_29binary_search_config_selectorIfbEEZNS1_14transform_implILb0ES3_S5_N6thrust23THRUST_200600_302600_NS6detail15normal_iteratorINS8_10device_ptrIfEEEENSA_INSB_IbEEEEZNS1_13binary_searchIS3_S5_SD_SD_SF_NS1_16binary_search_opENS9_16wrapped_functionINS0_4lessIvEEbEEEE10hipError_tPvRmT1_T2_T3_mmT4_T5_P12ihipStream_tbEUlRKfE_EESM_SQ_SR_mSS_SV_bEUlT_E_NS1_11comp_targetILNS1_3genE8ELNS1_11target_archE1030ELNS1_3gpuE2ELNS1_3repE0EEENS1_30default_config_static_selectorELNS0_4arch9wavefront6targetE1EEEvSP_,comdat
	.protected	_ZN7rocprim17ROCPRIM_400000_NS6detail17trampoline_kernelINS0_14default_configENS1_29binary_search_config_selectorIfbEEZNS1_14transform_implILb0ES3_S5_N6thrust23THRUST_200600_302600_NS6detail15normal_iteratorINS8_10device_ptrIfEEEENSA_INSB_IbEEEEZNS1_13binary_searchIS3_S5_SD_SD_SF_NS1_16binary_search_opENS9_16wrapped_functionINS0_4lessIvEEbEEEE10hipError_tPvRmT1_T2_T3_mmT4_T5_P12ihipStream_tbEUlRKfE_EESM_SQ_SR_mSS_SV_bEUlT_E_NS1_11comp_targetILNS1_3genE8ELNS1_11target_archE1030ELNS1_3gpuE2ELNS1_3repE0EEENS1_30default_config_static_selectorELNS0_4arch9wavefront6targetE1EEEvSP_ ; -- Begin function _ZN7rocprim17ROCPRIM_400000_NS6detail17trampoline_kernelINS0_14default_configENS1_29binary_search_config_selectorIfbEEZNS1_14transform_implILb0ES3_S5_N6thrust23THRUST_200600_302600_NS6detail15normal_iteratorINS8_10device_ptrIfEEEENSA_INSB_IbEEEEZNS1_13binary_searchIS3_S5_SD_SD_SF_NS1_16binary_search_opENS9_16wrapped_functionINS0_4lessIvEEbEEEE10hipError_tPvRmT1_T2_T3_mmT4_T5_P12ihipStream_tbEUlRKfE_EESM_SQ_SR_mSS_SV_bEUlT_E_NS1_11comp_targetILNS1_3genE8ELNS1_11target_archE1030ELNS1_3gpuE2ELNS1_3repE0EEENS1_30default_config_static_selectorELNS0_4arch9wavefront6targetE1EEEvSP_
	.globl	_ZN7rocprim17ROCPRIM_400000_NS6detail17trampoline_kernelINS0_14default_configENS1_29binary_search_config_selectorIfbEEZNS1_14transform_implILb0ES3_S5_N6thrust23THRUST_200600_302600_NS6detail15normal_iteratorINS8_10device_ptrIfEEEENSA_INSB_IbEEEEZNS1_13binary_searchIS3_S5_SD_SD_SF_NS1_16binary_search_opENS9_16wrapped_functionINS0_4lessIvEEbEEEE10hipError_tPvRmT1_T2_T3_mmT4_T5_P12ihipStream_tbEUlRKfE_EESM_SQ_SR_mSS_SV_bEUlT_E_NS1_11comp_targetILNS1_3genE8ELNS1_11target_archE1030ELNS1_3gpuE2ELNS1_3repE0EEENS1_30default_config_static_selectorELNS0_4arch9wavefront6targetE1EEEvSP_
	.p2align	8
	.type	_ZN7rocprim17ROCPRIM_400000_NS6detail17trampoline_kernelINS0_14default_configENS1_29binary_search_config_selectorIfbEEZNS1_14transform_implILb0ES3_S5_N6thrust23THRUST_200600_302600_NS6detail15normal_iteratorINS8_10device_ptrIfEEEENSA_INSB_IbEEEEZNS1_13binary_searchIS3_S5_SD_SD_SF_NS1_16binary_search_opENS9_16wrapped_functionINS0_4lessIvEEbEEEE10hipError_tPvRmT1_T2_T3_mmT4_T5_P12ihipStream_tbEUlRKfE_EESM_SQ_SR_mSS_SV_bEUlT_E_NS1_11comp_targetILNS1_3genE8ELNS1_11target_archE1030ELNS1_3gpuE2ELNS1_3repE0EEENS1_30default_config_static_selectorELNS0_4arch9wavefront6targetE1EEEvSP_,@function
_ZN7rocprim17ROCPRIM_400000_NS6detail17trampoline_kernelINS0_14default_configENS1_29binary_search_config_selectorIfbEEZNS1_14transform_implILb0ES3_S5_N6thrust23THRUST_200600_302600_NS6detail15normal_iteratorINS8_10device_ptrIfEEEENSA_INSB_IbEEEEZNS1_13binary_searchIS3_S5_SD_SD_SF_NS1_16binary_search_opENS9_16wrapped_functionINS0_4lessIvEEbEEEE10hipError_tPvRmT1_T2_T3_mmT4_T5_P12ihipStream_tbEUlRKfE_EESM_SQ_SR_mSS_SV_bEUlT_E_NS1_11comp_targetILNS1_3genE8ELNS1_11target_archE1030ELNS1_3gpuE2ELNS1_3repE0EEENS1_30default_config_static_selectorELNS0_4arch9wavefront6targetE1EEEvSP_: ; @_ZN7rocprim17ROCPRIM_400000_NS6detail17trampoline_kernelINS0_14default_configENS1_29binary_search_config_selectorIfbEEZNS1_14transform_implILb0ES3_S5_N6thrust23THRUST_200600_302600_NS6detail15normal_iteratorINS8_10device_ptrIfEEEENSA_INSB_IbEEEEZNS1_13binary_searchIS3_S5_SD_SD_SF_NS1_16binary_search_opENS9_16wrapped_functionINS0_4lessIvEEbEEEE10hipError_tPvRmT1_T2_T3_mmT4_T5_P12ihipStream_tbEUlRKfE_EESM_SQ_SR_mSS_SV_bEUlT_E_NS1_11comp_targetILNS1_3genE8ELNS1_11target_archE1030ELNS1_3gpuE2ELNS1_3repE0EEENS1_30default_config_static_selectorELNS0_4arch9wavefront6targetE1EEEvSP_
; %bb.0:
	.section	.rodata,"a",@progbits
	.p2align	6, 0x0
	.amdhsa_kernel _ZN7rocprim17ROCPRIM_400000_NS6detail17trampoline_kernelINS0_14default_configENS1_29binary_search_config_selectorIfbEEZNS1_14transform_implILb0ES3_S5_N6thrust23THRUST_200600_302600_NS6detail15normal_iteratorINS8_10device_ptrIfEEEENSA_INSB_IbEEEEZNS1_13binary_searchIS3_S5_SD_SD_SF_NS1_16binary_search_opENS9_16wrapped_functionINS0_4lessIvEEbEEEE10hipError_tPvRmT1_T2_T3_mmT4_T5_P12ihipStream_tbEUlRKfE_EESM_SQ_SR_mSS_SV_bEUlT_E_NS1_11comp_targetILNS1_3genE8ELNS1_11target_archE1030ELNS1_3gpuE2ELNS1_3repE0EEENS1_30default_config_static_selectorELNS0_4arch9wavefront6targetE1EEEvSP_
		.amdhsa_group_segment_fixed_size 0
		.amdhsa_private_segment_fixed_size 0
		.amdhsa_kernarg_size 56
		.amdhsa_user_sgpr_count 6
		.amdhsa_user_sgpr_private_segment_buffer 1
		.amdhsa_user_sgpr_dispatch_ptr 0
		.amdhsa_user_sgpr_queue_ptr 0
		.amdhsa_user_sgpr_kernarg_segment_ptr 1
		.amdhsa_user_sgpr_dispatch_id 0
		.amdhsa_user_sgpr_flat_scratch_init 0
		.amdhsa_user_sgpr_kernarg_preload_length 0
		.amdhsa_user_sgpr_kernarg_preload_offset 0
		.amdhsa_user_sgpr_private_segment_size 0
		.amdhsa_uses_dynamic_stack 0
		.amdhsa_system_sgpr_private_segment_wavefront_offset 0
		.amdhsa_system_sgpr_workgroup_id_x 1
		.amdhsa_system_sgpr_workgroup_id_y 0
		.amdhsa_system_sgpr_workgroup_id_z 0
		.amdhsa_system_sgpr_workgroup_info 0
		.amdhsa_system_vgpr_workitem_id 0
		.amdhsa_next_free_vgpr 1
		.amdhsa_next_free_sgpr 0
		.amdhsa_accum_offset 4
		.amdhsa_reserve_vcc 0
		.amdhsa_reserve_flat_scratch 0
		.amdhsa_float_round_mode_32 0
		.amdhsa_float_round_mode_16_64 0
		.amdhsa_float_denorm_mode_32 3
		.amdhsa_float_denorm_mode_16_64 3
		.amdhsa_dx10_clamp 1
		.amdhsa_ieee_mode 1
		.amdhsa_fp16_overflow 0
		.amdhsa_tg_split 0
		.amdhsa_exception_fp_ieee_invalid_op 0
		.amdhsa_exception_fp_denorm_src 0
		.amdhsa_exception_fp_ieee_div_zero 0
		.amdhsa_exception_fp_ieee_overflow 0
		.amdhsa_exception_fp_ieee_underflow 0
		.amdhsa_exception_fp_ieee_inexact 0
		.amdhsa_exception_int_div_zero 0
	.end_amdhsa_kernel
	.section	.text._ZN7rocprim17ROCPRIM_400000_NS6detail17trampoline_kernelINS0_14default_configENS1_29binary_search_config_selectorIfbEEZNS1_14transform_implILb0ES3_S5_N6thrust23THRUST_200600_302600_NS6detail15normal_iteratorINS8_10device_ptrIfEEEENSA_INSB_IbEEEEZNS1_13binary_searchIS3_S5_SD_SD_SF_NS1_16binary_search_opENS9_16wrapped_functionINS0_4lessIvEEbEEEE10hipError_tPvRmT1_T2_T3_mmT4_T5_P12ihipStream_tbEUlRKfE_EESM_SQ_SR_mSS_SV_bEUlT_E_NS1_11comp_targetILNS1_3genE8ELNS1_11target_archE1030ELNS1_3gpuE2ELNS1_3repE0EEENS1_30default_config_static_selectorELNS0_4arch9wavefront6targetE1EEEvSP_,"axG",@progbits,_ZN7rocprim17ROCPRIM_400000_NS6detail17trampoline_kernelINS0_14default_configENS1_29binary_search_config_selectorIfbEEZNS1_14transform_implILb0ES3_S5_N6thrust23THRUST_200600_302600_NS6detail15normal_iteratorINS8_10device_ptrIfEEEENSA_INSB_IbEEEEZNS1_13binary_searchIS3_S5_SD_SD_SF_NS1_16binary_search_opENS9_16wrapped_functionINS0_4lessIvEEbEEEE10hipError_tPvRmT1_T2_T3_mmT4_T5_P12ihipStream_tbEUlRKfE_EESM_SQ_SR_mSS_SV_bEUlT_E_NS1_11comp_targetILNS1_3genE8ELNS1_11target_archE1030ELNS1_3gpuE2ELNS1_3repE0EEENS1_30default_config_static_selectorELNS0_4arch9wavefront6targetE1EEEvSP_,comdat
.Lfunc_end428:
	.size	_ZN7rocprim17ROCPRIM_400000_NS6detail17trampoline_kernelINS0_14default_configENS1_29binary_search_config_selectorIfbEEZNS1_14transform_implILb0ES3_S5_N6thrust23THRUST_200600_302600_NS6detail15normal_iteratorINS8_10device_ptrIfEEEENSA_INSB_IbEEEEZNS1_13binary_searchIS3_S5_SD_SD_SF_NS1_16binary_search_opENS9_16wrapped_functionINS0_4lessIvEEbEEEE10hipError_tPvRmT1_T2_T3_mmT4_T5_P12ihipStream_tbEUlRKfE_EESM_SQ_SR_mSS_SV_bEUlT_E_NS1_11comp_targetILNS1_3genE8ELNS1_11target_archE1030ELNS1_3gpuE2ELNS1_3repE0EEENS1_30default_config_static_selectorELNS0_4arch9wavefront6targetE1EEEvSP_, .Lfunc_end428-_ZN7rocprim17ROCPRIM_400000_NS6detail17trampoline_kernelINS0_14default_configENS1_29binary_search_config_selectorIfbEEZNS1_14transform_implILb0ES3_S5_N6thrust23THRUST_200600_302600_NS6detail15normal_iteratorINS8_10device_ptrIfEEEENSA_INSB_IbEEEEZNS1_13binary_searchIS3_S5_SD_SD_SF_NS1_16binary_search_opENS9_16wrapped_functionINS0_4lessIvEEbEEEE10hipError_tPvRmT1_T2_T3_mmT4_T5_P12ihipStream_tbEUlRKfE_EESM_SQ_SR_mSS_SV_bEUlT_E_NS1_11comp_targetILNS1_3genE8ELNS1_11target_archE1030ELNS1_3gpuE2ELNS1_3repE0EEENS1_30default_config_static_selectorELNS0_4arch9wavefront6targetE1EEEvSP_
                                        ; -- End function
	.section	.AMDGPU.csdata,"",@progbits
; Kernel info:
; codeLenInByte = 0
; NumSgprs: 4
; NumVgprs: 0
; NumAgprs: 0
; TotalNumVgprs: 0
; ScratchSize: 0
; MemoryBound: 0
; FloatMode: 240
; IeeeMode: 1
; LDSByteSize: 0 bytes/workgroup (compile time only)
; SGPRBlocks: 0
; VGPRBlocks: 0
; NumSGPRsForWavesPerEU: 4
; NumVGPRsForWavesPerEU: 1
; AccumOffset: 4
; Occupancy: 8
; WaveLimiterHint : 0
; COMPUTE_PGM_RSRC2:SCRATCH_EN: 0
; COMPUTE_PGM_RSRC2:USER_SGPR: 6
; COMPUTE_PGM_RSRC2:TRAP_HANDLER: 0
; COMPUTE_PGM_RSRC2:TGID_X_EN: 1
; COMPUTE_PGM_RSRC2:TGID_Y_EN: 0
; COMPUTE_PGM_RSRC2:TGID_Z_EN: 0
; COMPUTE_PGM_RSRC2:TIDIG_COMP_CNT: 0
; COMPUTE_PGM_RSRC3_GFX90A:ACCUM_OFFSET: 0
; COMPUTE_PGM_RSRC3_GFX90A:TG_SPLIT: 0
	.section	.text._ZN7rocprim17ROCPRIM_400000_NS6detail17trampoline_kernelINS0_14default_configENS1_29binary_search_config_selectorIfiEEZNS1_14transform_implILb0ES3_S5_N6thrust23THRUST_200600_302600_NS6detail15normal_iteratorINS8_10device_ptrIfEEEENSA_INSB_IiEEEEZNS1_13binary_searchIS3_S5_SD_SD_SF_NS1_16binary_search_opENS9_16wrapped_functionINS0_4lessIvEEbEEEE10hipError_tPvRmT1_T2_T3_mmT4_T5_P12ihipStream_tbEUlRKfE_EESM_SQ_SR_mSS_SV_bEUlT_E_NS1_11comp_targetILNS1_3genE0ELNS1_11target_archE4294967295ELNS1_3gpuE0ELNS1_3repE0EEENS1_30default_config_static_selectorELNS0_4arch9wavefront6targetE1EEEvSP_,"axG",@progbits,_ZN7rocprim17ROCPRIM_400000_NS6detail17trampoline_kernelINS0_14default_configENS1_29binary_search_config_selectorIfiEEZNS1_14transform_implILb0ES3_S5_N6thrust23THRUST_200600_302600_NS6detail15normal_iteratorINS8_10device_ptrIfEEEENSA_INSB_IiEEEEZNS1_13binary_searchIS3_S5_SD_SD_SF_NS1_16binary_search_opENS9_16wrapped_functionINS0_4lessIvEEbEEEE10hipError_tPvRmT1_T2_T3_mmT4_T5_P12ihipStream_tbEUlRKfE_EESM_SQ_SR_mSS_SV_bEUlT_E_NS1_11comp_targetILNS1_3genE0ELNS1_11target_archE4294967295ELNS1_3gpuE0ELNS1_3repE0EEENS1_30default_config_static_selectorELNS0_4arch9wavefront6targetE1EEEvSP_,comdat
	.protected	_ZN7rocprim17ROCPRIM_400000_NS6detail17trampoline_kernelINS0_14default_configENS1_29binary_search_config_selectorIfiEEZNS1_14transform_implILb0ES3_S5_N6thrust23THRUST_200600_302600_NS6detail15normal_iteratorINS8_10device_ptrIfEEEENSA_INSB_IiEEEEZNS1_13binary_searchIS3_S5_SD_SD_SF_NS1_16binary_search_opENS9_16wrapped_functionINS0_4lessIvEEbEEEE10hipError_tPvRmT1_T2_T3_mmT4_T5_P12ihipStream_tbEUlRKfE_EESM_SQ_SR_mSS_SV_bEUlT_E_NS1_11comp_targetILNS1_3genE0ELNS1_11target_archE4294967295ELNS1_3gpuE0ELNS1_3repE0EEENS1_30default_config_static_selectorELNS0_4arch9wavefront6targetE1EEEvSP_ ; -- Begin function _ZN7rocprim17ROCPRIM_400000_NS6detail17trampoline_kernelINS0_14default_configENS1_29binary_search_config_selectorIfiEEZNS1_14transform_implILb0ES3_S5_N6thrust23THRUST_200600_302600_NS6detail15normal_iteratorINS8_10device_ptrIfEEEENSA_INSB_IiEEEEZNS1_13binary_searchIS3_S5_SD_SD_SF_NS1_16binary_search_opENS9_16wrapped_functionINS0_4lessIvEEbEEEE10hipError_tPvRmT1_T2_T3_mmT4_T5_P12ihipStream_tbEUlRKfE_EESM_SQ_SR_mSS_SV_bEUlT_E_NS1_11comp_targetILNS1_3genE0ELNS1_11target_archE4294967295ELNS1_3gpuE0ELNS1_3repE0EEENS1_30default_config_static_selectorELNS0_4arch9wavefront6targetE1EEEvSP_
	.globl	_ZN7rocprim17ROCPRIM_400000_NS6detail17trampoline_kernelINS0_14default_configENS1_29binary_search_config_selectorIfiEEZNS1_14transform_implILb0ES3_S5_N6thrust23THRUST_200600_302600_NS6detail15normal_iteratorINS8_10device_ptrIfEEEENSA_INSB_IiEEEEZNS1_13binary_searchIS3_S5_SD_SD_SF_NS1_16binary_search_opENS9_16wrapped_functionINS0_4lessIvEEbEEEE10hipError_tPvRmT1_T2_T3_mmT4_T5_P12ihipStream_tbEUlRKfE_EESM_SQ_SR_mSS_SV_bEUlT_E_NS1_11comp_targetILNS1_3genE0ELNS1_11target_archE4294967295ELNS1_3gpuE0ELNS1_3repE0EEENS1_30default_config_static_selectorELNS0_4arch9wavefront6targetE1EEEvSP_
	.p2align	8
	.type	_ZN7rocprim17ROCPRIM_400000_NS6detail17trampoline_kernelINS0_14default_configENS1_29binary_search_config_selectorIfiEEZNS1_14transform_implILb0ES3_S5_N6thrust23THRUST_200600_302600_NS6detail15normal_iteratorINS8_10device_ptrIfEEEENSA_INSB_IiEEEEZNS1_13binary_searchIS3_S5_SD_SD_SF_NS1_16binary_search_opENS9_16wrapped_functionINS0_4lessIvEEbEEEE10hipError_tPvRmT1_T2_T3_mmT4_T5_P12ihipStream_tbEUlRKfE_EESM_SQ_SR_mSS_SV_bEUlT_E_NS1_11comp_targetILNS1_3genE0ELNS1_11target_archE4294967295ELNS1_3gpuE0ELNS1_3repE0EEENS1_30default_config_static_selectorELNS0_4arch9wavefront6targetE1EEEvSP_,@function
_ZN7rocprim17ROCPRIM_400000_NS6detail17trampoline_kernelINS0_14default_configENS1_29binary_search_config_selectorIfiEEZNS1_14transform_implILb0ES3_S5_N6thrust23THRUST_200600_302600_NS6detail15normal_iteratorINS8_10device_ptrIfEEEENSA_INSB_IiEEEEZNS1_13binary_searchIS3_S5_SD_SD_SF_NS1_16binary_search_opENS9_16wrapped_functionINS0_4lessIvEEbEEEE10hipError_tPvRmT1_T2_T3_mmT4_T5_P12ihipStream_tbEUlRKfE_EESM_SQ_SR_mSS_SV_bEUlT_E_NS1_11comp_targetILNS1_3genE0ELNS1_11target_archE4294967295ELNS1_3gpuE0ELNS1_3repE0EEENS1_30default_config_static_selectorELNS0_4arch9wavefront6targetE1EEEvSP_: ; @_ZN7rocprim17ROCPRIM_400000_NS6detail17trampoline_kernelINS0_14default_configENS1_29binary_search_config_selectorIfiEEZNS1_14transform_implILb0ES3_S5_N6thrust23THRUST_200600_302600_NS6detail15normal_iteratorINS8_10device_ptrIfEEEENSA_INSB_IiEEEEZNS1_13binary_searchIS3_S5_SD_SD_SF_NS1_16binary_search_opENS9_16wrapped_functionINS0_4lessIvEEbEEEE10hipError_tPvRmT1_T2_T3_mmT4_T5_P12ihipStream_tbEUlRKfE_EESM_SQ_SR_mSS_SV_bEUlT_E_NS1_11comp_targetILNS1_3genE0ELNS1_11target_archE4294967295ELNS1_3gpuE0ELNS1_3repE0EEENS1_30default_config_static_selectorELNS0_4arch9wavefront6targetE1EEEvSP_
; %bb.0:
	.section	.rodata,"a",@progbits
	.p2align	6, 0x0
	.amdhsa_kernel _ZN7rocprim17ROCPRIM_400000_NS6detail17trampoline_kernelINS0_14default_configENS1_29binary_search_config_selectorIfiEEZNS1_14transform_implILb0ES3_S5_N6thrust23THRUST_200600_302600_NS6detail15normal_iteratorINS8_10device_ptrIfEEEENSA_INSB_IiEEEEZNS1_13binary_searchIS3_S5_SD_SD_SF_NS1_16binary_search_opENS9_16wrapped_functionINS0_4lessIvEEbEEEE10hipError_tPvRmT1_T2_T3_mmT4_T5_P12ihipStream_tbEUlRKfE_EESM_SQ_SR_mSS_SV_bEUlT_E_NS1_11comp_targetILNS1_3genE0ELNS1_11target_archE4294967295ELNS1_3gpuE0ELNS1_3repE0EEENS1_30default_config_static_selectorELNS0_4arch9wavefront6targetE1EEEvSP_
		.amdhsa_group_segment_fixed_size 0
		.amdhsa_private_segment_fixed_size 0
		.amdhsa_kernarg_size 56
		.amdhsa_user_sgpr_count 6
		.amdhsa_user_sgpr_private_segment_buffer 1
		.amdhsa_user_sgpr_dispatch_ptr 0
		.amdhsa_user_sgpr_queue_ptr 0
		.amdhsa_user_sgpr_kernarg_segment_ptr 1
		.amdhsa_user_sgpr_dispatch_id 0
		.amdhsa_user_sgpr_flat_scratch_init 0
		.amdhsa_user_sgpr_kernarg_preload_length 0
		.amdhsa_user_sgpr_kernarg_preload_offset 0
		.amdhsa_user_sgpr_private_segment_size 0
		.amdhsa_uses_dynamic_stack 0
		.amdhsa_system_sgpr_private_segment_wavefront_offset 0
		.amdhsa_system_sgpr_workgroup_id_x 1
		.amdhsa_system_sgpr_workgroup_id_y 0
		.amdhsa_system_sgpr_workgroup_id_z 0
		.amdhsa_system_sgpr_workgroup_info 0
		.amdhsa_system_vgpr_workitem_id 0
		.amdhsa_next_free_vgpr 1
		.amdhsa_next_free_sgpr 0
		.amdhsa_accum_offset 4
		.amdhsa_reserve_vcc 0
		.amdhsa_reserve_flat_scratch 0
		.amdhsa_float_round_mode_32 0
		.amdhsa_float_round_mode_16_64 0
		.amdhsa_float_denorm_mode_32 3
		.amdhsa_float_denorm_mode_16_64 3
		.amdhsa_dx10_clamp 1
		.amdhsa_ieee_mode 1
		.amdhsa_fp16_overflow 0
		.amdhsa_tg_split 0
		.amdhsa_exception_fp_ieee_invalid_op 0
		.amdhsa_exception_fp_denorm_src 0
		.amdhsa_exception_fp_ieee_div_zero 0
		.amdhsa_exception_fp_ieee_overflow 0
		.amdhsa_exception_fp_ieee_underflow 0
		.amdhsa_exception_fp_ieee_inexact 0
		.amdhsa_exception_int_div_zero 0
	.end_amdhsa_kernel
	.section	.text._ZN7rocprim17ROCPRIM_400000_NS6detail17trampoline_kernelINS0_14default_configENS1_29binary_search_config_selectorIfiEEZNS1_14transform_implILb0ES3_S5_N6thrust23THRUST_200600_302600_NS6detail15normal_iteratorINS8_10device_ptrIfEEEENSA_INSB_IiEEEEZNS1_13binary_searchIS3_S5_SD_SD_SF_NS1_16binary_search_opENS9_16wrapped_functionINS0_4lessIvEEbEEEE10hipError_tPvRmT1_T2_T3_mmT4_T5_P12ihipStream_tbEUlRKfE_EESM_SQ_SR_mSS_SV_bEUlT_E_NS1_11comp_targetILNS1_3genE0ELNS1_11target_archE4294967295ELNS1_3gpuE0ELNS1_3repE0EEENS1_30default_config_static_selectorELNS0_4arch9wavefront6targetE1EEEvSP_,"axG",@progbits,_ZN7rocprim17ROCPRIM_400000_NS6detail17trampoline_kernelINS0_14default_configENS1_29binary_search_config_selectorIfiEEZNS1_14transform_implILb0ES3_S5_N6thrust23THRUST_200600_302600_NS6detail15normal_iteratorINS8_10device_ptrIfEEEENSA_INSB_IiEEEEZNS1_13binary_searchIS3_S5_SD_SD_SF_NS1_16binary_search_opENS9_16wrapped_functionINS0_4lessIvEEbEEEE10hipError_tPvRmT1_T2_T3_mmT4_T5_P12ihipStream_tbEUlRKfE_EESM_SQ_SR_mSS_SV_bEUlT_E_NS1_11comp_targetILNS1_3genE0ELNS1_11target_archE4294967295ELNS1_3gpuE0ELNS1_3repE0EEENS1_30default_config_static_selectorELNS0_4arch9wavefront6targetE1EEEvSP_,comdat
.Lfunc_end429:
	.size	_ZN7rocprim17ROCPRIM_400000_NS6detail17trampoline_kernelINS0_14default_configENS1_29binary_search_config_selectorIfiEEZNS1_14transform_implILb0ES3_S5_N6thrust23THRUST_200600_302600_NS6detail15normal_iteratorINS8_10device_ptrIfEEEENSA_INSB_IiEEEEZNS1_13binary_searchIS3_S5_SD_SD_SF_NS1_16binary_search_opENS9_16wrapped_functionINS0_4lessIvEEbEEEE10hipError_tPvRmT1_T2_T3_mmT4_T5_P12ihipStream_tbEUlRKfE_EESM_SQ_SR_mSS_SV_bEUlT_E_NS1_11comp_targetILNS1_3genE0ELNS1_11target_archE4294967295ELNS1_3gpuE0ELNS1_3repE0EEENS1_30default_config_static_selectorELNS0_4arch9wavefront6targetE1EEEvSP_, .Lfunc_end429-_ZN7rocprim17ROCPRIM_400000_NS6detail17trampoline_kernelINS0_14default_configENS1_29binary_search_config_selectorIfiEEZNS1_14transform_implILb0ES3_S5_N6thrust23THRUST_200600_302600_NS6detail15normal_iteratorINS8_10device_ptrIfEEEENSA_INSB_IiEEEEZNS1_13binary_searchIS3_S5_SD_SD_SF_NS1_16binary_search_opENS9_16wrapped_functionINS0_4lessIvEEbEEEE10hipError_tPvRmT1_T2_T3_mmT4_T5_P12ihipStream_tbEUlRKfE_EESM_SQ_SR_mSS_SV_bEUlT_E_NS1_11comp_targetILNS1_3genE0ELNS1_11target_archE4294967295ELNS1_3gpuE0ELNS1_3repE0EEENS1_30default_config_static_selectorELNS0_4arch9wavefront6targetE1EEEvSP_
                                        ; -- End function
	.section	.AMDGPU.csdata,"",@progbits
; Kernel info:
; codeLenInByte = 0
; NumSgprs: 4
; NumVgprs: 0
; NumAgprs: 0
; TotalNumVgprs: 0
; ScratchSize: 0
; MemoryBound: 0
; FloatMode: 240
; IeeeMode: 1
; LDSByteSize: 0 bytes/workgroup (compile time only)
; SGPRBlocks: 0
; VGPRBlocks: 0
; NumSGPRsForWavesPerEU: 4
; NumVGPRsForWavesPerEU: 1
; AccumOffset: 4
; Occupancy: 8
; WaveLimiterHint : 0
; COMPUTE_PGM_RSRC2:SCRATCH_EN: 0
; COMPUTE_PGM_RSRC2:USER_SGPR: 6
; COMPUTE_PGM_RSRC2:TRAP_HANDLER: 0
; COMPUTE_PGM_RSRC2:TGID_X_EN: 1
; COMPUTE_PGM_RSRC2:TGID_Y_EN: 0
; COMPUTE_PGM_RSRC2:TGID_Z_EN: 0
; COMPUTE_PGM_RSRC2:TIDIG_COMP_CNT: 0
; COMPUTE_PGM_RSRC3_GFX90A:ACCUM_OFFSET: 0
; COMPUTE_PGM_RSRC3_GFX90A:TG_SPLIT: 0
	.section	.text._ZN7rocprim17ROCPRIM_400000_NS6detail17trampoline_kernelINS0_14default_configENS1_29binary_search_config_selectorIfiEEZNS1_14transform_implILb0ES3_S5_N6thrust23THRUST_200600_302600_NS6detail15normal_iteratorINS8_10device_ptrIfEEEENSA_INSB_IiEEEEZNS1_13binary_searchIS3_S5_SD_SD_SF_NS1_16binary_search_opENS9_16wrapped_functionINS0_4lessIvEEbEEEE10hipError_tPvRmT1_T2_T3_mmT4_T5_P12ihipStream_tbEUlRKfE_EESM_SQ_SR_mSS_SV_bEUlT_E_NS1_11comp_targetILNS1_3genE5ELNS1_11target_archE942ELNS1_3gpuE9ELNS1_3repE0EEENS1_30default_config_static_selectorELNS0_4arch9wavefront6targetE1EEEvSP_,"axG",@progbits,_ZN7rocprim17ROCPRIM_400000_NS6detail17trampoline_kernelINS0_14default_configENS1_29binary_search_config_selectorIfiEEZNS1_14transform_implILb0ES3_S5_N6thrust23THRUST_200600_302600_NS6detail15normal_iteratorINS8_10device_ptrIfEEEENSA_INSB_IiEEEEZNS1_13binary_searchIS3_S5_SD_SD_SF_NS1_16binary_search_opENS9_16wrapped_functionINS0_4lessIvEEbEEEE10hipError_tPvRmT1_T2_T3_mmT4_T5_P12ihipStream_tbEUlRKfE_EESM_SQ_SR_mSS_SV_bEUlT_E_NS1_11comp_targetILNS1_3genE5ELNS1_11target_archE942ELNS1_3gpuE9ELNS1_3repE0EEENS1_30default_config_static_selectorELNS0_4arch9wavefront6targetE1EEEvSP_,comdat
	.protected	_ZN7rocprim17ROCPRIM_400000_NS6detail17trampoline_kernelINS0_14default_configENS1_29binary_search_config_selectorIfiEEZNS1_14transform_implILb0ES3_S5_N6thrust23THRUST_200600_302600_NS6detail15normal_iteratorINS8_10device_ptrIfEEEENSA_INSB_IiEEEEZNS1_13binary_searchIS3_S5_SD_SD_SF_NS1_16binary_search_opENS9_16wrapped_functionINS0_4lessIvEEbEEEE10hipError_tPvRmT1_T2_T3_mmT4_T5_P12ihipStream_tbEUlRKfE_EESM_SQ_SR_mSS_SV_bEUlT_E_NS1_11comp_targetILNS1_3genE5ELNS1_11target_archE942ELNS1_3gpuE9ELNS1_3repE0EEENS1_30default_config_static_selectorELNS0_4arch9wavefront6targetE1EEEvSP_ ; -- Begin function _ZN7rocprim17ROCPRIM_400000_NS6detail17trampoline_kernelINS0_14default_configENS1_29binary_search_config_selectorIfiEEZNS1_14transform_implILb0ES3_S5_N6thrust23THRUST_200600_302600_NS6detail15normal_iteratorINS8_10device_ptrIfEEEENSA_INSB_IiEEEEZNS1_13binary_searchIS3_S5_SD_SD_SF_NS1_16binary_search_opENS9_16wrapped_functionINS0_4lessIvEEbEEEE10hipError_tPvRmT1_T2_T3_mmT4_T5_P12ihipStream_tbEUlRKfE_EESM_SQ_SR_mSS_SV_bEUlT_E_NS1_11comp_targetILNS1_3genE5ELNS1_11target_archE942ELNS1_3gpuE9ELNS1_3repE0EEENS1_30default_config_static_selectorELNS0_4arch9wavefront6targetE1EEEvSP_
	.globl	_ZN7rocprim17ROCPRIM_400000_NS6detail17trampoline_kernelINS0_14default_configENS1_29binary_search_config_selectorIfiEEZNS1_14transform_implILb0ES3_S5_N6thrust23THRUST_200600_302600_NS6detail15normal_iteratorINS8_10device_ptrIfEEEENSA_INSB_IiEEEEZNS1_13binary_searchIS3_S5_SD_SD_SF_NS1_16binary_search_opENS9_16wrapped_functionINS0_4lessIvEEbEEEE10hipError_tPvRmT1_T2_T3_mmT4_T5_P12ihipStream_tbEUlRKfE_EESM_SQ_SR_mSS_SV_bEUlT_E_NS1_11comp_targetILNS1_3genE5ELNS1_11target_archE942ELNS1_3gpuE9ELNS1_3repE0EEENS1_30default_config_static_selectorELNS0_4arch9wavefront6targetE1EEEvSP_
	.p2align	8
	.type	_ZN7rocprim17ROCPRIM_400000_NS6detail17trampoline_kernelINS0_14default_configENS1_29binary_search_config_selectorIfiEEZNS1_14transform_implILb0ES3_S5_N6thrust23THRUST_200600_302600_NS6detail15normal_iteratorINS8_10device_ptrIfEEEENSA_INSB_IiEEEEZNS1_13binary_searchIS3_S5_SD_SD_SF_NS1_16binary_search_opENS9_16wrapped_functionINS0_4lessIvEEbEEEE10hipError_tPvRmT1_T2_T3_mmT4_T5_P12ihipStream_tbEUlRKfE_EESM_SQ_SR_mSS_SV_bEUlT_E_NS1_11comp_targetILNS1_3genE5ELNS1_11target_archE942ELNS1_3gpuE9ELNS1_3repE0EEENS1_30default_config_static_selectorELNS0_4arch9wavefront6targetE1EEEvSP_,@function
_ZN7rocprim17ROCPRIM_400000_NS6detail17trampoline_kernelINS0_14default_configENS1_29binary_search_config_selectorIfiEEZNS1_14transform_implILb0ES3_S5_N6thrust23THRUST_200600_302600_NS6detail15normal_iteratorINS8_10device_ptrIfEEEENSA_INSB_IiEEEEZNS1_13binary_searchIS3_S5_SD_SD_SF_NS1_16binary_search_opENS9_16wrapped_functionINS0_4lessIvEEbEEEE10hipError_tPvRmT1_T2_T3_mmT4_T5_P12ihipStream_tbEUlRKfE_EESM_SQ_SR_mSS_SV_bEUlT_E_NS1_11comp_targetILNS1_3genE5ELNS1_11target_archE942ELNS1_3gpuE9ELNS1_3repE0EEENS1_30default_config_static_selectorELNS0_4arch9wavefront6targetE1EEEvSP_: ; @_ZN7rocprim17ROCPRIM_400000_NS6detail17trampoline_kernelINS0_14default_configENS1_29binary_search_config_selectorIfiEEZNS1_14transform_implILb0ES3_S5_N6thrust23THRUST_200600_302600_NS6detail15normal_iteratorINS8_10device_ptrIfEEEENSA_INSB_IiEEEEZNS1_13binary_searchIS3_S5_SD_SD_SF_NS1_16binary_search_opENS9_16wrapped_functionINS0_4lessIvEEbEEEE10hipError_tPvRmT1_T2_T3_mmT4_T5_P12ihipStream_tbEUlRKfE_EESM_SQ_SR_mSS_SV_bEUlT_E_NS1_11comp_targetILNS1_3genE5ELNS1_11target_archE942ELNS1_3gpuE9ELNS1_3repE0EEENS1_30default_config_static_selectorELNS0_4arch9wavefront6targetE1EEEvSP_
; %bb.0:
	.section	.rodata,"a",@progbits
	.p2align	6, 0x0
	.amdhsa_kernel _ZN7rocprim17ROCPRIM_400000_NS6detail17trampoline_kernelINS0_14default_configENS1_29binary_search_config_selectorIfiEEZNS1_14transform_implILb0ES3_S5_N6thrust23THRUST_200600_302600_NS6detail15normal_iteratorINS8_10device_ptrIfEEEENSA_INSB_IiEEEEZNS1_13binary_searchIS3_S5_SD_SD_SF_NS1_16binary_search_opENS9_16wrapped_functionINS0_4lessIvEEbEEEE10hipError_tPvRmT1_T2_T3_mmT4_T5_P12ihipStream_tbEUlRKfE_EESM_SQ_SR_mSS_SV_bEUlT_E_NS1_11comp_targetILNS1_3genE5ELNS1_11target_archE942ELNS1_3gpuE9ELNS1_3repE0EEENS1_30default_config_static_selectorELNS0_4arch9wavefront6targetE1EEEvSP_
		.amdhsa_group_segment_fixed_size 0
		.amdhsa_private_segment_fixed_size 0
		.amdhsa_kernarg_size 56
		.amdhsa_user_sgpr_count 6
		.amdhsa_user_sgpr_private_segment_buffer 1
		.amdhsa_user_sgpr_dispatch_ptr 0
		.amdhsa_user_sgpr_queue_ptr 0
		.amdhsa_user_sgpr_kernarg_segment_ptr 1
		.amdhsa_user_sgpr_dispatch_id 0
		.amdhsa_user_sgpr_flat_scratch_init 0
		.amdhsa_user_sgpr_kernarg_preload_length 0
		.amdhsa_user_sgpr_kernarg_preload_offset 0
		.amdhsa_user_sgpr_private_segment_size 0
		.amdhsa_uses_dynamic_stack 0
		.amdhsa_system_sgpr_private_segment_wavefront_offset 0
		.amdhsa_system_sgpr_workgroup_id_x 1
		.amdhsa_system_sgpr_workgroup_id_y 0
		.amdhsa_system_sgpr_workgroup_id_z 0
		.amdhsa_system_sgpr_workgroup_info 0
		.amdhsa_system_vgpr_workitem_id 0
		.amdhsa_next_free_vgpr 1
		.amdhsa_next_free_sgpr 0
		.amdhsa_accum_offset 4
		.amdhsa_reserve_vcc 0
		.amdhsa_reserve_flat_scratch 0
		.amdhsa_float_round_mode_32 0
		.amdhsa_float_round_mode_16_64 0
		.amdhsa_float_denorm_mode_32 3
		.amdhsa_float_denorm_mode_16_64 3
		.amdhsa_dx10_clamp 1
		.amdhsa_ieee_mode 1
		.amdhsa_fp16_overflow 0
		.amdhsa_tg_split 0
		.amdhsa_exception_fp_ieee_invalid_op 0
		.amdhsa_exception_fp_denorm_src 0
		.amdhsa_exception_fp_ieee_div_zero 0
		.amdhsa_exception_fp_ieee_overflow 0
		.amdhsa_exception_fp_ieee_underflow 0
		.amdhsa_exception_fp_ieee_inexact 0
		.amdhsa_exception_int_div_zero 0
	.end_amdhsa_kernel
	.section	.text._ZN7rocprim17ROCPRIM_400000_NS6detail17trampoline_kernelINS0_14default_configENS1_29binary_search_config_selectorIfiEEZNS1_14transform_implILb0ES3_S5_N6thrust23THRUST_200600_302600_NS6detail15normal_iteratorINS8_10device_ptrIfEEEENSA_INSB_IiEEEEZNS1_13binary_searchIS3_S5_SD_SD_SF_NS1_16binary_search_opENS9_16wrapped_functionINS0_4lessIvEEbEEEE10hipError_tPvRmT1_T2_T3_mmT4_T5_P12ihipStream_tbEUlRKfE_EESM_SQ_SR_mSS_SV_bEUlT_E_NS1_11comp_targetILNS1_3genE5ELNS1_11target_archE942ELNS1_3gpuE9ELNS1_3repE0EEENS1_30default_config_static_selectorELNS0_4arch9wavefront6targetE1EEEvSP_,"axG",@progbits,_ZN7rocprim17ROCPRIM_400000_NS6detail17trampoline_kernelINS0_14default_configENS1_29binary_search_config_selectorIfiEEZNS1_14transform_implILb0ES3_S5_N6thrust23THRUST_200600_302600_NS6detail15normal_iteratorINS8_10device_ptrIfEEEENSA_INSB_IiEEEEZNS1_13binary_searchIS3_S5_SD_SD_SF_NS1_16binary_search_opENS9_16wrapped_functionINS0_4lessIvEEbEEEE10hipError_tPvRmT1_T2_T3_mmT4_T5_P12ihipStream_tbEUlRKfE_EESM_SQ_SR_mSS_SV_bEUlT_E_NS1_11comp_targetILNS1_3genE5ELNS1_11target_archE942ELNS1_3gpuE9ELNS1_3repE0EEENS1_30default_config_static_selectorELNS0_4arch9wavefront6targetE1EEEvSP_,comdat
.Lfunc_end430:
	.size	_ZN7rocprim17ROCPRIM_400000_NS6detail17trampoline_kernelINS0_14default_configENS1_29binary_search_config_selectorIfiEEZNS1_14transform_implILb0ES3_S5_N6thrust23THRUST_200600_302600_NS6detail15normal_iteratorINS8_10device_ptrIfEEEENSA_INSB_IiEEEEZNS1_13binary_searchIS3_S5_SD_SD_SF_NS1_16binary_search_opENS9_16wrapped_functionINS0_4lessIvEEbEEEE10hipError_tPvRmT1_T2_T3_mmT4_T5_P12ihipStream_tbEUlRKfE_EESM_SQ_SR_mSS_SV_bEUlT_E_NS1_11comp_targetILNS1_3genE5ELNS1_11target_archE942ELNS1_3gpuE9ELNS1_3repE0EEENS1_30default_config_static_selectorELNS0_4arch9wavefront6targetE1EEEvSP_, .Lfunc_end430-_ZN7rocprim17ROCPRIM_400000_NS6detail17trampoline_kernelINS0_14default_configENS1_29binary_search_config_selectorIfiEEZNS1_14transform_implILb0ES3_S5_N6thrust23THRUST_200600_302600_NS6detail15normal_iteratorINS8_10device_ptrIfEEEENSA_INSB_IiEEEEZNS1_13binary_searchIS3_S5_SD_SD_SF_NS1_16binary_search_opENS9_16wrapped_functionINS0_4lessIvEEbEEEE10hipError_tPvRmT1_T2_T3_mmT4_T5_P12ihipStream_tbEUlRKfE_EESM_SQ_SR_mSS_SV_bEUlT_E_NS1_11comp_targetILNS1_3genE5ELNS1_11target_archE942ELNS1_3gpuE9ELNS1_3repE0EEENS1_30default_config_static_selectorELNS0_4arch9wavefront6targetE1EEEvSP_
                                        ; -- End function
	.section	.AMDGPU.csdata,"",@progbits
; Kernel info:
; codeLenInByte = 0
; NumSgprs: 4
; NumVgprs: 0
; NumAgprs: 0
; TotalNumVgprs: 0
; ScratchSize: 0
; MemoryBound: 0
; FloatMode: 240
; IeeeMode: 1
; LDSByteSize: 0 bytes/workgroup (compile time only)
; SGPRBlocks: 0
; VGPRBlocks: 0
; NumSGPRsForWavesPerEU: 4
; NumVGPRsForWavesPerEU: 1
; AccumOffset: 4
; Occupancy: 8
; WaveLimiterHint : 0
; COMPUTE_PGM_RSRC2:SCRATCH_EN: 0
; COMPUTE_PGM_RSRC2:USER_SGPR: 6
; COMPUTE_PGM_RSRC2:TRAP_HANDLER: 0
; COMPUTE_PGM_RSRC2:TGID_X_EN: 1
; COMPUTE_PGM_RSRC2:TGID_Y_EN: 0
; COMPUTE_PGM_RSRC2:TGID_Z_EN: 0
; COMPUTE_PGM_RSRC2:TIDIG_COMP_CNT: 0
; COMPUTE_PGM_RSRC3_GFX90A:ACCUM_OFFSET: 0
; COMPUTE_PGM_RSRC3_GFX90A:TG_SPLIT: 0
	.section	.text._ZN7rocprim17ROCPRIM_400000_NS6detail17trampoline_kernelINS0_14default_configENS1_29binary_search_config_selectorIfiEEZNS1_14transform_implILb0ES3_S5_N6thrust23THRUST_200600_302600_NS6detail15normal_iteratorINS8_10device_ptrIfEEEENSA_INSB_IiEEEEZNS1_13binary_searchIS3_S5_SD_SD_SF_NS1_16binary_search_opENS9_16wrapped_functionINS0_4lessIvEEbEEEE10hipError_tPvRmT1_T2_T3_mmT4_T5_P12ihipStream_tbEUlRKfE_EESM_SQ_SR_mSS_SV_bEUlT_E_NS1_11comp_targetILNS1_3genE4ELNS1_11target_archE910ELNS1_3gpuE8ELNS1_3repE0EEENS1_30default_config_static_selectorELNS0_4arch9wavefront6targetE1EEEvSP_,"axG",@progbits,_ZN7rocprim17ROCPRIM_400000_NS6detail17trampoline_kernelINS0_14default_configENS1_29binary_search_config_selectorIfiEEZNS1_14transform_implILb0ES3_S5_N6thrust23THRUST_200600_302600_NS6detail15normal_iteratorINS8_10device_ptrIfEEEENSA_INSB_IiEEEEZNS1_13binary_searchIS3_S5_SD_SD_SF_NS1_16binary_search_opENS9_16wrapped_functionINS0_4lessIvEEbEEEE10hipError_tPvRmT1_T2_T3_mmT4_T5_P12ihipStream_tbEUlRKfE_EESM_SQ_SR_mSS_SV_bEUlT_E_NS1_11comp_targetILNS1_3genE4ELNS1_11target_archE910ELNS1_3gpuE8ELNS1_3repE0EEENS1_30default_config_static_selectorELNS0_4arch9wavefront6targetE1EEEvSP_,comdat
	.protected	_ZN7rocprim17ROCPRIM_400000_NS6detail17trampoline_kernelINS0_14default_configENS1_29binary_search_config_selectorIfiEEZNS1_14transform_implILb0ES3_S5_N6thrust23THRUST_200600_302600_NS6detail15normal_iteratorINS8_10device_ptrIfEEEENSA_INSB_IiEEEEZNS1_13binary_searchIS3_S5_SD_SD_SF_NS1_16binary_search_opENS9_16wrapped_functionINS0_4lessIvEEbEEEE10hipError_tPvRmT1_T2_T3_mmT4_T5_P12ihipStream_tbEUlRKfE_EESM_SQ_SR_mSS_SV_bEUlT_E_NS1_11comp_targetILNS1_3genE4ELNS1_11target_archE910ELNS1_3gpuE8ELNS1_3repE0EEENS1_30default_config_static_selectorELNS0_4arch9wavefront6targetE1EEEvSP_ ; -- Begin function _ZN7rocprim17ROCPRIM_400000_NS6detail17trampoline_kernelINS0_14default_configENS1_29binary_search_config_selectorIfiEEZNS1_14transform_implILb0ES3_S5_N6thrust23THRUST_200600_302600_NS6detail15normal_iteratorINS8_10device_ptrIfEEEENSA_INSB_IiEEEEZNS1_13binary_searchIS3_S5_SD_SD_SF_NS1_16binary_search_opENS9_16wrapped_functionINS0_4lessIvEEbEEEE10hipError_tPvRmT1_T2_T3_mmT4_T5_P12ihipStream_tbEUlRKfE_EESM_SQ_SR_mSS_SV_bEUlT_E_NS1_11comp_targetILNS1_3genE4ELNS1_11target_archE910ELNS1_3gpuE8ELNS1_3repE0EEENS1_30default_config_static_selectorELNS0_4arch9wavefront6targetE1EEEvSP_
	.globl	_ZN7rocprim17ROCPRIM_400000_NS6detail17trampoline_kernelINS0_14default_configENS1_29binary_search_config_selectorIfiEEZNS1_14transform_implILb0ES3_S5_N6thrust23THRUST_200600_302600_NS6detail15normal_iteratorINS8_10device_ptrIfEEEENSA_INSB_IiEEEEZNS1_13binary_searchIS3_S5_SD_SD_SF_NS1_16binary_search_opENS9_16wrapped_functionINS0_4lessIvEEbEEEE10hipError_tPvRmT1_T2_T3_mmT4_T5_P12ihipStream_tbEUlRKfE_EESM_SQ_SR_mSS_SV_bEUlT_E_NS1_11comp_targetILNS1_3genE4ELNS1_11target_archE910ELNS1_3gpuE8ELNS1_3repE0EEENS1_30default_config_static_selectorELNS0_4arch9wavefront6targetE1EEEvSP_
	.p2align	8
	.type	_ZN7rocprim17ROCPRIM_400000_NS6detail17trampoline_kernelINS0_14default_configENS1_29binary_search_config_selectorIfiEEZNS1_14transform_implILb0ES3_S5_N6thrust23THRUST_200600_302600_NS6detail15normal_iteratorINS8_10device_ptrIfEEEENSA_INSB_IiEEEEZNS1_13binary_searchIS3_S5_SD_SD_SF_NS1_16binary_search_opENS9_16wrapped_functionINS0_4lessIvEEbEEEE10hipError_tPvRmT1_T2_T3_mmT4_T5_P12ihipStream_tbEUlRKfE_EESM_SQ_SR_mSS_SV_bEUlT_E_NS1_11comp_targetILNS1_3genE4ELNS1_11target_archE910ELNS1_3gpuE8ELNS1_3repE0EEENS1_30default_config_static_selectorELNS0_4arch9wavefront6targetE1EEEvSP_,@function
_ZN7rocprim17ROCPRIM_400000_NS6detail17trampoline_kernelINS0_14default_configENS1_29binary_search_config_selectorIfiEEZNS1_14transform_implILb0ES3_S5_N6thrust23THRUST_200600_302600_NS6detail15normal_iteratorINS8_10device_ptrIfEEEENSA_INSB_IiEEEEZNS1_13binary_searchIS3_S5_SD_SD_SF_NS1_16binary_search_opENS9_16wrapped_functionINS0_4lessIvEEbEEEE10hipError_tPvRmT1_T2_T3_mmT4_T5_P12ihipStream_tbEUlRKfE_EESM_SQ_SR_mSS_SV_bEUlT_E_NS1_11comp_targetILNS1_3genE4ELNS1_11target_archE910ELNS1_3gpuE8ELNS1_3repE0EEENS1_30default_config_static_selectorELNS0_4arch9wavefront6targetE1EEEvSP_: ; @_ZN7rocprim17ROCPRIM_400000_NS6detail17trampoline_kernelINS0_14default_configENS1_29binary_search_config_selectorIfiEEZNS1_14transform_implILb0ES3_S5_N6thrust23THRUST_200600_302600_NS6detail15normal_iteratorINS8_10device_ptrIfEEEENSA_INSB_IiEEEEZNS1_13binary_searchIS3_S5_SD_SD_SF_NS1_16binary_search_opENS9_16wrapped_functionINS0_4lessIvEEbEEEE10hipError_tPvRmT1_T2_T3_mmT4_T5_P12ihipStream_tbEUlRKfE_EESM_SQ_SR_mSS_SV_bEUlT_E_NS1_11comp_targetILNS1_3genE4ELNS1_11target_archE910ELNS1_3gpuE8ELNS1_3repE0EEENS1_30default_config_static_selectorELNS0_4arch9wavefront6targetE1EEEvSP_
; %bb.0:
	s_load_dwordx4 s[12:15], s[4:5], 0x0
	s_load_dwordx4 s[0:3], s[4:5], 0x18
	s_load_dwordx2 s[10:11], s[4:5], 0x28
	s_load_dword s7, s[4:5], 0x38
	s_waitcnt lgkmcnt(0)
	s_lshl_b64 s[8:9], s[14:15], 2
	s_add_u32 s14, s12, s8
	s_addc_u32 s15, s13, s9
	s_add_u32 s12, s0, s8
	s_addc_u32 s13, s1, s9
	s_lshl_b32 s8, s6, 8
	s_add_i32 s7, s7, -1
	s_mov_b32 s9, 0
	s_cmp_lg_u32 s6, s7
	s_mov_b64 s[0:1], -1
	s_cbranch_scc0 .LBB431_8
; %bb.1:
	s_lshl_b64 s[0:1], s[8:9], 2
	s_add_u32 s6, s14, s0
	s_addc_u32 s7, s15, s1
	v_lshlrev_b32_e32 v1, 2, v0
	v_mov_b32_e32 v3, s7
	v_add_co_u32_e32 v2, vcc, s6, v1
	v_addc_co_u32_e32 v3, vcc, 0, v3, vcc
	flat_load_dword v6, v[2:3]
	s_mov_b64 s[6:7], 0
	s_cmp_eq_u64 s[10:11], 0
	v_pk_mov_b32 v[2:3], 0, 0
	s_cbranch_scc1 .LBB431_5
; %bb.2:
	v_pk_mov_b32 v[2:3], 0, 0
	v_pk_mov_b32 v[4:5], s[10:11], s[10:11] op_sel:[0,1]
	v_mov_b32_e32 v7, s3
.LBB431_3:                              ; =>This Inner Loop Header: Depth=1
	v_sub_co_u32_e32 v8, vcc, v4, v2
	v_subb_co_u32_e32 v9, vcc, v5, v3, vcc
	v_lshrrev_b64 v[10:11], 1, v[8:9]
	v_add_co_u32_e32 v10, vcc, v10, v2
	v_lshrrev_b64 v[8:9], 6, v[8:9]
	v_addc_co_u32_e32 v11, vcc, v11, v3, vcc
	v_add_co_u32_e32 v8, vcc, v10, v8
	v_addc_co_u32_e32 v9, vcc, v11, v9, vcc
	v_lshlrev_b64 v[10:11], 2, v[8:9]
	v_add_co_u32_e32 v10, vcc, s2, v10
	v_addc_co_u32_e32 v11, vcc, v7, v11, vcc
	global_load_dword v10, v[10:11], off
	v_add_co_u32_e32 v11, vcc, 1, v8
	v_addc_co_u32_e32 v12, vcc, 0, v9, vcc
	s_waitcnt vmcnt(0) lgkmcnt(0)
	v_cmp_lt_f32_e32 vcc, v10, v6
	v_cndmask_b32_e32 v5, v9, v5, vcc
	v_cndmask_b32_e32 v4, v8, v4, vcc
	;; [unrolled: 1-line block ×4, first 2 shown]
	v_cmp_ge_u64_e32 vcc, v[2:3], v[4:5]
	s_or_b64 s[6:7], vcc, s[6:7]
	s_andn2_b64 exec, exec, s[6:7]
	s_cbranch_execnz .LBB431_3
; %bb.4:
	s_or_b64 exec, exec, s[6:7]
.LBB431_5:
	v_cmp_ne_u64_e32 vcc, s[10:11], v[2:3]
	v_mov_b32_e32 v4, 0
	s_and_saveexec_b64 s[6:7], vcc
	s_cbranch_execz .LBB431_7
; %bb.6:
	v_lshlrev_b64 v[2:3], 2, v[2:3]
	v_mov_b32_e32 v4, s3
	v_add_co_u32_e32 v2, vcc, s2, v2
	v_addc_co_u32_e32 v3, vcc, v4, v3, vcc
	global_load_dword v2, v[2:3], off
	s_waitcnt vmcnt(0) lgkmcnt(0)
	v_cmp_ngt_f32_e32 vcc, v2, v6
	v_cndmask_b32_e64 v4, 0, 1, vcc
.LBB431_7:
	s_or_b64 exec, exec, s[6:7]
	s_add_u32 s0, s12, s0
	s_addc_u32 s1, s13, s1
	v_mov_b32_e32 v3, s1
	v_add_co_u32_e32 v2, vcc, s0, v1
	v_addc_co_u32_e32 v3, vcc, 0, v3, vcc
	s_mov_b64 s[0:1], 0
	flat_store_dword v[2:3], v4
.LBB431_8:
	s_and_b64 vcc, exec, s[0:1]
	s_cbranch_vccz .LBB431_13
; %bb.9:
	s_load_dword s0, s[4:5], 0x10
                                        ; implicit-def: $vgpr1
	s_waitcnt lgkmcnt(0)
	s_sub_i32 s0, s0, s8
	v_cmp_gt_u32_e32 vcc, s0, v0
	s_and_saveexec_b64 s[4:5], vcc
	s_cbranch_execnz .LBB431_14
; %bb.10:
	s_or_b64 exec, exec, s[4:5]
                                        ; implicit-def: $vgpr4
	s_and_saveexec_b64 s[4:5], vcc
	s_cbranch_execnz .LBB431_15
.LBB431_11:
	s_or_b64 exec, exec, s[4:5]
	s_and_saveexec_b64 s[0:1], vcc
	s_cbranch_execz .LBB431_13
.LBB431_12:
	s_lshl_b64 s[0:1], s[8:9], 2
	s_add_u32 s0, s12, s0
	s_addc_u32 s1, s13, s1
	v_lshlrev_b32_e32 v0, 2, v0
	s_waitcnt vmcnt(0) lgkmcnt(0)
	v_mov_b32_e32 v1, s1
	v_add_co_u32_e32 v0, vcc, s0, v0
	v_addc_co_u32_e32 v1, vcc, 0, v1, vcc
	flat_store_dword v[0:1], v4
.LBB431_13:
	s_endpgm
.LBB431_14:
	s_lshl_b64 s[0:1], s[8:9], 2
	s_add_u32 s0, s14, s0
	s_addc_u32 s1, s15, s1
	v_lshlrev_b32_e32 v1, 2, v0
	v_mov_b32_e32 v3, s1
	v_add_co_u32_e64 v2, s[0:1], s0, v1
	v_addc_co_u32_e64 v3, s[0:1], 0, v3, s[0:1]
	flat_load_dword v1, v[2:3]
	s_or_b64 exec, exec, s[4:5]
                                        ; implicit-def: $vgpr4
	s_and_saveexec_b64 s[4:5], vcc
	s_cbranch_execz .LBB431_11
.LBB431_15:
	s_mov_b64 s[6:7], 0
	s_cmp_eq_u64 s[10:11], 0
	v_pk_mov_b32 v[2:3], 0, 0
	s_cbranch_scc1 .LBB431_19
; %bb.16:
	v_pk_mov_b32 v[2:3], 0, 0
	v_pk_mov_b32 v[4:5], s[10:11], s[10:11] op_sel:[0,1]
	s_waitcnt vmcnt(0)
	v_mov_b32_e32 v6, s3
.LBB431_17:                             ; =>This Inner Loop Header: Depth=1
	v_sub_co_u32_e64 v8, s[0:1], v4, v2
	v_subb_co_u32_e64 v9, s[0:1], v5, v3, s[0:1]
	v_lshrrev_b64 v[10:11], 1, v[8:9]
	v_add_co_u32_e64 v7, s[0:1], v10, v2
	v_lshrrev_b64 v[8:9], 6, v[8:9]
	v_addc_co_u32_e64 v10, s[0:1], v11, v3, s[0:1]
	v_add_co_u32_e64 v8, s[0:1], v7, v8
	v_addc_co_u32_e64 v9, s[0:1], v10, v9, s[0:1]
	v_lshlrev_b64 v[10:11], 2, v[8:9]
	v_add_co_u32_e64 v10, s[0:1], s2, v10
	v_addc_co_u32_e64 v11, s[0:1], v6, v11, s[0:1]
	global_load_dword v7, v[10:11], off
	v_add_co_u32_e64 v10, s[0:1], 1, v8
	v_addc_co_u32_e64 v11, s[0:1], 0, v9, s[0:1]
	s_waitcnt vmcnt(0) lgkmcnt(0)
	v_cmp_lt_f32_e64 s[0:1], v7, v1
	v_cndmask_b32_e64 v5, v9, v5, s[0:1]
	v_cndmask_b32_e64 v4, v8, v4, s[0:1]
	;; [unrolled: 1-line block ×4, first 2 shown]
	v_cmp_ge_u64_e64 s[0:1], v[2:3], v[4:5]
	s_or_b64 s[6:7], s[0:1], s[6:7]
	s_andn2_b64 exec, exec, s[6:7]
	s_cbranch_execnz .LBB431_17
; %bb.18:
	s_or_b64 exec, exec, s[6:7]
.LBB431_19:
	v_cmp_ne_u64_e64 s[0:1], s[10:11], v[2:3]
	v_mov_b32_e32 v4, 0
	s_and_saveexec_b64 s[6:7], s[0:1]
	s_cbranch_execz .LBB431_21
; %bb.20:
	v_lshlrev_b64 v[2:3], 2, v[2:3]
	v_mov_b32_e32 v4, s3
	v_add_co_u32_e64 v2, s[0:1], s2, v2
	v_addc_co_u32_e64 v3, s[0:1], v4, v3, s[0:1]
	global_load_dword v2, v[2:3], off
	s_waitcnt vmcnt(0) lgkmcnt(0)
	v_cmp_ngt_f32_e64 s[0:1], v2, v1
	v_cndmask_b32_e64 v4, 0, 1, s[0:1]
.LBB431_21:
	s_or_b64 exec, exec, s[6:7]
	s_or_b64 exec, exec, s[4:5]
	s_and_saveexec_b64 s[0:1], vcc
	s_cbranch_execnz .LBB431_12
	s_branch .LBB431_13
	.section	.rodata,"a",@progbits
	.p2align	6, 0x0
	.amdhsa_kernel _ZN7rocprim17ROCPRIM_400000_NS6detail17trampoline_kernelINS0_14default_configENS1_29binary_search_config_selectorIfiEEZNS1_14transform_implILb0ES3_S5_N6thrust23THRUST_200600_302600_NS6detail15normal_iteratorINS8_10device_ptrIfEEEENSA_INSB_IiEEEEZNS1_13binary_searchIS3_S5_SD_SD_SF_NS1_16binary_search_opENS9_16wrapped_functionINS0_4lessIvEEbEEEE10hipError_tPvRmT1_T2_T3_mmT4_T5_P12ihipStream_tbEUlRKfE_EESM_SQ_SR_mSS_SV_bEUlT_E_NS1_11comp_targetILNS1_3genE4ELNS1_11target_archE910ELNS1_3gpuE8ELNS1_3repE0EEENS1_30default_config_static_selectorELNS0_4arch9wavefront6targetE1EEEvSP_
		.amdhsa_group_segment_fixed_size 0
		.amdhsa_private_segment_fixed_size 0
		.amdhsa_kernarg_size 312
		.amdhsa_user_sgpr_count 6
		.amdhsa_user_sgpr_private_segment_buffer 1
		.amdhsa_user_sgpr_dispatch_ptr 0
		.amdhsa_user_sgpr_queue_ptr 0
		.amdhsa_user_sgpr_kernarg_segment_ptr 1
		.amdhsa_user_sgpr_dispatch_id 0
		.amdhsa_user_sgpr_flat_scratch_init 0
		.amdhsa_user_sgpr_kernarg_preload_length 0
		.amdhsa_user_sgpr_kernarg_preload_offset 0
		.amdhsa_user_sgpr_private_segment_size 0
		.amdhsa_uses_dynamic_stack 0
		.amdhsa_system_sgpr_private_segment_wavefront_offset 0
		.amdhsa_system_sgpr_workgroup_id_x 1
		.amdhsa_system_sgpr_workgroup_id_y 0
		.amdhsa_system_sgpr_workgroup_id_z 0
		.amdhsa_system_sgpr_workgroup_info 0
		.amdhsa_system_vgpr_workitem_id 0
		.amdhsa_next_free_vgpr 13
		.amdhsa_next_free_sgpr 16
		.amdhsa_accum_offset 16
		.amdhsa_reserve_vcc 1
		.amdhsa_reserve_flat_scratch 0
		.amdhsa_float_round_mode_32 0
		.amdhsa_float_round_mode_16_64 0
		.amdhsa_float_denorm_mode_32 3
		.amdhsa_float_denorm_mode_16_64 3
		.amdhsa_dx10_clamp 1
		.amdhsa_ieee_mode 1
		.amdhsa_fp16_overflow 0
		.amdhsa_tg_split 0
		.amdhsa_exception_fp_ieee_invalid_op 0
		.amdhsa_exception_fp_denorm_src 0
		.amdhsa_exception_fp_ieee_div_zero 0
		.amdhsa_exception_fp_ieee_overflow 0
		.amdhsa_exception_fp_ieee_underflow 0
		.amdhsa_exception_fp_ieee_inexact 0
		.amdhsa_exception_int_div_zero 0
	.end_amdhsa_kernel
	.section	.text._ZN7rocprim17ROCPRIM_400000_NS6detail17trampoline_kernelINS0_14default_configENS1_29binary_search_config_selectorIfiEEZNS1_14transform_implILb0ES3_S5_N6thrust23THRUST_200600_302600_NS6detail15normal_iteratorINS8_10device_ptrIfEEEENSA_INSB_IiEEEEZNS1_13binary_searchIS3_S5_SD_SD_SF_NS1_16binary_search_opENS9_16wrapped_functionINS0_4lessIvEEbEEEE10hipError_tPvRmT1_T2_T3_mmT4_T5_P12ihipStream_tbEUlRKfE_EESM_SQ_SR_mSS_SV_bEUlT_E_NS1_11comp_targetILNS1_3genE4ELNS1_11target_archE910ELNS1_3gpuE8ELNS1_3repE0EEENS1_30default_config_static_selectorELNS0_4arch9wavefront6targetE1EEEvSP_,"axG",@progbits,_ZN7rocprim17ROCPRIM_400000_NS6detail17trampoline_kernelINS0_14default_configENS1_29binary_search_config_selectorIfiEEZNS1_14transform_implILb0ES3_S5_N6thrust23THRUST_200600_302600_NS6detail15normal_iteratorINS8_10device_ptrIfEEEENSA_INSB_IiEEEEZNS1_13binary_searchIS3_S5_SD_SD_SF_NS1_16binary_search_opENS9_16wrapped_functionINS0_4lessIvEEbEEEE10hipError_tPvRmT1_T2_T3_mmT4_T5_P12ihipStream_tbEUlRKfE_EESM_SQ_SR_mSS_SV_bEUlT_E_NS1_11comp_targetILNS1_3genE4ELNS1_11target_archE910ELNS1_3gpuE8ELNS1_3repE0EEENS1_30default_config_static_selectorELNS0_4arch9wavefront6targetE1EEEvSP_,comdat
.Lfunc_end431:
	.size	_ZN7rocprim17ROCPRIM_400000_NS6detail17trampoline_kernelINS0_14default_configENS1_29binary_search_config_selectorIfiEEZNS1_14transform_implILb0ES3_S5_N6thrust23THRUST_200600_302600_NS6detail15normal_iteratorINS8_10device_ptrIfEEEENSA_INSB_IiEEEEZNS1_13binary_searchIS3_S5_SD_SD_SF_NS1_16binary_search_opENS9_16wrapped_functionINS0_4lessIvEEbEEEE10hipError_tPvRmT1_T2_T3_mmT4_T5_P12ihipStream_tbEUlRKfE_EESM_SQ_SR_mSS_SV_bEUlT_E_NS1_11comp_targetILNS1_3genE4ELNS1_11target_archE910ELNS1_3gpuE8ELNS1_3repE0EEENS1_30default_config_static_selectorELNS0_4arch9wavefront6targetE1EEEvSP_, .Lfunc_end431-_ZN7rocprim17ROCPRIM_400000_NS6detail17trampoline_kernelINS0_14default_configENS1_29binary_search_config_selectorIfiEEZNS1_14transform_implILb0ES3_S5_N6thrust23THRUST_200600_302600_NS6detail15normal_iteratorINS8_10device_ptrIfEEEENSA_INSB_IiEEEEZNS1_13binary_searchIS3_S5_SD_SD_SF_NS1_16binary_search_opENS9_16wrapped_functionINS0_4lessIvEEbEEEE10hipError_tPvRmT1_T2_T3_mmT4_T5_P12ihipStream_tbEUlRKfE_EESM_SQ_SR_mSS_SV_bEUlT_E_NS1_11comp_targetILNS1_3genE4ELNS1_11target_archE910ELNS1_3gpuE8ELNS1_3repE0EEENS1_30default_config_static_selectorELNS0_4arch9wavefront6targetE1EEEvSP_
                                        ; -- End function
	.section	.AMDGPU.csdata,"",@progbits
; Kernel info:
; codeLenInByte = 848
; NumSgprs: 20
; NumVgprs: 13
; NumAgprs: 0
; TotalNumVgprs: 13
; ScratchSize: 0
; MemoryBound: 0
; FloatMode: 240
; IeeeMode: 1
; LDSByteSize: 0 bytes/workgroup (compile time only)
; SGPRBlocks: 2
; VGPRBlocks: 1
; NumSGPRsForWavesPerEU: 20
; NumVGPRsForWavesPerEU: 13
; AccumOffset: 16
; Occupancy: 8
; WaveLimiterHint : 0
; COMPUTE_PGM_RSRC2:SCRATCH_EN: 0
; COMPUTE_PGM_RSRC2:USER_SGPR: 6
; COMPUTE_PGM_RSRC2:TRAP_HANDLER: 0
; COMPUTE_PGM_RSRC2:TGID_X_EN: 1
; COMPUTE_PGM_RSRC2:TGID_Y_EN: 0
; COMPUTE_PGM_RSRC2:TGID_Z_EN: 0
; COMPUTE_PGM_RSRC2:TIDIG_COMP_CNT: 0
; COMPUTE_PGM_RSRC3_GFX90A:ACCUM_OFFSET: 3
; COMPUTE_PGM_RSRC3_GFX90A:TG_SPLIT: 0
	.section	.text._ZN7rocprim17ROCPRIM_400000_NS6detail17trampoline_kernelINS0_14default_configENS1_29binary_search_config_selectorIfiEEZNS1_14transform_implILb0ES3_S5_N6thrust23THRUST_200600_302600_NS6detail15normal_iteratorINS8_10device_ptrIfEEEENSA_INSB_IiEEEEZNS1_13binary_searchIS3_S5_SD_SD_SF_NS1_16binary_search_opENS9_16wrapped_functionINS0_4lessIvEEbEEEE10hipError_tPvRmT1_T2_T3_mmT4_T5_P12ihipStream_tbEUlRKfE_EESM_SQ_SR_mSS_SV_bEUlT_E_NS1_11comp_targetILNS1_3genE3ELNS1_11target_archE908ELNS1_3gpuE7ELNS1_3repE0EEENS1_30default_config_static_selectorELNS0_4arch9wavefront6targetE1EEEvSP_,"axG",@progbits,_ZN7rocprim17ROCPRIM_400000_NS6detail17trampoline_kernelINS0_14default_configENS1_29binary_search_config_selectorIfiEEZNS1_14transform_implILb0ES3_S5_N6thrust23THRUST_200600_302600_NS6detail15normal_iteratorINS8_10device_ptrIfEEEENSA_INSB_IiEEEEZNS1_13binary_searchIS3_S5_SD_SD_SF_NS1_16binary_search_opENS9_16wrapped_functionINS0_4lessIvEEbEEEE10hipError_tPvRmT1_T2_T3_mmT4_T5_P12ihipStream_tbEUlRKfE_EESM_SQ_SR_mSS_SV_bEUlT_E_NS1_11comp_targetILNS1_3genE3ELNS1_11target_archE908ELNS1_3gpuE7ELNS1_3repE0EEENS1_30default_config_static_selectorELNS0_4arch9wavefront6targetE1EEEvSP_,comdat
	.protected	_ZN7rocprim17ROCPRIM_400000_NS6detail17trampoline_kernelINS0_14default_configENS1_29binary_search_config_selectorIfiEEZNS1_14transform_implILb0ES3_S5_N6thrust23THRUST_200600_302600_NS6detail15normal_iteratorINS8_10device_ptrIfEEEENSA_INSB_IiEEEEZNS1_13binary_searchIS3_S5_SD_SD_SF_NS1_16binary_search_opENS9_16wrapped_functionINS0_4lessIvEEbEEEE10hipError_tPvRmT1_T2_T3_mmT4_T5_P12ihipStream_tbEUlRKfE_EESM_SQ_SR_mSS_SV_bEUlT_E_NS1_11comp_targetILNS1_3genE3ELNS1_11target_archE908ELNS1_3gpuE7ELNS1_3repE0EEENS1_30default_config_static_selectorELNS0_4arch9wavefront6targetE1EEEvSP_ ; -- Begin function _ZN7rocprim17ROCPRIM_400000_NS6detail17trampoline_kernelINS0_14default_configENS1_29binary_search_config_selectorIfiEEZNS1_14transform_implILb0ES3_S5_N6thrust23THRUST_200600_302600_NS6detail15normal_iteratorINS8_10device_ptrIfEEEENSA_INSB_IiEEEEZNS1_13binary_searchIS3_S5_SD_SD_SF_NS1_16binary_search_opENS9_16wrapped_functionINS0_4lessIvEEbEEEE10hipError_tPvRmT1_T2_T3_mmT4_T5_P12ihipStream_tbEUlRKfE_EESM_SQ_SR_mSS_SV_bEUlT_E_NS1_11comp_targetILNS1_3genE3ELNS1_11target_archE908ELNS1_3gpuE7ELNS1_3repE0EEENS1_30default_config_static_selectorELNS0_4arch9wavefront6targetE1EEEvSP_
	.globl	_ZN7rocprim17ROCPRIM_400000_NS6detail17trampoline_kernelINS0_14default_configENS1_29binary_search_config_selectorIfiEEZNS1_14transform_implILb0ES3_S5_N6thrust23THRUST_200600_302600_NS6detail15normal_iteratorINS8_10device_ptrIfEEEENSA_INSB_IiEEEEZNS1_13binary_searchIS3_S5_SD_SD_SF_NS1_16binary_search_opENS9_16wrapped_functionINS0_4lessIvEEbEEEE10hipError_tPvRmT1_T2_T3_mmT4_T5_P12ihipStream_tbEUlRKfE_EESM_SQ_SR_mSS_SV_bEUlT_E_NS1_11comp_targetILNS1_3genE3ELNS1_11target_archE908ELNS1_3gpuE7ELNS1_3repE0EEENS1_30default_config_static_selectorELNS0_4arch9wavefront6targetE1EEEvSP_
	.p2align	8
	.type	_ZN7rocprim17ROCPRIM_400000_NS6detail17trampoline_kernelINS0_14default_configENS1_29binary_search_config_selectorIfiEEZNS1_14transform_implILb0ES3_S5_N6thrust23THRUST_200600_302600_NS6detail15normal_iteratorINS8_10device_ptrIfEEEENSA_INSB_IiEEEEZNS1_13binary_searchIS3_S5_SD_SD_SF_NS1_16binary_search_opENS9_16wrapped_functionINS0_4lessIvEEbEEEE10hipError_tPvRmT1_T2_T3_mmT4_T5_P12ihipStream_tbEUlRKfE_EESM_SQ_SR_mSS_SV_bEUlT_E_NS1_11comp_targetILNS1_3genE3ELNS1_11target_archE908ELNS1_3gpuE7ELNS1_3repE0EEENS1_30default_config_static_selectorELNS0_4arch9wavefront6targetE1EEEvSP_,@function
_ZN7rocprim17ROCPRIM_400000_NS6detail17trampoline_kernelINS0_14default_configENS1_29binary_search_config_selectorIfiEEZNS1_14transform_implILb0ES3_S5_N6thrust23THRUST_200600_302600_NS6detail15normal_iteratorINS8_10device_ptrIfEEEENSA_INSB_IiEEEEZNS1_13binary_searchIS3_S5_SD_SD_SF_NS1_16binary_search_opENS9_16wrapped_functionINS0_4lessIvEEbEEEE10hipError_tPvRmT1_T2_T3_mmT4_T5_P12ihipStream_tbEUlRKfE_EESM_SQ_SR_mSS_SV_bEUlT_E_NS1_11comp_targetILNS1_3genE3ELNS1_11target_archE908ELNS1_3gpuE7ELNS1_3repE0EEENS1_30default_config_static_selectorELNS0_4arch9wavefront6targetE1EEEvSP_: ; @_ZN7rocprim17ROCPRIM_400000_NS6detail17trampoline_kernelINS0_14default_configENS1_29binary_search_config_selectorIfiEEZNS1_14transform_implILb0ES3_S5_N6thrust23THRUST_200600_302600_NS6detail15normal_iteratorINS8_10device_ptrIfEEEENSA_INSB_IiEEEEZNS1_13binary_searchIS3_S5_SD_SD_SF_NS1_16binary_search_opENS9_16wrapped_functionINS0_4lessIvEEbEEEE10hipError_tPvRmT1_T2_T3_mmT4_T5_P12ihipStream_tbEUlRKfE_EESM_SQ_SR_mSS_SV_bEUlT_E_NS1_11comp_targetILNS1_3genE3ELNS1_11target_archE908ELNS1_3gpuE7ELNS1_3repE0EEENS1_30default_config_static_selectorELNS0_4arch9wavefront6targetE1EEEvSP_
; %bb.0:
	.section	.rodata,"a",@progbits
	.p2align	6, 0x0
	.amdhsa_kernel _ZN7rocprim17ROCPRIM_400000_NS6detail17trampoline_kernelINS0_14default_configENS1_29binary_search_config_selectorIfiEEZNS1_14transform_implILb0ES3_S5_N6thrust23THRUST_200600_302600_NS6detail15normal_iteratorINS8_10device_ptrIfEEEENSA_INSB_IiEEEEZNS1_13binary_searchIS3_S5_SD_SD_SF_NS1_16binary_search_opENS9_16wrapped_functionINS0_4lessIvEEbEEEE10hipError_tPvRmT1_T2_T3_mmT4_T5_P12ihipStream_tbEUlRKfE_EESM_SQ_SR_mSS_SV_bEUlT_E_NS1_11comp_targetILNS1_3genE3ELNS1_11target_archE908ELNS1_3gpuE7ELNS1_3repE0EEENS1_30default_config_static_selectorELNS0_4arch9wavefront6targetE1EEEvSP_
		.amdhsa_group_segment_fixed_size 0
		.amdhsa_private_segment_fixed_size 0
		.amdhsa_kernarg_size 56
		.amdhsa_user_sgpr_count 6
		.amdhsa_user_sgpr_private_segment_buffer 1
		.amdhsa_user_sgpr_dispatch_ptr 0
		.amdhsa_user_sgpr_queue_ptr 0
		.amdhsa_user_sgpr_kernarg_segment_ptr 1
		.amdhsa_user_sgpr_dispatch_id 0
		.amdhsa_user_sgpr_flat_scratch_init 0
		.amdhsa_user_sgpr_kernarg_preload_length 0
		.amdhsa_user_sgpr_kernarg_preload_offset 0
		.amdhsa_user_sgpr_private_segment_size 0
		.amdhsa_uses_dynamic_stack 0
		.amdhsa_system_sgpr_private_segment_wavefront_offset 0
		.amdhsa_system_sgpr_workgroup_id_x 1
		.amdhsa_system_sgpr_workgroup_id_y 0
		.amdhsa_system_sgpr_workgroup_id_z 0
		.amdhsa_system_sgpr_workgroup_info 0
		.amdhsa_system_vgpr_workitem_id 0
		.amdhsa_next_free_vgpr 1
		.amdhsa_next_free_sgpr 0
		.amdhsa_accum_offset 4
		.amdhsa_reserve_vcc 0
		.amdhsa_reserve_flat_scratch 0
		.amdhsa_float_round_mode_32 0
		.amdhsa_float_round_mode_16_64 0
		.amdhsa_float_denorm_mode_32 3
		.amdhsa_float_denorm_mode_16_64 3
		.amdhsa_dx10_clamp 1
		.amdhsa_ieee_mode 1
		.amdhsa_fp16_overflow 0
		.amdhsa_tg_split 0
		.amdhsa_exception_fp_ieee_invalid_op 0
		.amdhsa_exception_fp_denorm_src 0
		.amdhsa_exception_fp_ieee_div_zero 0
		.amdhsa_exception_fp_ieee_overflow 0
		.amdhsa_exception_fp_ieee_underflow 0
		.amdhsa_exception_fp_ieee_inexact 0
		.amdhsa_exception_int_div_zero 0
	.end_amdhsa_kernel
	.section	.text._ZN7rocprim17ROCPRIM_400000_NS6detail17trampoline_kernelINS0_14default_configENS1_29binary_search_config_selectorIfiEEZNS1_14transform_implILb0ES3_S5_N6thrust23THRUST_200600_302600_NS6detail15normal_iteratorINS8_10device_ptrIfEEEENSA_INSB_IiEEEEZNS1_13binary_searchIS3_S5_SD_SD_SF_NS1_16binary_search_opENS9_16wrapped_functionINS0_4lessIvEEbEEEE10hipError_tPvRmT1_T2_T3_mmT4_T5_P12ihipStream_tbEUlRKfE_EESM_SQ_SR_mSS_SV_bEUlT_E_NS1_11comp_targetILNS1_3genE3ELNS1_11target_archE908ELNS1_3gpuE7ELNS1_3repE0EEENS1_30default_config_static_selectorELNS0_4arch9wavefront6targetE1EEEvSP_,"axG",@progbits,_ZN7rocprim17ROCPRIM_400000_NS6detail17trampoline_kernelINS0_14default_configENS1_29binary_search_config_selectorIfiEEZNS1_14transform_implILb0ES3_S5_N6thrust23THRUST_200600_302600_NS6detail15normal_iteratorINS8_10device_ptrIfEEEENSA_INSB_IiEEEEZNS1_13binary_searchIS3_S5_SD_SD_SF_NS1_16binary_search_opENS9_16wrapped_functionINS0_4lessIvEEbEEEE10hipError_tPvRmT1_T2_T3_mmT4_T5_P12ihipStream_tbEUlRKfE_EESM_SQ_SR_mSS_SV_bEUlT_E_NS1_11comp_targetILNS1_3genE3ELNS1_11target_archE908ELNS1_3gpuE7ELNS1_3repE0EEENS1_30default_config_static_selectorELNS0_4arch9wavefront6targetE1EEEvSP_,comdat
.Lfunc_end432:
	.size	_ZN7rocprim17ROCPRIM_400000_NS6detail17trampoline_kernelINS0_14default_configENS1_29binary_search_config_selectorIfiEEZNS1_14transform_implILb0ES3_S5_N6thrust23THRUST_200600_302600_NS6detail15normal_iteratorINS8_10device_ptrIfEEEENSA_INSB_IiEEEEZNS1_13binary_searchIS3_S5_SD_SD_SF_NS1_16binary_search_opENS9_16wrapped_functionINS0_4lessIvEEbEEEE10hipError_tPvRmT1_T2_T3_mmT4_T5_P12ihipStream_tbEUlRKfE_EESM_SQ_SR_mSS_SV_bEUlT_E_NS1_11comp_targetILNS1_3genE3ELNS1_11target_archE908ELNS1_3gpuE7ELNS1_3repE0EEENS1_30default_config_static_selectorELNS0_4arch9wavefront6targetE1EEEvSP_, .Lfunc_end432-_ZN7rocprim17ROCPRIM_400000_NS6detail17trampoline_kernelINS0_14default_configENS1_29binary_search_config_selectorIfiEEZNS1_14transform_implILb0ES3_S5_N6thrust23THRUST_200600_302600_NS6detail15normal_iteratorINS8_10device_ptrIfEEEENSA_INSB_IiEEEEZNS1_13binary_searchIS3_S5_SD_SD_SF_NS1_16binary_search_opENS9_16wrapped_functionINS0_4lessIvEEbEEEE10hipError_tPvRmT1_T2_T3_mmT4_T5_P12ihipStream_tbEUlRKfE_EESM_SQ_SR_mSS_SV_bEUlT_E_NS1_11comp_targetILNS1_3genE3ELNS1_11target_archE908ELNS1_3gpuE7ELNS1_3repE0EEENS1_30default_config_static_selectorELNS0_4arch9wavefront6targetE1EEEvSP_
                                        ; -- End function
	.section	.AMDGPU.csdata,"",@progbits
; Kernel info:
; codeLenInByte = 0
; NumSgprs: 4
; NumVgprs: 0
; NumAgprs: 0
; TotalNumVgprs: 0
; ScratchSize: 0
; MemoryBound: 0
; FloatMode: 240
; IeeeMode: 1
; LDSByteSize: 0 bytes/workgroup (compile time only)
; SGPRBlocks: 0
; VGPRBlocks: 0
; NumSGPRsForWavesPerEU: 4
; NumVGPRsForWavesPerEU: 1
; AccumOffset: 4
; Occupancy: 8
; WaveLimiterHint : 0
; COMPUTE_PGM_RSRC2:SCRATCH_EN: 0
; COMPUTE_PGM_RSRC2:USER_SGPR: 6
; COMPUTE_PGM_RSRC2:TRAP_HANDLER: 0
; COMPUTE_PGM_RSRC2:TGID_X_EN: 1
; COMPUTE_PGM_RSRC2:TGID_Y_EN: 0
; COMPUTE_PGM_RSRC2:TGID_Z_EN: 0
; COMPUTE_PGM_RSRC2:TIDIG_COMP_CNT: 0
; COMPUTE_PGM_RSRC3_GFX90A:ACCUM_OFFSET: 0
; COMPUTE_PGM_RSRC3_GFX90A:TG_SPLIT: 0
	.section	.text._ZN7rocprim17ROCPRIM_400000_NS6detail17trampoline_kernelINS0_14default_configENS1_29binary_search_config_selectorIfiEEZNS1_14transform_implILb0ES3_S5_N6thrust23THRUST_200600_302600_NS6detail15normal_iteratorINS8_10device_ptrIfEEEENSA_INSB_IiEEEEZNS1_13binary_searchIS3_S5_SD_SD_SF_NS1_16binary_search_opENS9_16wrapped_functionINS0_4lessIvEEbEEEE10hipError_tPvRmT1_T2_T3_mmT4_T5_P12ihipStream_tbEUlRKfE_EESM_SQ_SR_mSS_SV_bEUlT_E_NS1_11comp_targetILNS1_3genE2ELNS1_11target_archE906ELNS1_3gpuE6ELNS1_3repE0EEENS1_30default_config_static_selectorELNS0_4arch9wavefront6targetE1EEEvSP_,"axG",@progbits,_ZN7rocprim17ROCPRIM_400000_NS6detail17trampoline_kernelINS0_14default_configENS1_29binary_search_config_selectorIfiEEZNS1_14transform_implILb0ES3_S5_N6thrust23THRUST_200600_302600_NS6detail15normal_iteratorINS8_10device_ptrIfEEEENSA_INSB_IiEEEEZNS1_13binary_searchIS3_S5_SD_SD_SF_NS1_16binary_search_opENS9_16wrapped_functionINS0_4lessIvEEbEEEE10hipError_tPvRmT1_T2_T3_mmT4_T5_P12ihipStream_tbEUlRKfE_EESM_SQ_SR_mSS_SV_bEUlT_E_NS1_11comp_targetILNS1_3genE2ELNS1_11target_archE906ELNS1_3gpuE6ELNS1_3repE0EEENS1_30default_config_static_selectorELNS0_4arch9wavefront6targetE1EEEvSP_,comdat
	.protected	_ZN7rocprim17ROCPRIM_400000_NS6detail17trampoline_kernelINS0_14default_configENS1_29binary_search_config_selectorIfiEEZNS1_14transform_implILb0ES3_S5_N6thrust23THRUST_200600_302600_NS6detail15normal_iteratorINS8_10device_ptrIfEEEENSA_INSB_IiEEEEZNS1_13binary_searchIS3_S5_SD_SD_SF_NS1_16binary_search_opENS9_16wrapped_functionINS0_4lessIvEEbEEEE10hipError_tPvRmT1_T2_T3_mmT4_T5_P12ihipStream_tbEUlRKfE_EESM_SQ_SR_mSS_SV_bEUlT_E_NS1_11comp_targetILNS1_3genE2ELNS1_11target_archE906ELNS1_3gpuE6ELNS1_3repE0EEENS1_30default_config_static_selectorELNS0_4arch9wavefront6targetE1EEEvSP_ ; -- Begin function _ZN7rocprim17ROCPRIM_400000_NS6detail17trampoline_kernelINS0_14default_configENS1_29binary_search_config_selectorIfiEEZNS1_14transform_implILb0ES3_S5_N6thrust23THRUST_200600_302600_NS6detail15normal_iteratorINS8_10device_ptrIfEEEENSA_INSB_IiEEEEZNS1_13binary_searchIS3_S5_SD_SD_SF_NS1_16binary_search_opENS9_16wrapped_functionINS0_4lessIvEEbEEEE10hipError_tPvRmT1_T2_T3_mmT4_T5_P12ihipStream_tbEUlRKfE_EESM_SQ_SR_mSS_SV_bEUlT_E_NS1_11comp_targetILNS1_3genE2ELNS1_11target_archE906ELNS1_3gpuE6ELNS1_3repE0EEENS1_30default_config_static_selectorELNS0_4arch9wavefront6targetE1EEEvSP_
	.globl	_ZN7rocprim17ROCPRIM_400000_NS6detail17trampoline_kernelINS0_14default_configENS1_29binary_search_config_selectorIfiEEZNS1_14transform_implILb0ES3_S5_N6thrust23THRUST_200600_302600_NS6detail15normal_iteratorINS8_10device_ptrIfEEEENSA_INSB_IiEEEEZNS1_13binary_searchIS3_S5_SD_SD_SF_NS1_16binary_search_opENS9_16wrapped_functionINS0_4lessIvEEbEEEE10hipError_tPvRmT1_T2_T3_mmT4_T5_P12ihipStream_tbEUlRKfE_EESM_SQ_SR_mSS_SV_bEUlT_E_NS1_11comp_targetILNS1_3genE2ELNS1_11target_archE906ELNS1_3gpuE6ELNS1_3repE0EEENS1_30default_config_static_selectorELNS0_4arch9wavefront6targetE1EEEvSP_
	.p2align	8
	.type	_ZN7rocprim17ROCPRIM_400000_NS6detail17trampoline_kernelINS0_14default_configENS1_29binary_search_config_selectorIfiEEZNS1_14transform_implILb0ES3_S5_N6thrust23THRUST_200600_302600_NS6detail15normal_iteratorINS8_10device_ptrIfEEEENSA_INSB_IiEEEEZNS1_13binary_searchIS3_S5_SD_SD_SF_NS1_16binary_search_opENS9_16wrapped_functionINS0_4lessIvEEbEEEE10hipError_tPvRmT1_T2_T3_mmT4_T5_P12ihipStream_tbEUlRKfE_EESM_SQ_SR_mSS_SV_bEUlT_E_NS1_11comp_targetILNS1_3genE2ELNS1_11target_archE906ELNS1_3gpuE6ELNS1_3repE0EEENS1_30default_config_static_selectorELNS0_4arch9wavefront6targetE1EEEvSP_,@function
_ZN7rocprim17ROCPRIM_400000_NS6detail17trampoline_kernelINS0_14default_configENS1_29binary_search_config_selectorIfiEEZNS1_14transform_implILb0ES3_S5_N6thrust23THRUST_200600_302600_NS6detail15normal_iteratorINS8_10device_ptrIfEEEENSA_INSB_IiEEEEZNS1_13binary_searchIS3_S5_SD_SD_SF_NS1_16binary_search_opENS9_16wrapped_functionINS0_4lessIvEEbEEEE10hipError_tPvRmT1_T2_T3_mmT4_T5_P12ihipStream_tbEUlRKfE_EESM_SQ_SR_mSS_SV_bEUlT_E_NS1_11comp_targetILNS1_3genE2ELNS1_11target_archE906ELNS1_3gpuE6ELNS1_3repE0EEENS1_30default_config_static_selectorELNS0_4arch9wavefront6targetE1EEEvSP_: ; @_ZN7rocprim17ROCPRIM_400000_NS6detail17trampoline_kernelINS0_14default_configENS1_29binary_search_config_selectorIfiEEZNS1_14transform_implILb0ES3_S5_N6thrust23THRUST_200600_302600_NS6detail15normal_iteratorINS8_10device_ptrIfEEEENSA_INSB_IiEEEEZNS1_13binary_searchIS3_S5_SD_SD_SF_NS1_16binary_search_opENS9_16wrapped_functionINS0_4lessIvEEbEEEE10hipError_tPvRmT1_T2_T3_mmT4_T5_P12ihipStream_tbEUlRKfE_EESM_SQ_SR_mSS_SV_bEUlT_E_NS1_11comp_targetILNS1_3genE2ELNS1_11target_archE906ELNS1_3gpuE6ELNS1_3repE0EEENS1_30default_config_static_selectorELNS0_4arch9wavefront6targetE1EEEvSP_
; %bb.0:
	.section	.rodata,"a",@progbits
	.p2align	6, 0x0
	.amdhsa_kernel _ZN7rocprim17ROCPRIM_400000_NS6detail17trampoline_kernelINS0_14default_configENS1_29binary_search_config_selectorIfiEEZNS1_14transform_implILb0ES3_S5_N6thrust23THRUST_200600_302600_NS6detail15normal_iteratorINS8_10device_ptrIfEEEENSA_INSB_IiEEEEZNS1_13binary_searchIS3_S5_SD_SD_SF_NS1_16binary_search_opENS9_16wrapped_functionINS0_4lessIvEEbEEEE10hipError_tPvRmT1_T2_T3_mmT4_T5_P12ihipStream_tbEUlRKfE_EESM_SQ_SR_mSS_SV_bEUlT_E_NS1_11comp_targetILNS1_3genE2ELNS1_11target_archE906ELNS1_3gpuE6ELNS1_3repE0EEENS1_30default_config_static_selectorELNS0_4arch9wavefront6targetE1EEEvSP_
		.amdhsa_group_segment_fixed_size 0
		.amdhsa_private_segment_fixed_size 0
		.amdhsa_kernarg_size 56
		.amdhsa_user_sgpr_count 6
		.amdhsa_user_sgpr_private_segment_buffer 1
		.amdhsa_user_sgpr_dispatch_ptr 0
		.amdhsa_user_sgpr_queue_ptr 0
		.amdhsa_user_sgpr_kernarg_segment_ptr 1
		.amdhsa_user_sgpr_dispatch_id 0
		.amdhsa_user_sgpr_flat_scratch_init 0
		.amdhsa_user_sgpr_kernarg_preload_length 0
		.amdhsa_user_sgpr_kernarg_preload_offset 0
		.amdhsa_user_sgpr_private_segment_size 0
		.amdhsa_uses_dynamic_stack 0
		.amdhsa_system_sgpr_private_segment_wavefront_offset 0
		.amdhsa_system_sgpr_workgroup_id_x 1
		.amdhsa_system_sgpr_workgroup_id_y 0
		.amdhsa_system_sgpr_workgroup_id_z 0
		.amdhsa_system_sgpr_workgroup_info 0
		.amdhsa_system_vgpr_workitem_id 0
		.amdhsa_next_free_vgpr 1
		.amdhsa_next_free_sgpr 0
		.amdhsa_accum_offset 4
		.amdhsa_reserve_vcc 0
		.amdhsa_reserve_flat_scratch 0
		.amdhsa_float_round_mode_32 0
		.amdhsa_float_round_mode_16_64 0
		.amdhsa_float_denorm_mode_32 3
		.amdhsa_float_denorm_mode_16_64 3
		.amdhsa_dx10_clamp 1
		.amdhsa_ieee_mode 1
		.amdhsa_fp16_overflow 0
		.amdhsa_tg_split 0
		.amdhsa_exception_fp_ieee_invalid_op 0
		.amdhsa_exception_fp_denorm_src 0
		.amdhsa_exception_fp_ieee_div_zero 0
		.amdhsa_exception_fp_ieee_overflow 0
		.amdhsa_exception_fp_ieee_underflow 0
		.amdhsa_exception_fp_ieee_inexact 0
		.amdhsa_exception_int_div_zero 0
	.end_amdhsa_kernel
	.section	.text._ZN7rocprim17ROCPRIM_400000_NS6detail17trampoline_kernelINS0_14default_configENS1_29binary_search_config_selectorIfiEEZNS1_14transform_implILb0ES3_S5_N6thrust23THRUST_200600_302600_NS6detail15normal_iteratorINS8_10device_ptrIfEEEENSA_INSB_IiEEEEZNS1_13binary_searchIS3_S5_SD_SD_SF_NS1_16binary_search_opENS9_16wrapped_functionINS0_4lessIvEEbEEEE10hipError_tPvRmT1_T2_T3_mmT4_T5_P12ihipStream_tbEUlRKfE_EESM_SQ_SR_mSS_SV_bEUlT_E_NS1_11comp_targetILNS1_3genE2ELNS1_11target_archE906ELNS1_3gpuE6ELNS1_3repE0EEENS1_30default_config_static_selectorELNS0_4arch9wavefront6targetE1EEEvSP_,"axG",@progbits,_ZN7rocprim17ROCPRIM_400000_NS6detail17trampoline_kernelINS0_14default_configENS1_29binary_search_config_selectorIfiEEZNS1_14transform_implILb0ES3_S5_N6thrust23THRUST_200600_302600_NS6detail15normal_iteratorINS8_10device_ptrIfEEEENSA_INSB_IiEEEEZNS1_13binary_searchIS3_S5_SD_SD_SF_NS1_16binary_search_opENS9_16wrapped_functionINS0_4lessIvEEbEEEE10hipError_tPvRmT1_T2_T3_mmT4_T5_P12ihipStream_tbEUlRKfE_EESM_SQ_SR_mSS_SV_bEUlT_E_NS1_11comp_targetILNS1_3genE2ELNS1_11target_archE906ELNS1_3gpuE6ELNS1_3repE0EEENS1_30default_config_static_selectorELNS0_4arch9wavefront6targetE1EEEvSP_,comdat
.Lfunc_end433:
	.size	_ZN7rocprim17ROCPRIM_400000_NS6detail17trampoline_kernelINS0_14default_configENS1_29binary_search_config_selectorIfiEEZNS1_14transform_implILb0ES3_S5_N6thrust23THRUST_200600_302600_NS6detail15normal_iteratorINS8_10device_ptrIfEEEENSA_INSB_IiEEEEZNS1_13binary_searchIS3_S5_SD_SD_SF_NS1_16binary_search_opENS9_16wrapped_functionINS0_4lessIvEEbEEEE10hipError_tPvRmT1_T2_T3_mmT4_T5_P12ihipStream_tbEUlRKfE_EESM_SQ_SR_mSS_SV_bEUlT_E_NS1_11comp_targetILNS1_3genE2ELNS1_11target_archE906ELNS1_3gpuE6ELNS1_3repE0EEENS1_30default_config_static_selectorELNS0_4arch9wavefront6targetE1EEEvSP_, .Lfunc_end433-_ZN7rocprim17ROCPRIM_400000_NS6detail17trampoline_kernelINS0_14default_configENS1_29binary_search_config_selectorIfiEEZNS1_14transform_implILb0ES3_S5_N6thrust23THRUST_200600_302600_NS6detail15normal_iteratorINS8_10device_ptrIfEEEENSA_INSB_IiEEEEZNS1_13binary_searchIS3_S5_SD_SD_SF_NS1_16binary_search_opENS9_16wrapped_functionINS0_4lessIvEEbEEEE10hipError_tPvRmT1_T2_T3_mmT4_T5_P12ihipStream_tbEUlRKfE_EESM_SQ_SR_mSS_SV_bEUlT_E_NS1_11comp_targetILNS1_3genE2ELNS1_11target_archE906ELNS1_3gpuE6ELNS1_3repE0EEENS1_30default_config_static_selectorELNS0_4arch9wavefront6targetE1EEEvSP_
                                        ; -- End function
	.section	.AMDGPU.csdata,"",@progbits
; Kernel info:
; codeLenInByte = 0
; NumSgprs: 4
; NumVgprs: 0
; NumAgprs: 0
; TotalNumVgprs: 0
; ScratchSize: 0
; MemoryBound: 0
; FloatMode: 240
; IeeeMode: 1
; LDSByteSize: 0 bytes/workgroup (compile time only)
; SGPRBlocks: 0
; VGPRBlocks: 0
; NumSGPRsForWavesPerEU: 4
; NumVGPRsForWavesPerEU: 1
; AccumOffset: 4
; Occupancy: 8
; WaveLimiterHint : 0
; COMPUTE_PGM_RSRC2:SCRATCH_EN: 0
; COMPUTE_PGM_RSRC2:USER_SGPR: 6
; COMPUTE_PGM_RSRC2:TRAP_HANDLER: 0
; COMPUTE_PGM_RSRC2:TGID_X_EN: 1
; COMPUTE_PGM_RSRC2:TGID_Y_EN: 0
; COMPUTE_PGM_RSRC2:TGID_Z_EN: 0
; COMPUTE_PGM_RSRC2:TIDIG_COMP_CNT: 0
; COMPUTE_PGM_RSRC3_GFX90A:ACCUM_OFFSET: 0
; COMPUTE_PGM_RSRC3_GFX90A:TG_SPLIT: 0
	.section	.text._ZN7rocprim17ROCPRIM_400000_NS6detail17trampoline_kernelINS0_14default_configENS1_29binary_search_config_selectorIfiEEZNS1_14transform_implILb0ES3_S5_N6thrust23THRUST_200600_302600_NS6detail15normal_iteratorINS8_10device_ptrIfEEEENSA_INSB_IiEEEEZNS1_13binary_searchIS3_S5_SD_SD_SF_NS1_16binary_search_opENS9_16wrapped_functionINS0_4lessIvEEbEEEE10hipError_tPvRmT1_T2_T3_mmT4_T5_P12ihipStream_tbEUlRKfE_EESM_SQ_SR_mSS_SV_bEUlT_E_NS1_11comp_targetILNS1_3genE10ELNS1_11target_archE1201ELNS1_3gpuE5ELNS1_3repE0EEENS1_30default_config_static_selectorELNS0_4arch9wavefront6targetE1EEEvSP_,"axG",@progbits,_ZN7rocprim17ROCPRIM_400000_NS6detail17trampoline_kernelINS0_14default_configENS1_29binary_search_config_selectorIfiEEZNS1_14transform_implILb0ES3_S5_N6thrust23THRUST_200600_302600_NS6detail15normal_iteratorINS8_10device_ptrIfEEEENSA_INSB_IiEEEEZNS1_13binary_searchIS3_S5_SD_SD_SF_NS1_16binary_search_opENS9_16wrapped_functionINS0_4lessIvEEbEEEE10hipError_tPvRmT1_T2_T3_mmT4_T5_P12ihipStream_tbEUlRKfE_EESM_SQ_SR_mSS_SV_bEUlT_E_NS1_11comp_targetILNS1_3genE10ELNS1_11target_archE1201ELNS1_3gpuE5ELNS1_3repE0EEENS1_30default_config_static_selectorELNS0_4arch9wavefront6targetE1EEEvSP_,comdat
	.protected	_ZN7rocprim17ROCPRIM_400000_NS6detail17trampoline_kernelINS0_14default_configENS1_29binary_search_config_selectorIfiEEZNS1_14transform_implILb0ES3_S5_N6thrust23THRUST_200600_302600_NS6detail15normal_iteratorINS8_10device_ptrIfEEEENSA_INSB_IiEEEEZNS1_13binary_searchIS3_S5_SD_SD_SF_NS1_16binary_search_opENS9_16wrapped_functionINS0_4lessIvEEbEEEE10hipError_tPvRmT1_T2_T3_mmT4_T5_P12ihipStream_tbEUlRKfE_EESM_SQ_SR_mSS_SV_bEUlT_E_NS1_11comp_targetILNS1_3genE10ELNS1_11target_archE1201ELNS1_3gpuE5ELNS1_3repE0EEENS1_30default_config_static_selectorELNS0_4arch9wavefront6targetE1EEEvSP_ ; -- Begin function _ZN7rocprim17ROCPRIM_400000_NS6detail17trampoline_kernelINS0_14default_configENS1_29binary_search_config_selectorIfiEEZNS1_14transform_implILb0ES3_S5_N6thrust23THRUST_200600_302600_NS6detail15normal_iteratorINS8_10device_ptrIfEEEENSA_INSB_IiEEEEZNS1_13binary_searchIS3_S5_SD_SD_SF_NS1_16binary_search_opENS9_16wrapped_functionINS0_4lessIvEEbEEEE10hipError_tPvRmT1_T2_T3_mmT4_T5_P12ihipStream_tbEUlRKfE_EESM_SQ_SR_mSS_SV_bEUlT_E_NS1_11comp_targetILNS1_3genE10ELNS1_11target_archE1201ELNS1_3gpuE5ELNS1_3repE0EEENS1_30default_config_static_selectorELNS0_4arch9wavefront6targetE1EEEvSP_
	.globl	_ZN7rocprim17ROCPRIM_400000_NS6detail17trampoline_kernelINS0_14default_configENS1_29binary_search_config_selectorIfiEEZNS1_14transform_implILb0ES3_S5_N6thrust23THRUST_200600_302600_NS6detail15normal_iteratorINS8_10device_ptrIfEEEENSA_INSB_IiEEEEZNS1_13binary_searchIS3_S5_SD_SD_SF_NS1_16binary_search_opENS9_16wrapped_functionINS0_4lessIvEEbEEEE10hipError_tPvRmT1_T2_T3_mmT4_T5_P12ihipStream_tbEUlRKfE_EESM_SQ_SR_mSS_SV_bEUlT_E_NS1_11comp_targetILNS1_3genE10ELNS1_11target_archE1201ELNS1_3gpuE5ELNS1_3repE0EEENS1_30default_config_static_selectorELNS0_4arch9wavefront6targetE1EEEvSP_
	.p2align	8
	.type	_ZN7rocprim17ROCPRIM_400000_NS6detail17trampoline_kernelINS0_14default_configENS1_29binary_search_config_selectorIfiEEZNS1_14transform_implILb0ES3_S5_N6thrust23THRUST_200600_302600_NS6detail15normal_iteratorINS8_10device_ptrIfEEEENSA_INSB_IiEEEEZNS1_13binary_searchIS3_S5_SD_SD_SF_NS1_16binary_search_opENS9_16wrapped_functionINS0_4lessIvEEbEEEE10hipError_tPvRmT1_T2_T3_mmT4_T5_P12ihipStream_tbEUlRKfE_EESM_SQ_SR_mSS_SV_bEUlT_E_NS1_11comp_targetILNS1_3genE10ELNS1_11target_archE1201ELNS1_3gpuE5ELNS1_3repE0EEENS1_30default_config_static_selectorELNS0_4arch9wavefront6targetE1EEEvSP_,@function
_ZN7rocprim17ROCPRIM_400000_NS6detail17trampoline_kernelINS0_14default_configENS1_29binary_search_config_selectorIfiEEZNS1_14transform_implILb0ES3_S5_N6thrust23THRUST_200600_302600_NS6detail15normal_iteratorINS8_10device_ptrIfEEEENSA_INSB_IiEEEEZNS1_13binary_searchIS3_S5_SD_SD_SF_NS1_16binary_search_opENS9_16wrapped_functionINS0_4lessIvEEbEEEE10hipError_tPvRmT1_T2_T3_mmT4_T5_P12ihipStream_tbEUlRKfE_EESM_SQ_SR_mSS_SV_bEUlT_E_NS1_11comp_targetILNS1_3genE10ELNS1_11target_archE1201ELNS1_3gpuE5ELNS1_3repE0EEENS1_30default_config_static_selectorELNS0_4arch9wavefront6targetE1EEEvSP_: ; @_ZN7rocprim17ROCPRIM_400000_NS6detail17trampoline_kernelINS0_14default_configENS1_29binary_search_config_selectorIfiEEZNS1_14transform_implILb0ES3_S5_N6thrust23THRUST_200600_302600_NS6detail15normal_iteratorINS8_10device_ptrIfEEEENSA_INSB_IiEEEEZNS1_13binary_searchIS3_S5_SD_SD_SF_NS1_16binary_search_opENS9_16wrapped_functionINS0_4lessIvEEbEEEE10hipError_tPvRmT1_T2_T3_mmT4_T5_P12ihipStream_tbEUlRKfE_EESM_SQ_SR_mSS_SV_bEUlT_E_NS1_11comp_targetILNS1_3genE10ELNS1_11target_archE1201ELNS1_3gpuE5ELNS1_3repE0EEENS1_30default_config_static_selectorELNS0_4arch9wavefront6targetE1EEEvSP_
; %bb.0:
	.section	.rodata,"a",@progbits
	.p2align	6, 0x0
	.amdhsa_kernel _ZN7rocprim17ROCPRIM_400000_NS6detail17trampoline_kernelINS0_14default_configENS1_29binary_search_config_selectorIfiEEZNS1_14transform_implILb0ES3_S5_N6thrust23THRUST_200600_302600_NS6detail15normal_iteratorINS8_10device_ptrIfEEEENSA_INSB_IiEEEEZNS1_13binary_searchIS3_S5_SD_SD_SF_NS1_16binary_search_opENS9_16wrapped_functionINS0_4lessIvEEbEEEE10hipError_tPvRmT1_T2_T3_mmT4_T5_P12ihipStream_tbEUlRKfE_EESM_SQ_SR_mSS_SV_bEUlT_E_NS1_11comp_targetILNS1_3genE10ELNS1_11target_archE1201ELNS1_3gpuE5ELNS1_3repE0EEENS1_30default_config_static_selectorELNS0_4arch9wavefront6targetE1EEEvSP_
		.amdhsa_group_segment_fixed_size 0
		.amdhsa_private_segment_fixed_size 0
		.amdhsa_kernarg_size 56
		.amdhsa_user_sgpr_count 6
		.amdhsa_user_sgpr_private_segment_buffer 1
		.amdhsa_user_sgpr_dispatch_ptr 0
		.amdhsa_user_sgpr_queue_ptr 0
		.amdhsa_user_sgpr_kernarg_segment_ptr 1
		.amdhsa_user_sgpr_dispatch_id 0
		.amdhsa_user_sgpr_flat_scratch_init 0
		.amdhsa_user_sgpr_kernarg_preload_length 0
		.amdhsa_user_sgpr_kernarg_preload_offset 0
		.amdhsa_user_sgpr_private_segment_size 0
		.amdhsa_uses_dynamic_stack 0
		.amdhsa_system_sgpr_private_segment_wavefront_offset 0
		.amdhsa_system_sgpr_workgroup_id_x 1
		.amdhsa_system_sgpr_workgroup_id_y 0
		.amdhsa_system_sgpr_workgroup_id_z 0
		.amdhsa_system_sgpr_workgroup_info 0
		.amdhsa_system_vgpr_workitem_id 0
		.amdhsa_next_free_vgpr 1
		.amdhsa_next_free_sgpr 0
		.amdhsa_accum_offset 4
		.amdhsa_reserve_vcc 0
		.amdhsa_reserve_flat_scratch 0
		.amdhsa_float_round_mode_32 0
		.amdhsa_float_round_mode_16_64 0
		.amdhsa_float_denorm_mode_32 3
		.amdhsa_float_denorm_mode_16_64 3
		.amdhsa_dx10_clamp 1
		.amdhsa_ieee_mode 1
		.amdhsa_fp16_overflow 0
		.amdhsa_tg_split 0
		.amdhsa_exception_fp_ieee_invalid_op 0
		.amdhsa_exception_fp_denorm_src 0
		.amdhsa_exception_fp_ieee_div_zero 0
		.amdhsa_exception_fp_ieee_overflow 0
		.amdhsa_exception_fp_ieee_underflow 0
		.amdhsa_exception_fp_ieee_inexact 0
		.amdhsa_exception_int_div_zero 0
	.end_amdhsa_kernel
	.section	.text._ZN7rocprim17ROCPRIM_400000_NS6detail17trampoline_kernelINS0_14default_configENS1_29binary_search_config_selectorIfiEEZNS1_14transform_implILb0ES3_S5_N6thrust23THRUST_200600_302600_NS6detail15normal_iteratorINS8_10device_ptrIfEEEENSA_INSB_IiEEEEZNS1_13binary_searchIS3_S5_SD_SD_SF_NS1_16binary_search_opENS9_16wrapped_functionINS0_4lessIvEEbEEEE10hipError_tPvRmT1_T2_T3_mmT4_T5_P12ihipStream_tbEUlRKfE_EESM_SQ_SR_mSS_SV_bEUlT_E_NS1_11comp_targetILNS1_3genE10ELNS1_11target_archE1201ELNS1_3gpuE5ELNS1_3repE0EEENS1_30default_config_static_selectorELNS0_4arch9wavefront6targetE1EEEvSP_,"axG",@progbits,_ZN7rocprim17ROCPRIM_400000_NS6detail17trampoline_kernelINS0_14default_configENS1_29binary_search_config_selectorIfiEEZNS1_14transform_implILb0ES3_S5_N6thrust23THRUST_200600_302600_NS6detail15normal_iteratorINS8_10device_ptrIfEEEENSA_INSB_IiEEEEZNS1_13binary_searchIS3_S5_SD_SD_SF_NS1_16binary_search_opENS9_16wrapped_functionINS0_4lessIvEEbEEEE10hipError_tPvRmT1_T2_T3_mmT4_T5_P12ihipStream_tbEUlRKfE_EESM_SQ_SR_mSS_SV_bEUlT_E_NS1_11comp_targetILNS1_3genE10ELNS1_11target_archE1201ELNS1_3gpuE5ELNS1_3repE0EEENS1_30default_config_static_selectorELNS0_4arch9wavefront6targetE1EEEvSP_,comdat
.Lfunc_end434:
	.size	_ZN7rocprim17ROCPRIM_400000_NS6detail17trampoline_kernelINS0_14default_configENS1_29binary_search_config_selectorIfiEEZNS1_14transform_implILb0ES3_S5_N6thrust23THRUST_200600_302600_NS6detail15normal_iteratorINS8_10device_ptrIfEEEENSA_INSB_IiEEEEZNS1_13binary_searchIS3_S5_SD_SD_SF_NS1_16binary_search_opENS9_16wrapped_functionINS0_4lessIvEEbEEEE10hipError_tPvRmT1_T2_T3_mmT4_T5_P12ihipStream_tbEUlRKfE_EESM_SQ_SR_mSS_SV_bEUlT_E_NS1_11comp_targetILNS1_3genE10ELNS1_11target_archE1201ELNS1_3gpuE5ELNS1_3repE0EEENS1_30default_config_static_selectorELNS0_4arch9wavefront6targetE1EEEvSP_, .Lfunc_end434-_ZN7rocprim17ROCPRIM_400000_NS6detail17trampoline_kernelINS0_14default_configENS1_29binary_search_config_selectorIfiEEZNS1_14transform_implILb0ES3_S5_N6thrust23THRUST_200600_302600_NS6detail15normal_iteratorINS8_10device_ptrIfEEEENSA_INSB_IiEEEEZNS1_13binary_searchIS3_S5_SD_SD_SF_NS1_16binary_search_opENS9_16wrapped_functionINS0_4lessIvEEbEEEE10hipError_tPvRmT1_T2_T3_mmT4_T5_P12ihipStream_tbEUlRKfE_EESM_SQ_SR_mSS_SV_bEUlT_E_NS1_11comp_targetILNS1_3genE10ELNS1_11target_archE1201ELNS1_3gpuE5ELNS1_3repE0EEENS1_30default_config_static_selectorELNS0_4arch9wavefront6targetE1EEEvSP_
                                        ; -- End function
	.section	.AMDGPU.csdata,"",@progbits
; Kernel info:
; codeLenInByte = 0
; NumSgprs: 4
; NumVgprs: 0
; NumAgprs: 0
; TotalNumVgprs: 0
; ScratchSize: 0
; MemoryBound: 0
; FloatMode: 240
; IeeeMode: 1
; LDSByteSize: 0 bytes/workgroup (compile time only)
; SGPRBlocks: 0
; VGPRBlocks: 0
; NumSGPRsForWavesPerEU: 4
; NumVGPRsForWavesPerEU: 1
; AccumOffset: 4
; Occupancy: 8
; WaveLimiterHint : 0
; COMPUTE_PGM_RSRC2:SCRATCH_EN: 0
; COMPUTE_PGM_RSRC2:USER_SGPR: 6
; COMPUTE_PGM_RSRC2:TRAP_HANDLER: 0
; COMPUTE_PGM_RSRC2:TGID_X_EN: 1
; COMPUTE_PGM_RSRC2:TGID_Y_EN: 0
; COMPUTE_PGM_RSRC2:TGID_Z_EN: 0
; COMPUTE_PGM_RSRC2:TIDIG_COMP_CNT: 0
; COMPUTE_PGM_RSRC3_GFX90A:ACCUM_OFFSET: 0
; COMPUTE_PGM_RSRC3_GFX90A:TG_SPLIT: 0
	.section	.text._ZN7rocprim17ROCPRIM_400000_NS6detail17trampoline_kernelINS0_14default_configENS1_29binary_search_config_selectorIfiEEZNS1_14transform_implILb0ES3_S5_N6thrust23THRUST_200600_302600_NS6detail15normal_iteratorINS8_10device_ptrIfEEEENSA_INSB_IiEEEEZNS1_13binary_searchIS3_S5_SD_SD_SF_NS1_16binary_search_opENS9_16wrapped_functionINS0_4lessIvEEbEEEE10hipError_tPvRmT1_T2_T3_mmT4_T5_P12ihipStream_tbEUlRKfE_EESM_SQ_SR_mSS_SV_bEUlT_E_NS1_11comp_targetILNS1_3genE10ELNS1_11target_archE1200ELNS1_3gpuE4ELNS1_3repE0EEENS1_30default_config_static_selectorELNS0_4arch9wavefront6targetE1EEEvSP_,"axG",@progbits,_ZN7rocprim17ROCPRIM_400000_NS6detail17trampoline_kernelINS0_14default_configENS1_29binary_search_config_selectorIfiEEZNS1_14transform_implILb0ES3_S5_N6thrust23THRUST_200600_302600_NS6detail15normal_iteratorINS8_10device_ptrIfEEEENSA_INSB_IiEEEEZNS1_13binary_searchIS3_S5_SD_SD_SF_NS1_16binary_search_opENS9_16wrapped_functionINS0_4lessIvEEbEEEE10hipError_tPvRmT1_T2_T3_mmT4_T5_P12ihipStream_tbEUlRKfE_EESM_SQ_SR_mSS_SV_bEUlT_E_NS1_11comp_targetILNS1_3genE10ELNS1_11target_archE1200ELNS1_3gpuE4ELNS1_3repE0EEENS1_30default_config_static_selectorELNS0_4arch9wavefront6targetE1EEEvSP_,comdat
	.protected	_ZN7rocprim17ROCPRIM_400000_NS6detail17trampoline_kernelINS0_14default_configENS1_29binary_search_config_selectorIfiEEZNS1_14transform_implILb0ES3_S5_N6thrust23THRUST_200600_302600_NS6detail15normal_iteratorINS8_10device_ptrIfEEEENSA_INSB_IiEEEEZNS1_13binary_searchIS3_S5_SD_SD_SF_NS1_16binary_search_opENS9_16wrapped_functionINS0_4lessIvEEbEEEE10hipError_tPvRmT1_T2_T3_mmT4_T5_P12ihipStream_tbEUlRKfE_EESM_SQ_SR_mSS_SV_bEUlT_E_NS1_11comp_targetILNS1_3genE10ELNS1_11target_archE1200ELNS1_3gpuE4ELNS1_3repE0EEENS1_30default_config_static_selectorELNS0_4arch9wavefront6targetE1EEEvSP_ ; -- Begin function _ZN7rocprim17ROCPRIM_400000_NS6detail17trampoline_kernelINS0_14default_configENS1_29binary_search_config_selectorIfiEEZNS1_14transform_implILb0ES3_S5_N6thrust23THRUST_200600_302600_NS6detail15normal_iteratorINS8_10device_ptrIfEEEENSA_INSB_IiEEEEZNS1_13binary_searchIS3_S5_SD_SD_SF_NS1_16binary_search_opENS9_16wrapped_functionINS0_4lessIvEEbEEEE10hipError_tPvRmT1_T2_T3_mmT4_T5_P12ihipStream_tbEUlRKfE_EESM_SQ_SR_mSS_SV_bEUlT_E_NS1_11comp_targetILNS1_3genE10ELNS1_11target_archE1200ELNS1_3gpuE4ELNS1_3repE0EEENS1_30default_config_static_selectorELNS0_4arch9wavefront6targetE1EEEvSP_
	.globl	_ZN7rocprim17ROCPRIM_400000_NS6detail17trampoline_kernelINS0_14default_configENS1_29binary_search_config_selectorIfiEEZNS1_14transform_implILb0ES3_S5_N6thrust23THRUST_200600_302600_NS6detail15normal_iteratorINS8_10device_ptrIfEEEENSA_INSB_IiEEEEZNS1_13binary_searchIS3_S5_SD_SD_SF_NS1_16binary_search_opENS9_16wrapped_functionINS0_4lessIvEEbEEEE10hipError_tPvRmT1_T2_T3_mmT4_T5_P12ihipStream_tbEUlRKfE_EESM_SQ_SR_mSS_SV_bEUlT_E_NS1_11comp_targetILNS1_3genE10ELNS1_11target_archE1200ELNS1_3gpuE4ELNS1_3repE0EEENS1_30default_config_static_selectorELNS0_4arch9wavefront6targetE1EEEvSP_
	.p2align	8
	.type	_ZN7rocprim17ROCPRIM_400000_NS6detail17trampoline_kernelINS0_14default_configENS1_29binary_search_config_selectorIfiEEZNS1_14transform_implILb0ES3_S5_N6thrust23THRUST_200600_302600_NS6detail15normal_iteratorINS8_10device_ptrIfEEEENSA_INSB_IiEEEEZNS1_13binary_searchIS3_S5_SD_SD_SF_NS1_16binary_search_opENS9_16wrapped_functionINS0_4lessIvEEbEEEE10hipError_tPvRmT1_T2_T3_mmT4_T5_P12ihipStream_tbEUlRKfE_EESM_SQ_SR_mSS_SV_bEUlT_E_NS1_11comp_targetILNS1_3genE10ELNS1_11target_archE1200ELNS1_3gpuE4ELNS1_3repE0EEENS1_30default_config_static_selectorELNS0_4arch9wavefront6targetE1EEEvSP_,@function
_ZN7rocprim17ROCPRIM_400000_NS6detail17trampoline_kernelINS0_14default_configENS1_29binary_search_config_selectorIfiEEZNS1_14transform_implILb0ES3_S5_N6thrust23THRUST_200600_302600_NS6detail15normal_iteratorINS8_10device_ptrIfEEEENSA_INSB_IiEEEEZNS1_13binary_searchIS3_S5_SD_SD_SF_NS1_16binary_search_opENS9_16wrapped_functionINS0_4lessIvEEbEEEE10hipError_tPvRmT1_T2_T3_mmT4_T5_P12ihipStream_tbEUlRKfE_EESM_SQ_SR_mSS_SV_bEUlT_E_NS1_11comp_targetILNS1_3genE10ELNS1_11target_archE1200ELNS1_3gpuE4ELNS1_3repE0EEENS1_30default_config_static_selectorELNS0_4arch9wavefront6targetE1EEEvSP_: ; @_ZN7rocprim17ROCPRIM_400000_NS6detail17trampoline_kernelINS0_14default_configENS1_29binary_search_config_selectorIfiEEZNS1_14transform_implILb0ES3_S5_N6thrust23THRUST_200600_302600_NS6detail15normal_iteratorINS8_10device_ptrIfEEEENSA_INSB_IiEEEEZNS1_13binary_searchIS3_S5_SD_SD_SF_NS1_16binary_search_opENS9_16wrapped_functionINS0_4lessIvEEbEEEE10hipError_tPvRmT1_T2_T3_mmT4_T5_P12ihipStream_tbEUlRKfE_EESM_SQ_SR_mSS_SV_bEUlT_E_NS1_11comp_targetILNS1_3genE10ELNS1_11target_archE1200ELNS1_3gpuE4ELNS1_3repE0EEENS1_30default_config_static_selectorELNS0_4arch9wavefront6targetE1EEEvSP_
; %bb.0:
	.section	.rodata,"a",@progbits
	.p2align	6, 0x0
	.amdhsa_kernel _ZN7rocprim17ROCPRIM_400000_NS6detail17trampoline_kernelINS0_14default_configENS1_29binary_search_config_selectorIfiEEZNS1_14transform_implILb0ES3_S5_N6thrust23THRUST_200600_302600_NS6detail15normal_iteratorINS8_10device_ptrIfEEEENSA_INSB_IiEEEEZNS1_13binary_searchIS3_S5_SD_SD_SF_NS1_16binary_search_opENS9_16wrapped_functionINS0_4lessIvEEbEEEE10hipError_tPvRmT1_T2_T3_mmT4_T5_P12ihipStream_tbEUlRKfE_EESM_SQ_SR_mSS_SV_bEUlT_E_NS1_11comp_targetILNS1_3genE10ELNS1_11target_archE1200ELNS1_3gpuE4ELNS1_3repE0EEENS1_30default_config_static_selectorELNS0_4arch9wavefront6targetE1EEEvSP_
		.amdhsa_group_segment_fixed_size 0
		.amdhsa_private_segment_fixed_size 0
		.amdhsa_kernarg_size 56
		.amdhsa_user_sgpr_count 6
		.amdhsa_user_sgpr_private_segment_buffer 1
		.amdhsa_user_sgpr_dispatch_ptr 0
		.amdhsa_user_sgpr_queue_ptr 0
		.amdhsa_user_sgpr_kernarg_segment_ptr 1
		.amdhsa_user_sgpr_dispatch_id 0
		.amdhsa_user_sgpr_flat_scratch_init 0
		.amdhsa_user_sgpr_kernarg_preload_length 0
		.amdhsa_user_sgpr_kernarg_preload_offset 0
		.amdhsa_user_sgpr_private_segment_size 0
		.amdhsa_uses_dynamic_stack 0
		.amdhsa_system_sgpr_private_segment_wavefront_offset 0
		.amdhsa_system_sgpr_workgroup_id_x 1
		.amdhsa_system_sgpr_workgroup_id_y 0
		.amdhsa_system_sgpr_workgroup_id_z 0
		.amdhsa_system_sgpr_workgroup_info 0
		.amdhsa_system_vgpr_workitem_id 0
		.amdhsa_next_free_vgpr 1
		.amdhsa_next_free_sgpr 0
		.amdhsa_accum_offset 4
		.amdhsa_reserve_vcc 0
		.amdhsa_reserve_flat_scratch 0
		.amdhsa_float_round_mode_32 0
		.amdhsa_float_round_mode_16_64 0
		.amdhsa_float_denorm_mode_32 3
		.amdhsa_float_denorm_mode_16_64 3
		.amdhsa_dx10_clamp 1
		.amdhsa_ieee_mode 1
		.amdhsa_fp16_overflow 0
		.amdhsa_tg_split 0
		.amdhsa_exception_fp_ieee_invalid_op 0
		.amdhsa_exception_fp_denorm_src 0
		.amdhsa_exception_fp_ieee_div_zero 0
		.amdhsa_exception_fp_ieee_overflow 0
		.amdhsa_exception_fp_ieee_underflow 0
		.amdhsa_exception_fp_ieee_inexact 0
		.amdhsa_exception_int_div_zero 0
	.end_amdhsa_kernel
	.section	.text._ZN7rocprim17ROCPRIM_400000_NS6detail17trampoline_kernelINS0_14default_configENS1_29binary_search_config_selectorIfiEEZNS1_14transform_implILb0ES3_S5_N6thrust23THRUST_200600_302600_NS6detail15normal_iteratorINS8_10device_ptrIfEEEENSA_INSB_IiEEEEZNS1_13binary_searchIS3_S5_SD_SD_SF_NS1_16binary_search_opENS9_16wrapped_functionINS0_4lessIvEEbEEEE10hipError_tPvRmT1_T2_T3_mmT4_T5_P12ihipStream_tbEUlRKfE_EESM_SQ_SR_mSS_SV_bEUlT_E_NS1_11comp_targetILNS1_3genE10ELNS1_11target_archE1200ELNS1_3gpuE4ELNS1_3repE0EEENS1_30default_config_static_selectorELNS0_4arch9wavefront6targetE1EEEvSP_,"axG",@progbits,_ZN7rocprim17ROCPRIM_400000_NS6detail17trampoline_kernelINS0_14default_configENS1_29binary_search_config_selectorIfiEEZNS1_14transform_implILb0ES3_S5_N6thrust23THRUST_200600_302600_NS6detail15normal_iteratorINS8_10device_ptrIfEEEENSA_INSB_IiEEEEZNS1_13binary_searchIS3_S5_SD_SD_SF_NS1_16binary_search_opENS9_16wrapped_functionINS0_4lessIvEEbEEEE10hipError_tPvRmT1_T2_T3_mmT4_T5_P12ihipStream_tbEUlRKfE_EESM_SQ_SR_mSS_SV_bEUlT_E_NS1_11comp_targetILNS1_3genE10ELNS1_11target_archE1200ELNS1_3gpuE4ELNS1_3repE0EEENS1_30default_config_static_selectorELNS0_4arch9wavefront6targetE1EEEvSP_,comdat
.Lfunc_end435:
	.size	_ZN7rocprim17ROCPRIM_400000_NS6detail17trampoline_kernelINS0_14default_configENS1_29binary_search_config_selectorIfiEEZNS1_14transform_implILb0ES3_S5_N6thrust23THRUST_200600_302600_NS6detail15normal_iteratorINS8_10device_ptrIfEEEENSA_INSB_IiEEEEZNS1_13binary_searchIS3_S5_SD_SD_SF_NS1_16binary_search_opENS9_16wrapped_functionINS0_4lessIvEEbEEEE10hipError_tPvRmT1_T2_T3_mmT4_T5_P12ihipStream_tbEUlRKfE_EESM_SQ_SR_mSS_SV_bEUlT_E_NS1_11comp_targetILNS1_3genE10ELNS1_11target_archE1200ELNS1_3gpuE4ELNS1_3repE0EEENS1_30default_config_static_selectorELNS0_4arch9wavefront6targetE1EEEvSP_, .Lfunc_end435-_ZN7rocprim17ROCPRIM_400000_NS6detail17trampoline_kernelINS0_14default_configENS1_29binary_search_config_selectorIfiEEZNS1_14transform_implILb0ES3_S5_N6thrust23THRUST_200600_302600_NS6detail15normal_iteratorINS8_10device_ptrIfEEEENSA_INSB_IiEEEEZNS1_13binary_searchIS3_S5_SD_SD_SF_NS1_16binary_search_opENS9_16wrapped_functionINS0_4lessIvEEbEEEE10hipError_tPvRmT1_T2_T3_mmT4_T5_P12ihipStream_tbEUlRKfE_EESM_SQ_SR_mSS_SV_bEUlT_E_NS1_11comp_targetILNS1_3genE10ELNS1_11target_archE1200ELNS1_3gpuE4ELNS1_3repE0EEENS1_30default_config_static_selectorELNS0_4arch9wavefront6targetE1EEEvSP_
                                        ; -- End function
	.section	.AMDGPU.csdata,"",@progbits
; Kernel info:
; codeLenInByte = 0
; NumSgprs: 4
; NumVgprs: 0
; NumAgprs: 0
; TotalNumVgprs: 0
; ScratchSize: 0
; MemoryBound: 0
; FloatMode: 240
; IeeeMode: 1
; LDSByteSize: 0 bytes/workgroup (compile time only)
; SGPRBlocks: 0
; VGPRBlocks: 0
; NumSGPRsForWavesPerEU: 4
; NumVGPRsForWavesPerEU: 1
; AccumOffset: 4
; Occupancy: 8
; WaveLimiterHint : 0
; COMPUTE_PGM_RSRC2:SCRATCH_EN: 0
; COMPUTE_PGM_RSRC2:USER_SGPR: 6
; COMPUTE_PGM_RSRC2:TRAP_HANDLER: 0
; COMPUTE_PGM_RSRC2:TGID_X_EN: 1
; COMPUTE_PGM_RSRC2:TGID_Y_EN: 0
; COMPUTE_PGM_RSRC2:TGID_Z_EN: 0
; COMPUTE_PGM_RSRC2:TIDIG_COMP_CNT: 0
; COMPUTE_PGM_RSRC3_GFX90A:ACCUM_OFFSET: 0
; COMPUTE_PGM_RSRC3_GFX90A:TG_SPLIT: 0
	.section	.text._ZN7rocprim17ROCPRIM_400000_NS6detail17trampoline_kernelINS0_14default_configENS1_29binary_search_config_selectorIfiEEZNS1_14transform_implILb0ES3_S5_N6thrust23THRUST_200600_302600_NS6detail15normal_iteratorINS8_10device_ptrIfEEEENSA_INSB_IiEEEEZNS1_13binary_searchIS3_S5_SD_SD_SF_NS1_16binary_search_opENS9_16wrapped_functionINS0_4lessIvEEbEEEE10hipError_tPvRmT1_T2_T3_mmT4_T5_P12ihipStream_tbEUlRKfE_EESM_SQ_SR_mSS_SV_bEUlT_E_NS1_11comp_targetILNS1_3genE9ELNS1_11target_archE1100ELNS1_3gpuE3ELNS1_3repE0EEENS1_30default_config_static_selectorELNS0_4arch9wavefront6targetE1EEEvSP_,"axG",@progbits,_ZN7rocprim17ROCPRIM_400000_NS6detail17trampoline_kernelINS0_14default_configENS1_29binary_search_config_selectorIfiEEZNS1_14transform_implILb0ES3_S5_N6thrust23THRUST_200600_302600_NS6detail15normal_iteratorINS8_10device_ptrIfEEEENSA_INSB_IiEEEEZNS1_13binary_searchIS3_S5_SD_SD_SF_NS1_16binary_search_opENS9_16wrapped_functionINS0_4lessIvEEbEEEE10hipError_tPvRmT1_T2_T3_mmT4_T5_P12ihipStream_tbEUlRKfE_EESM_SQ_SR_mSS_SV_bEUlT_E_NS1_11comp_targetILNS1_3genE9ELNS1_11target_archE1100ELNS1_3gpuE3ELNS1_3repE0EEENS1_30default_config_static_selectorELNS0_4arch9wavefront6targetE1EEEvSP_,comdat
	.protected	_ZN7rocprim17ROCPRIM_400000_NS6detail17trampoline_kernelINS0_14default_configENS1_29binary_search_config_selectorIfiEEZNS1_14transform_implILb0ES3_S5_N6thrust23THRUST_200600_302600_NS6detail15normal_iteratorINS8_10device_ptrIfEEEENSA_INSB_IiEEEEZNS1_13binary_searchIS3_S5_SD_SD_SF_NS1_16binary_search_opENS9_16wrapped_functionINS0_4lessIvEEbEEEE10hipError_tPvRmT1_T2_T3_mmT4_T5_P12ihipStream_tbEUlRKfE_EESM_SQ_SR_mSS_SV_bEUlT_E_NS1_11comp_targetILNS1_3genE9ELNS1_11target_archE1100ELNS1_3gpuE3ELNS1_3repE0EEENS1_30default_config_static_selectorELNS0_4arch9wavefront6targetE1EEEvSP_ ; -- Begin function _ZN7rocprim17ROCPRIM_400000_NS6detail17trampoline_kernelINS0_14default_configENS1_29binary_search_config_selectorIfiEEZNS1_14transform_implILb0ES3_S5_N6thrust23THRUST_200600_302600_NS6detail15normal_iteratorINS8_10device_ptrIfEEEENSA_INSB_IiEEEEZNS1_13binary_searchIS3_S5_SD_SD_SF_NS1_16binary_search_opENS9_16wrapped_functionINS0_4lessIvEEbEEEE10hipError_tPvRmT1_T2_T3_mmT4_T5_P12ihipStream_tbEUlRKfE_EESM_SQ_SR_mSS_SV_bEUlT_E_NS1_11comp_targetILNS1_3genE9ELNS1_11target_archE1100ELNS1_3gpuE3ELNS1_3repE0EEENS1_30default_config_static_selectorELNS0_4arch9wavefront6targetE1EEEvSP_
	.globl	_ZN7rocprim17ROCPRIM_400000_NS6detail17trampoline_kernelINS0_14default_configENS1_29binary_search_config_selectorIfiEEZNS1_14transform_implILb0ES3_S5_N6thrust23THRUST_200600_302600_NS6detail15normal_iteratorINS8_10device_ptrIfEEEENSA_INSB_IiEEEEZNS1_13binary_searchIS3_S5_SD_SD_SF_NS1_16binary_search_opENS9_16wrapped_functionINS0_4lessIvEEbEEEE10hipError_tPvRmT1_T2_T3_mmT4_T5_P12ihipStream_tbEUlRKfE_EESM_SQ_SR_mSS_SV_bEUlT_E_NS1_11comp_targetILNS1_3genE9ELNS1_11target_archE1100ELNS1_3gpuE3ELNS1_3repE0EEENS1_30default_config_static_selectorELNS0_4arch9wavefront6targetE1EEEvSP_
	.p2align	8
	.type	_ZN7rocprim17ROCPRIM_400000_NS6detail17trampoline_kernelINS0_14default_configENS1_29binary_search_config_selectorIfiEEZNS1_14transform_implILb0ES3_S5_N6thrust23THRUST_200600_302600_NS6detail15normal_iteratorINS8_10device_ptrIfEEEENSA_INSB_IiEEEEZNS1_13binary_searchIS3_S5_SD_SD_SF_NS1_16binary_search_opENS9_16wrapped_functionINS0_4lessIvEEbEEEE10hipError_tPvRmT1_T2_T3_mmT4_T5_P12ihipStream_tbEUlRKfE_EESM_SQ_SR_mSS_SV_bEUlT_E_NS1_11comp_targetILNS1_3genE9ELNS1_11target_archE1100ELNS1_3gpuE3ELNS1_3repE0EEENS1_30default_config_static_selectorELNS0_4arch9wavefront6targetE1EEEvSP_,@function
_ZN7rocprim17ROCPRIM_400000_NS6detail17trampoline_kernelINS0_14default_configENS1_29binary_search_config_selectorIfiEEZNS1_14transform_implILb0ES3_S5_N6thrust23THRUST_200600_302600_NS6detail15normal_iteratorINS8_10device_ptrIfEEEENSA_INSB_IiEEEEZNS1_13binary_searchIS3_S5_SD_SD_SF_NS1_16binary_search_opENS9_16wrapped_functionINS0_4lessIvEEbEEEE10hipError_tPvRmT1_T2_T3_mmT4_T5_P12ihipStream_tbEUlRKfE_EESM_SQ_SR_mSS_SV_bEUlT_E_NS1_11comp_targetILNS1_3genE9ELNS1_11target_archE1100ELNS1_3gpuE3ELNS1_3repE0EEENS1_30default_config_static_selectorELNS0_4arch9wavefront6targetE1EEEvSP_: ; @_ZN7rocprim17ROCPRIM_400000_NS6detail17trampoline_kernelINS0_14default_configENS1_29binary_search_config_selectorIfiEEZNS1_14transform_implILb0ES3_S5_N6thrust23THRUST_200600_302600_NS6detail15normal_iteratorINS8_10device_ptrIfEEEENSA_INSB_IiEEEEZNS1_13binary_searchIS3_S5_SD_SD_SF_NS1_16binary_search_opENS9_16wrapped_functionINS0_4lessIvEEbEEEE10hipError_tPvRmT1_T2_T3_mmT4_T5_P12ihipStream_tbEUlRKfE_EESM_SQ_SR_mSS_SV_bEUlT_E_NS1_11comp_targetILNS1_3genE9ELNS1_11target_archE1100ELNS1_3gpuE3ELNS1_3repE0EEENS1_30default_config_static_selectorELNS0_4arch9wavefront6targetE1EEEvSP_
; %bb.0:
	.section	.rodata,"a",@progbits
	.p2align	6, 0x0
	.amdhsa_kernel _ZN7rocprim17ROCPRIM_400000_NS6detail17trampoline_kernelINS0_14default_configENS1_29binary_search_config_selectorIfiEEZNS1_14transform_implILb0ES3_S5_N6thrust23THRUST_200600_302600_NS6detail15normal_iteratorINS8_10device_ptrIfEEEENSA_INSB_IiEEEEZNS1_13binary_searchIS3_S5_SD_SD_SF_NS1_16binary_search_opENS9_16wrapped_functionINS0_4lessIvEEbEEEE10hipError_tPvRmT1_T2_T3_mmT4_T5_P12ihipStream_tbEUlRKfE_EESM_SQ_SR_mSS_SV_bEUlT_E_NS1_11comp_targetILNS1_3genE9ELNS1_11target_archE1100ELNS1_3gpuE3ELNS1_3repE0EEENS1_30default_config_static_selectorELNS0_4arch9wavefront6targetE1EEEvSP_
		.amdhsa_group_segment_fixed_size 0
		.amdhsa_private_segment_fixed_size 0
		.amdhsa_kernarg_size 56
		.amdhsa_user_sgpr_count 6
		.amdhsa_user_sgpr_private_segment_buffer 1
		.amdhsa_user_sgpr_dispatch_ptr 0
		.amdhsa_user_sgpr_queue_ptr 0
		.amdhsa_user_sgpr_kernarg_segment_ptr 1
		.amdhsa_user_sgpr_dispatch_id 0
		.amdhsa_user_sgpr_flat_scratch_init 0
		.amdhsa_user_sgpr_kernarg_preload_length 0
		.amdhsa_user_sgpr_kernarg_preload_offset 0
		.amdhsa_user_sgpr_private_segment_size 0
		.amdhsa_uses_dynamic_stack 0
		.amdhsa_system_sgpr_private_segment_wavefront_offset 0
		.amdhsa_system_sgpr_workgroup_id_x 1
		.amdhsa_system_sgpr_workgroup_id_y 0
		.amdhsa_system_sgpr_workgroup_id_z 0
		.amdhsa_system_sgpr_workgroup_info 0
		.amdhsa_system_vgpr_workitem_id 0
		.amdhsa_next_free_vgpr 1
		.amdhsa_next_free_sgpr 0
		.amdhsa_accum_offset 4
		.amdhsa_reserve_vcc 0
		.amdhsa_reserve_flat_scratch 0
		.amdhsa_float_round_mode_32 0
		.amdhsa_float_round_mode_16_64 0
		.amdhsa_float_denorm_mode_32 3
		.amdhsa_float_denorm_mode_16_64 3
		.amdhsa_dx10_clamp 1
		.amdhsa_ieee_mode 1
		.amdhsa_fp16_overflow 0
		.amdhsa_tg_split 0
		.amdhsa_exception_fp_ieee_invalid_op 0
		.amdhsa_exception_fp_denorm_src 0
		.amdhsa_exception_fp_ieee_div_zero 0
		.amdhsa_exception_fp_ieee_overflow 0
		.amdhsa_exception_fp_ieee_underflow 0
		.amdhsa_exception_fp_ieee_inexact 0
		.amdhsa_exception_int_div_zero 0
	.end_amdhsa_kernel
	.section	.text._ZN7rocprim17ROCPRIM_400000_NS6detail17trampoline_kernelINS0_14default_configENS1_29binary_search_config_selectorIfiEEZNS1_14transform_implILb0ES3_S5_N6thrust23THRUST_200600_302600_NS6detail15normal_iteratorINS8_10device_ptrIfEEEENSA_INSB_IiEEEEZNS1_13binary_searchIS3_S5_SD_SD_SF_NS1_16binary_search_opENS9_16wrapped_functionINS0_4lessIvEEbEEEE10hipError_tPvRmT1_T2_T3_mmT4_T5_P12ihipStream_tbEUlRKfE_EESM_SQ_SR_mSS_SV_bEUlT_E_NS1_11comp_targetILNS1_3genE9ELNS1_11target_archE1100ELNS1_3gpuE3ELNS1_3repE0EEENS1_30default_config_static_selectorELNS0_4arch9wavefront6targetE1EEEvSP_,"axG",@progbits,_ZN7rocprim17ROCPRIM_400000_NS6detail17trampoline_kernelINS0_14default_configENS1_29binary_search_config_selectorIfiEEZNS1_14transform_implILb0ES3_S5_N6thrust23THRUST_200600_302600_NS6detail15normal_iteratorINS8_10device_ptrIfEEEENSA_INSB_IiEEEEZNS1_13binary_searchIS3_S5_SD_SD_SF_NS1_16binary_search_opENS9_16wrapped_functionINS0_4lessIvEEbEEEE10hipError_tPvRmT1_T2_T3_mmT4_T5_P12ihipStream_tbEUlRKfE_EESM_SQ_SR_mSS_SV_bEUlT_E_NS1_11comp_targetILNS1_3genE9ELNS1_11target_archE1100ELNS1_3gpuE3ELNS1_3repE0EEENS1_30default_config_static_selectorELNS0_4arch9wavefront6targetE1EEEvSP_,comdat
.Lfunc_end436:
	.size	_ZN7rocprim17ROCPRIM_400000_NS6detail17trampoline_kernelINS0_14default_configENS1_29binary_search_config_selectorIfiEEZNS1_14transform_implILb0ES3_S5_N6thrust23THRUST_200600_302600_NS6detail15normal_iteratorINS8_10device_ptrIfEEEENSA_INSB_IiEEEEZNS1_13binary_searchIS3_S5_SD_SD_SF_NS1_16binary_search_opENS9_16wrapped_functionINS0_4lessIvEEbEEEE10hipError_tPvRmT1_T2_T3_mmT4_T5_P12ihipStream_tbEUlRKfE_EESM_SQ_SR_mSS_SV_bEUlT_E_NS1_11comp_targetILNS1_3genE9ELNS1_11target_archE1100ELNS1_3gpuE3ELNS1_3repE0EEENS1_30default_config_static_selectorELNS0_4arch9wavefront6targetE1EEEvSP_, .Lfunc_end436-_ZN7rocprim17ROCPRIM_400000_NS6detail17trampoline_kernelINS0_14default_configENS1_29binary_search_config_selectorIfiEEZNS1_14transform_implILb0ES3_S5_N6thrust23THRUST_200600_302600_NS6detail15normal_iteratorINS8_10device_ptrIfEEEENSA_INSB_IiEEEEZNS1_13binary_searchIS3_S5_SD_SD_SF_NS1_16binary_search_opENS9_16wrapped_functionINS0_4lessIvEEbEEEE10hipError_tPvRmT1_T2_T3_mmT4_T5_P12ihipStream_tbEUlRKfE_EESM_SQ_SR_mSS_SV_bEUlT_E_NS1_11comp_targetILNS1_3genE9ELNS1_11target_archE1100ELNS1_3gpuE3ELNS1_3repE0EEENS1_30default_config_static_selectorELNS0_4arch9wavefront6targetE1EEEvSP_
                                        ; -- End function
	.section	.AMDGPU.csdata,"",@progbits
; Kernel info:
; codeLenInByte = 0
; NumSgprs: 4
; NumVgprs: 0
; NumAgprs: 0
; TotalNumVgprs: 0
; ScratchSize: 0
; MemoryBound: 0
; FloatMode: 240
; IeeeMode: 1
; LDSByteSize: 0 bytes/workgroup (compile time only)
; SGPRBlocks: 0
; VGPRBlocks: 0
; NumSGPRsForWavesPerEU: 4
; NumVGPRsForWavesPerEU: 1
; AccumOffset: 4
; Occupancy: 8
; WaveLimiterHint : 0
; COMPUTE_PGM_RSRC2:SCRATCH_EN: 0
; COMPUTE_PGM_RSRC2:USER_SGPR: 6
; COMPUTE_PGM_RSRC2:TRAP_HANDLER: 0
; COMPUTE_PGM_RSRC2:TGID_X_EN: 1
; COMPUTE_PGM_RSRC2:TGID_Y_EN: 0
; COMPUTE_PGM_RSRC2:TGID_Z_EN: 0
; COMPUTE_PGM_RSRC2:TIDIG_COMP_CNT: 0
; COMPUTE_PGM_RSRC3_GFX90A:ACCUM_OFFSET: 0
; COMPUTE_PGM_RSRC3_GFX90A:TG_SPLIT: 0
	.section	.text._ZN7rocprim17ROCPRIM_400000_NS6detail17trampoline_kernelINS0_14default_configENS1_29binary_search_config_selectorIfiEEZNS1_14transform_implILb0ES3_S5_N6thrust23THRUST_200600_302600_NS6detail15normal_iteratorINS8_10device_ptrIfEEEENSA_INSB_IiEEEEZNS1_13binary_searchIS3_S5_SD_SD_SF_NS1_16binary_search_opENS9_16wrapped_functionINS0_4lessIvEEbEEEE10hipError_tPvRmT1_T2_T3_mmT4_T5_P12ihipStream_tbEUlRKfE_EESM_SQ_SR_mSS_SV_bEUlT_E_NS1_11comp_targetILNS1_3genE8ELNS1_11target_archE1030ELNS1_3gpuE2ELNS1_3repE0EEENS1_30default_config_static_selectorELNS0_4arch9wavefront6targetE1EEEvSP_,"axG",@progbits,_ZN7rocprim17ROCPRIM_400000_NS6detail17trampoline_kernelINS0_14default_configENS1_29binary_search_config_selectorIfiEEZNS1_14transform_implILb0ES3_S5_N6thrust23THRUST_200600_302600_NS6detail15normal_iteratorINS8_10device_ptrIfEEEENSA_INSB_IiEEEEZNS1_13binary_searchIS3_S5_SD_SD_SF_NS1_16binary_search_opENS9_16wrapped_functionINS0_4lessIvEEbEEEE10hipError_tPvRmT1_T2_T3_mmT4_T5_P12ihipStream_tbEUlRKfE_EESM_SQ_SR_mSS_SV_bEUlT_E_NS1_11comp_targetILNS1_3genE8ELNS1_11target_archE1030ELNS1_3gpuE2ELNS1_3repE0EEENS1_30default_config_static_selectorELNS0_4arch9wavefront6targetE1EEEvSP_,comdat
	.protected	_ZN7rocprim17ROCPRIM_400000_NS6detail17trampoline_kernelINS0_14default_configENS1_29binary_search_config_selectorIfiEEZNS1_14transform_implILb0ES3_S5_N6thrust23THRUST_200600_302600_NS6detail15normal_iteratorINS8_10device_ptrIfEEEENSA_INSB_IiEEEEZNS1_13binary_searchIS3_S5_SD_SD_SF_NS1_16binary_search_opENS9_16wrapped_functionINS0_4lessIvEEbEEEE10hipError_tPvRmT1_T2_T3_mmT4_T5_P12ihipStream_tbEUlRKfE_EESM_SQ_SR_mSS_SV_bEUlT_E_NS1_11comp_targetILNS1_3genE8ELNS1_11target_archE1030ELNS1_3gpuE2ELNS1_3repE0EEENS1_30default_config_static_selectorELNS0_4arch9wavefront6targetE1EEEvSP_ ; -- Begin function _ZN7rocprim17ROCPRIM_400000_NS6detail17trampoline_kernelINS0_14default_configENS1_29binary_search_config_selectorIfiEEZNS1_14transform_implILb0ES3_S5_N6thrust23THRUST_200600_302600_NS6detail15normal_iteratorINS8_10device_ptrIfEEEENSA_INSB_IiEEEEZNS1_13binary_searchIS3_S5_SD_SD_SF_NS1_16binary_search_opENS9_16wrapped_functionINS0_4lessIvEEbEEEE10hipError_tPvRmT1_T2_T3_mmT4_T5_P12ihipStream_tbEUlRKfE_EESM_SQ_SR_mSS_SV_bEUlT_E_NS1_11comp_targetILNS1_3genE8ELNS1_11target_archE1030ELNS1_3gpuE2ELNS1_3repE0EEENS1_30default_config_static_selectorELNS0_4arch9wavefront6targetE1EEEvSP_
	.globl	_ZN7rocprim17ROCPRIM_400000_NS6detail17trampoline_kernelINS0_14default_configENS1_29binary_search_config_selectorIfiEEZNS1_14transform_implILb0ES3_S5_N6thrust23THRUST_200600_302600_NS6detail15normal_iteratorINS8_10device_ptrIfEEEENSA_INSB_IiEEEEZNS1_13binary_searchIS3_S5_SD_SD_SF_NS1_16binary_search_opENS9_16wrapped_functionINS0_4lessIvEEbEEEE10hipError_tPvRmT1_T2_T3_mmT4_T5_P12ihipStream_tbEUlRKfE_EESM_SQ_SR_mSS_SV_bEUlT_E_NS1_11comp_targetILNS1_3genE8ELNS1_11target_archE1030ELNS1_3gpuE2ELNS1_3repE0EEENS1_30default_config_static_selectorELNS0_4arch9wavefront6targetE1EEEvSP_
	.p2align	8
	.type	_ZN7rocprim17ROCPRIM_400000_NS6detail17trampoline_kernelINS0_14default_configENS1_29binary_search_config_selectorIfiEEZNS1_14transform_implILb0ES3_S5_N6thrust23THRUST_200600_302600_NS6detail15normal_iteratorINS8_10device_ptrIfEEEENSA_INSB_IiEEEEZNS1_13binary_searchIS3_S5_SD_SD_SF_NS1_16binary_search_opENS9_16wrapped_functionINS0_4lessIvEEbEEEE10hipError_tPvRmT1_T2_T3_mmT4_T5_P12ihipStream_tbEUlRKfE_EESM_SQ_SR_mSS_SV_bEUlT_E_NS1_11comp_targetILNS1_3genE8ELNS1_11target_archE1030ELNS1_3gpuE2ELNS1_3repE0EEENS1_30default_config_static_selectorELNS0_4arch9wavefront6targetE1EEEvSP_,@function
_ZN7rocprim17ROCPRIM_400000_NS6detail17trampoline_kernelINS0_14default_configENS1_29binary_search_config_selectorIfiEEZNS1_14transform_implILb0ES3_S5_N6thrust23THRUST_200600_302600_NS6detail15normal_iteratorINS8_10device_ptrIfEEEENSA_INSB_IiEEEEZNS1_13binary_searchIS3_S5_SD_SD_SF_NS1_16binary_search_opENS9_16wrapped_functionINS0_4lessIvEEbEEEE10hipError_tPvRmT1_T2_T3_mmT4_T5_P12ihipStream_tbEUlRKfE_EESM_SQ_SR_mSS_SV_bEUlT_E_NS1_11comp_targetILNS1_3genE8ELNS1_11target_archE1030ELNS1_3gpuE2ELNS1_3repE0EEENS1_30default_config_static_selectorELNS0_4arch9wavefront6targetE1EEEvSP_: ; @_ZN7rocprim17ROCPRIM_400000_NS6detail17trampoline_kernelINS0_14default_configENS1_29binary_search_config_selectorIfiEEZNS1_14transform_implILb0ES3_S5_N6thrust23THRUST_200600_302600_NS6detail15normal_iteratorINS8_10device_ptrIfEEEENSA_INSB_IiEEEEZNS1_13binary_searchIS3_S5_SD_SD_SF_NS1_16binary_search_opENS9_16wrapped_functionINS0_4lessIvEEbEEEE10hipError_tPvRmT1_T2_T3_mmT4_T5_P12ihipStream_tbEUlRKfE_EESM_SQ_SR_mSS_SV_bEUlT_E_NS1_11comp_targetILNS1_3genE8ELNS1_11target_archE1030ELNS1_3gpuE2ELNS1_3repE0EEENS1_30default_config_static_selectorELNS0_4arch9wavefront6targetE1EEEvSP_
; %bb.0:
	.section	.rodata,"a",@progbits
	.p2align	6, 0x0
	.amdhsa_kernel _ZN7rocprim17ROCPRIM_400000_NS6detail17trampoline_kernelINS0_14default_configENS1_29binary_search_config_selectorIfiEEZNS1_14transform_implILb0ES3_S5_N6thrust23THRUST_200600_302600_NS6detail15normal_iteratorINS8_10device_ptrIfEEEENSA_INSB_IiEEEEZNS1_13binary_searchIS3_S5_SD_SD_SF_NS1_16binary_search_opENS9_16wrapped_functionINS0_4lessIvEEbEEEE10hipError_tPvRmT1_T2_T3_mmT4_T5_P12ihipStream_tbEUlRKfE_EESM_SQ_SR_mSS_SV_bEUlT_E_NS1_11comp_targetILNS1_3genE8ELNS1_11target_archE1030ELNS1_3gpuE2ELNS1_3repE0EEENS1_30default_config_static_selectorELNS0_4arch9wavefront6targetE1EEEvSP_
		.amdhsa_group_segment_fixed_size 0
		.amdhsa_private_segment_fixed_size 0
		.amdhsa_kernarg_size 56
		.amdhsa_user_sgpr_count 6
		.amdhsa_user_sgpr_private_segment_buffer 1
		.amdhsa_user_sgpr_dispatch_ptr 0
		.amdhsa_user_sgpr_queue_ptr 0
		.amdhsa_user_sgpr_kernarg_segment_ptr 1
		.amdhsa_user_sgpr_dispatch_id 0
		.amdhsa_user_sgpr_flat_scratch_init 0
		.amdhsa_user_sgpr_kernarg_preload_length 0
		.amdhsa_user_sgpr_kernarg_preload_offset 0
		.amdhsa_user_sgpr_private_segment_size 0
		.amdhsa_uses_dynamic_stack 0
		.amdhsa_system_sgpr_private_segment_wavefront_offset 0
		.amdhsa_system_sgpr_workgroup_id_x 1
		.amdhsa_system_sgpr_workgroup_id_y 0
		.amdhsa_system_sgpr_workgroup_id_z 0
		.amdhsa_system_sgpr_workgroup_info 0
		.amdhsa_system_vgpr_workitem_id 0
		.amdhsa_next_free_vgpr 1
		.amdhsa_next_free_sgpr 0
		.amdhsa_accum_offset 4
		.amdhsa_reserve_vcc 0
		.amdhsa_reserve_flat_scratch 0
		.amdhsa_float_round_mode_32 0
		.amdhsa_float_round_mode_16_64 0
		.amdhsa_float_denorm_mode_32 3
		.amdhsa_float_denorm_mode_16_64 3
		.amdhsa_dx10_clamp 1
		.amdhsa_ieee_mode 1
		.amdhsa_fp16_overflow 0
		.amdhsa_tg_split 0
		.amdhsa_exception_fp_ieee_invalid_op 0
		.amdhsa_exception_fp_denorm_src 0
		.amdhsa_exception_fp_ieee_div_zero 0
		.amdhsa_exception_fp_ieee_overflow 0
		.amdhsa_exception_fp_ieee_underflow 0
		.amdhsa_exception_fp_ieee_inexact 0
		.amdhsa_exception_int_div_zero 0
	.end_amdhsa_kernel
	.section	.text._ZN7rocprim17ROCPRIM_400000_NS6detail17trampoline_kernelINS0_14default_configENS1_29binary_search_config_selectorIfiEEZNS1_14transform_implILb0ES3_S5_N6thrust23THRUST_200600_302600_NS6detail15normal_iteratorINS8_10device_ptrIfEEEENSA_INSB_IiEEEEZNS1_13binary_searchIS3_S5_SD_SD_SF_NS1_16binary_search_opENS9_16wrapped_functionINS0_4lessIvEEbEEEE10hipError_tPvRmT1_T2_T3_mmT4_T5_P12ihipStream_tbEUlRKfE_EESM_SQ_SR_mSS_SV_bEUlT_E_NS1_11comp_targetILNS1_3genE8ELNS1_11target_archE1030ELNS1_3gpuE2ELNS1_3repE0EEENS1_30default_config_static_selectorELNS0_4arch9wavefront6targetE1EEEvSP_,"axG",@progbits,_ZN7rocprim17ROCPRIM_400000_NS6detail17trampoline_kernelINS0_14default_configENS1_29binary_search_config_selectorIfiEEZNS1_14transform_implILb0ES3_S5_N6thrust23THRUST_200600_302600_NS6detail15normal_iteratorINS8_10device_ptrIfEEEENSA_INSB_IiEEEEZNS1_13binary_searchIS3_S5_SD_SD_SF_NS1_16binary_search_opENS9_16wrapped_functionINS0_4lessIvEEbEEEE10hipError_tPvRmT1_T2_T3_mmT4_T5_P12ihipStream_tbEUlRKfE_EESM_SQ_SR_mSS_SV_bEUlT_E_NS1_11comp_targetILNS1_3genE8ELNS1_11target_archE1030ELNS1_3gpuE2ELNS1_3repE0EEENS1_30default_config_static_selectorELNS0_4arch9wavefront6targetE1EEEvSP_,comdat
.Lfunc_end437:
	.size	_ZN7rocprim17ROCPRIM_400000_NS6detail17trampoline_kernelINS0_14default_configENS1_29binary_search_config_selectorIfiEEZNS1_14transform_implILb0ES3_S5_N6thrust23THRUST_200600_302600_NS6detail15normal_iteratorINS8_10device_ptrIfEEEENSA_INSB_IiEEEEZNS1_13binary_searchIS3_S5_SD_SD_SF_NS1_16binary_search_opENS9_16wrapped_functionINS0_4lessIvEEbEEEE10hipError_tPvRmT1_T2_T3_mmT4_T5_P12ihipStream_tbEUlRKfE_EESM_SQ_SR_mSS_SV_bEUlT_E_NS1_11comp_targetILNS1_3genE8ELNS1_11target_archE1030ELNS1_3gpuE2ELNS1_3repE0EEENS1_30default_config_static_selectorELNS0_4arch9wavefront6targetE1EEEvSP_, .Lfunc_end437-_ZN7rocprim17ROCPRIM_400000_NS6detail17trampoline_kernelINS0_14default_configENS1_29binary_search_config_selectorIfiEEZNS1_14transform_implILb0ES3_S5_N6thrust23THRUST_200600_302600_NS6detail15normal_iteratorINS8_10device_ptrIfEEEENSA_INSB_IiEEEEZNS1_13binary_searchIS3_S5_SD_SD_SF_NS1_16binary_search_opENS9_16wrapped_functionINS0_4lessIvEEbEEEE10hipError_tPvRmT1_T2_T3_mmT4_T5_P12ihipStream_tbEUlRKfE_EESM_SQ_SR_mSS_SV_bEUlT_E_NS1_11comp_targetILNS1_3genE8ELNS1_11target_archE1030ELNS1_3gpuE2ELNS1_3repE0EEENS1_30default_config_static_selectorELNS0_4arch9wavefront6targetE1EEEvSP_
                                        ; -- End function
	.section	.AMDGPU.csdata,"",@progbits
; Kernel info:
; codeLenInByte = 0
; NumSgprs: 4
; NumVgprs: 0
; NumAgprs: 0
; TotalNumVgprs: 0
; ScratchSize: 0
; MemoryBound: 0
; FloatMode: 240
; IeeeMode: 1
; LDSByteSize: 0 bytes/workgroup (compile time only)
; SGPRBlocks: 0
; VGPRBlocks: 0
; NumSGPRsForWavesPerEU: 4
; NumVGPRsForWavesPerEU: 1
; AccumOffset: 4
; Occupancy: 8
; WaveLimiterHint : 0
; COMPUTE_PGM_RSRC2:SCRATCH_EN: 0
; COMPUTE_PGM_RSRC2:USER_SGPR: 6
; COMPUTE_PGM_RSRC2:TRAP_HANDLER: 0
; COMPUTE_PGM_RSRC2:TGID_X_EN: 1
; COMPUTE_PGM_RSRC2:TGID_Y_EN: 0
; COMPUTE_PGM_RSRC2:TGID_Z_EN: 0
; COMPUTE_PGM_RSRC2:TIDIG_COMP_CNT: 0
; COMPUTE_PGM_RSRC3_GFX90A:ACCUM_OFFSET: 0
; COMPUTE_PGM_RSRC3_GFX90A:TG_SPLIT: 0
	.section	.text._ZN7rocprim17ROCPRIM_400000_NS6detail17trampoline_kernelINS0_14default_configENS1_29binary_search_config_selectorIybEEZNS1_14transform_implILb0ES3_S5_N6thrust23THRUST_200600_302600_NS6detail15normal_iteratorINS8_10device_ptrIyEEEENSA_INSB_IbEEEEZNS1_13binary_searchIS3_S5_SD_SD_SF_NS1_16binary_search_opENS9_16wrapped_functionINS0_4lessIvEEbEEEE10hipError_tPvRmT1_T2_T3_mmT4_T5_P12ihipStream_tbEUlRKyE_EESM_SQ_SR_mSS_SV_bEUlT_E_NS1_11comp_targetILNS1_3genE0ELNS1_11target_archE4294967295ELNS1_3gpuE0ELNS1_3repE0EEENS1_30default_config_static_selectorELNS0_4arch9wavefront6targetE1EEEvSP_,"axG",@progbits,_ZN7rocprim17ROCPRIM_400000_NS6detail17trampoline_kernelINS0_14default_configENS1_29binary_search_config_selectorIybEEZNS1_14transform_implILb0ES3_S5_N6thrust23THRUST_200600_302600_NS6detail15normal_iteratorINS8_10device_ptrIyEEEENSA_INSB_IbEEEEZNS1_13binary_searchIS3_S5_SD_SD_SF_NS1_16binary_search_opENS9_16wrapped_functionINS0_4lessIvEEbEEEE10hipError_tPvRmT1_T2_T3_mmT4_T5_P12ihipStream_tbEUlRKyE_EESM_SQ_SR_mSS_SV_bEUlT_E_NS1_11comp_targetILNS1_3genE0ELNS1_11target_archE4294967295ELNS1_3gpuE0ELNS1_3repE0EEENS1_30default_config_static_selectorELNS0_4arch9wavefront6targetE1EEEvSP_,comdat
	.protected	_ZN7rocprim17ROCPRIM_400000_NS6detail17trampoline_kernelINS0_14default_configENS1_29binary_search_config_selectorIybEEZNS1_14transform_implILb0ES3_S5_N6thrust23THRUST_200600_302600_NS6detail15normal_iteratorINS8_10device_ptrIyEEEENSA_INSB_IbEEEEZNS1_13binary_searchIS3_S5_SD_SD_SF_NS1_16binary_search_opENS9_16wrapped_functionINS0_4lessIvEEbEEEE10hipError_tPvRmT1_T2_T3_mmT4_T5_P12ihipStream_tbEUlRKyE_EESM_SQ_SR_mSS_SV_bEUlT_E_NS1_11comp_targetILNS1_3genE0ELNS1_11target_archE4294967295ELNS1_3gpuE0ELNS1_3repE0EEENS1_30default_config_static_selectorELNS0_4arch9wavefront6targetE1EEEvSP_ ; -- Begin function _ZN7rocprim17ROCPRIM_400000_NS6detail17trampoline_kernelINS0_14default_configENS1_29binary_search_config_selectorIybEEZNS1_14transform_implILb0ES3_S5_N6thrust23THRUST_200600_302600_NS6detail15normal_iteratorINS8_10device_ptrIyEEEENSA_INSB_IbEEEEZNS1_13binary_searchIS3_S5_SD_SD_SF_NS1_16binary_search_opENS9_16wrapped_functionINS0_4lessIvEEbEEEE10hipError_tPvRmT1_T2_T3_mmT4_T5_P12ihipStream_tbEUlRKyE_EESM_SQ_SR_mSS_SV_bEUlT_E_NS1_11comp_targetILNS1_3genE0ELNS1_11target_archE4294967295ELNS1_3gpuE0ELNS1_3repE0EEENS1_30default_config_static_selectorELNS0_4arch9wavefront6targetE1EEEvSP_
	.globl	_ZN7rocprim17ROCPRIM_400000_NS6detail17trampoline_kernelINS0_14default_configENS1_29binary_search_config_selectorIybEEZNS1_14transform_implILb0ES3_S5_N6thrust23THRUST_200600_302600_NS6detail15normal_iteratorINS8_10device_ptrIyEEEENSA_INSB_IbEEEEZNS1_13binary_searchIS3_S5_SD_SD_SF_NS1_16binary_search_opENS9_16wrapped_functionINS0_4lessIvEEbEEEE10hipError_tPvRmT1_T2_T3_mmT4_T5_P12ihipStream_tbEUlRKyE_EESM_SQ_SR_mSS_SV_bEUlT_E_NS1_11comp_targetILNS1_3genE0ELNS1_11target_archE4294967295ELNS1_3gpuE0ELNS1_3repE0EEENS1_30default_config_static_selectorELNS0_4arch9wavefront6targetE1EEEvSP_
	.p2align	8
	.type	_ZN7rocprim17ROCPRIM_400000_NS6detail17trampoline_kernelINS0_14default_configENS1_29binary_search_config_selectorIybEEZNS1_14transform_implILb0ES3_S5_N6thrust23THRUST_200600_302600_NS6detail15normal_iteratorINS8_10device_ptrIyEEEENSA_INSB_IbEEEEZNS1_13binary_searchIS3_S5_SD_SD_SF_NS1_16binary_search_opENS9_16wrapped_functionINS0_4lessIvEEbEEEE10hipError_tPvRmT1_T2_T3_mmT4_T5_P12ihipStream_tbEUlRKyE_EESM_SQ_SR_mSS_SV_bEUlT_E_NS1_11comp_targetILNS1_3genE0ELNS1_11target_archE4294967295ELNS1_3gpuE0ELNS1_3repE0EEENS1_30default_config_static_selectorELNS0_4arch9wavefront6targetE1EEEvSP_,@function
_ZN7rocprim17ROCPRIM_400000_NS6detail17trampoline_kernelINS0_14default_configENS1_29binary_search_config_selectorIybEEZNS1_14transform_implILb0ES3_S5_N6thrust23THRUST_200600_302600_NS6detail15normal_iteratorINS8_10device_ptrIyEEEENSA_INSB_IbEEEEZNS1_13binary_searchIS3_S5_SD_SD_SF_NS1_16binary_search_opENS9_16wrapped_functionINS0_4lessIvEEbEEEE10hipError_tPvRmT1_T2_T3_mmT4_T5_P12ihipStream_tbEUlRKyE_EESM_SQ_SR_mSS_SV_bEUlT_E_NS1_11comp_targetILNS1_3genE0ELNS1_11target_archE4294967295ELNS1_3gpuE0ELNS1_3repE0EEENS1_30default_config_static_selectorELNS0_4arch9wavefront6targetE1EEEvSP_: ; @_ZN7rocprim17ROCPRIM_400000_NS6detail17trampoline_kernelINS0_14default_configENS1_29binary_search_config_selectorIybEEZNS1_14transform_implILb0ES3_S5_N6thrust23THRUST_200600_302600_NS6detail15normal_iteratorINS8_10device_ptrIyEEEENSA_INSB_IbEEEEZNS1_13binary_searchIS3_S5_SD_SD_SF_NS1_16binary_search_opENS9_16wrapped_functionINS0_4lessIvEEbEEEE10hipError_tPvRmT1_T2_T3_mmT4_T5_P12ihipStream_tbEUlRKyE_EESM_SQ_SR_mSS_SV_bEUlT_E_NS1_11comp_targetILNS1_3genE0ELNS1_11target_archE4294967295ELNS1_3gpuE0ELNS1_3repE0EEENS1_30default_config_static_selectorELNS0_4arch9wavefront6targetE1EEEvSP_
; %bb.0:
	.section	.rodata,"a",@progbits
	.p2align	6, 0x0
	.amdhsa_kernel _ZN7rocprim17ROCPRIM_400000_NS6detail17trampoline_kernelINS0_14default_configENS1_29binary_search_config_selectorIybEEZNS1_14transform_implILb0ES3_S5_N6thrust23THRUST_200600_302600_NS6detail15normal_iteratorINS8_10device_ptrIyEEEENSA_INSB_IbEEEEZNS1_13binary_searchIS3_S5_SD_SD_SF_NS1_16binary_search_opENS9_16wrapped_functionINS0_4lessIvEEbEEEE10hipError_tPvRmT1_T2_T3_mmT4_T5_P12ihipStream_tbEUlRKyE_EESM_SQ_SR_mSS_SV_bEUlT_E_NS1_11comp_targetILNS1_3genE0ELNS1_11target_archE4294967295ELNS1_3gpuE0ELNS1_3repE0EEENS1_30default_config_static_selectorELNS0_4arch9wavefront6targetE1EEEvSP_
		.amdhsa_group_segment_fixed_size 0
		.amdhsa_private_segment_fixed_size 0
		.amdhsa_kernarg_size 56
		.amdhsa_user_sgpr_count 6
		.amdhsa_user_sgpr_private_segment_buffer 1
		.amdhsa_user_sgpr_dispatch_ptr 0
		.amdhsa_user_sgpr_queue_ptr 0
		.amdhsa_user_sgpr_kernarg_segment_ptr 1
		.amdhsa_user_sgpr_dispatch_id 0
		.amdhsa_user_sgpr_flat_scratch_init 0
		.amdhsa_user_sgpr_kernarg_preload_length 0
		.amdhsa_user_sgpr_kernarg_preload_offset 0
		.amdhsa_user_sgpr_private_segment_size 0
		.amdhsa_uses_dynamic_stack 0
		.amdhsa_system_sgpr_private_segment_wavefront_offset 0
		.amdhsa_system_sgpr_workgroup_id_x 1
		.amdhsa_system_sgpr_workgroup_id_y 0
		.amdhsa_system_sgpr_workgroup_id_z 0
		.amdhsa_system_sgpr_workgroup_info 0
		.amdhsa_system_vgpr_workitem_id 0
		.amdhsa_next_free_vgpr 1
		.amdhsa_next_free_sgpr 0
		.amdhsa_accum_offset 4
		.amdhsa_reserve_vcc 0
		.amdhsa_reserve_flat_scratch 0
		.amdhsa_float_round_mode_32 0
		.amdhsa_float_round_mode_16_64 0
		.amdhsa_float_denorm_mode_32 3
		.amdhsa_float_denorm_mode_16_64 3
		.amdhsa_dx10_clamp 1
		.amdhsa_ieee_mode 1
		.amdhsa_fp16_overflow 0
		.amdhsa_tg_split 0
		.amdhsa_exception_fp_ieee_invalid_op 0
		.amdhsa_exception_fp_denorm_src 0
		.amdhsa_exception_fp_ieee_div_zero 0
		.amdhsa_exception_fp_ieee_overflow 0
		.amdhsa_exception_fp_ieee_underflow 0
		.amdhsa_exception_fp_ieee_inexact 0
		.amdhsa_exception_int_div_zero 0
	.end_amdhsa_kernel
	.section	.text._ZN7rocprim17ROCPRIM_400000_NS6detail17trampoline_kernelINS0_14default_configENS1_29binary_search_config_selectorIybEEZNS1_14transform_implILb0ES3_S5_N6thrust23THRUST_200600_302600_NS6detail15normal_iteratorINS8_10device_ptrIyEEEENSA_INSB_IbEEEEZNS1_13binary_searchIS3_S5_SD_SD_SF_NS1_16binary_search_opENS9_16wrapped_functionINS0_4lessIvEEbEEEE10hipError_tPvRmT1_T2_T3_mmT4_T5_P12ihipStream_tbEUlRKyE_EESM_SQ_SR_mSS_SV_bEUlT_E_NS1_11comp_targetILNS1_3genE0ELNS1_11target_archE4294967295ELNS1_3gpuE0ELNS1_3repE0EEENS1_30default_config_static_selectorELNS0_4arch9wavefront6targetE1EEEvSP_,"axG",@progbits,_ZN7rocprim17ROCPRIM_400000_NS6detail17trampoline_kernelINS0_14default_configENS1_29binary_search_config_selectorIybEEZNS1_14transform_implILb0ES3_S5_N6thrust23THRUST_200600_302600_NS6detail15normal_iteratorINS8_10device_ptrIyEEEENSA_INSB_IbEEEEZNS1_13binary_searchIS3_S5_SD_SD_SF_NS1_16binary_search_opENS9_16wrapped_functionINS0_4lessIvEEbEEEE10hipError_tPvRmT1_T2_T3_mmT4_T5_P12ihipStream_tbEUlRKyE_EESM_SQ_SR_mSS_SV_bEUlT_E_NS1_11comp_targetILNS1_3genE0ELNS1_11target_archE4294967295ELNS1_3gpuE0ELNS1_3repE0EEENS1_30default_config_static_selectorELNS0_4arch9wavefront6targetE1EEEvSP_,comdat
.Lfunc_end438:
	.size	_ZN7rocprim17ROCPRIM_400000_NS6detail17trampoline_kernelINS0_14default_configENS1_29binary_search_config_selectorIybEEZNS1_14transform_implILb0ES3_S5_N6thrust23THRUST_200600_302600_NS6detail15normal_iteratorINS8_10device_ptrIyEEEENSA_INSB_IbEEEEZNS1_13binary_searchIS3_S5_SD_SD_SF_NS1_16binary_search_opENS9_16wrapped_functionINS0_4lessIvEEbEEEE10hipError_tPvRmT1_T2_T3_mmT4_T5_P12ihipStream_tbEUlRKyE_EESM_SQ_SR_mSS_SV_bEUlT_E_NS1_11comp_targetILNS1_3genE0ELNS1_11target_archE4294967295ELNS1_3gpuE0ELNS1_3repE0EEENS1_30default_config_static_selectorELNS0_4arch9wavefront6targetE1EEEvSP_, .Lfunc_end438-_ZN7rocprim17ROCPRIM_400000_NS6detail17trampoline_kernelINS0_14default_configENS1_29binary_search_config_selectorIybEEZNS1_14transform_implILb0ES3_S5_N6thrust23THRUST_200600_302600_NS6detail15normal_iteratorINS8_10device_ptrIyEEEENSA_INSB_IbEEEEZNS1_13binary_searchIS3_S5_SD_SD_SF_NS1_16binary_search_opENS9_16wrapped_functionINS0_4lessIvEEbEEEE10hipError_tPvRmT1_T2_T3_mmT4_T5_P12ihipStream_tbEUlRKyE_EESM_SQ_SR_mSS_SV_bEUlT_E_NS1_11comp_targetILNS1_3genE0ELNS1_11target_archE4294967295ELNS1_3gpuE0ELNS1_3repE0EEENS1_30default_config_static_selectorELNS0_4arch9wavefront6targetE1EEEvSP_
                                        ; -- End function
	.section	.AMDGPU.csdata,"",@progbits
; Kernel info:
; codeLenInByte = 0
; NumSgprs: 4
; NumVgprs: 0
; NumAgprs: 0
; TotalNumVgprs: 0
; ScratchSize: 0
; MemoryBound: 0
; FloatMode: 240
; IeeeMode: 1
; LDSByteSize: 0 bytes/workgroup (compile time only)
; SGPRBlocks: 0
; VGPRBlocks: 0
; NumSGPRsForWavesPerEU: 4
; NumVGPRsForWavesPerEU: 1
; AccumOffset: 4
; Occupancy: 8
; WaveLimiterHint : 0
; COMPUTE_PGM_RSRC2:SCRATCH_EN: 0
; COMPUTE_PGM_RSRC2:USER_SGPR: 6
; COMPUTE_PGM_RSRC2:TRAP_HANDLER: 0
; COMPUTE_PGM_RSRC2:TGID_X_EN: 1
; COMPUTE_PGM_RSRC2:TGID_Y_EN: 0
; COMPUTE_PGM_RSRC2:TGID_Z_EN: 0
; COMPUTE_PGM_RSRC2:TIDIG_COMP_CNT: 0
; COMPUTE_PGM_RSRC3_GFX90A:ACCUM_OFFSET: 0
; COMPUTE_PGM_RSRC3_GFX90A:TG_SPLIT: 0
	.section	.text._ZN7rocprim17ROCPRIM_400000_NS6detail17trampoline_kernelINS0_14default_configENS1_29binary_search_config_selectorIybEEZNS1_14transform_implILb0ES3_S5_N6thrust23THRUST_200600_302600_NS6detail15normal_iteratorINS8_10device_ptrIyEEEENSA_INSB_IbEEEEZNS1_13binary_searchIS3_S5_SD_SD_SF_NS1_16binary_search_opENS9_16wrapped_functionINS0_4lessIvEEbEEEE10hipError_tPvRmT1_T2_T3_mmT4_T5_P12ihipStream_tbEUlRKyE_EESM_SQ_SR_mSS_SV_bEUlT_E_NS1_11comp_targetILNS1_3genE5ELNS1_11target_archE942ELNS1_3gpuE9ELNS1_3repE0EEENS1_30default_config_static_selectorELNS0_4arch9wavefront6targetE1EEEvSP_,"axG",@progbits,_ZN7rocprim17ROCPRIM_400000_NS6detail17trampoline_kernelINS0_14default_configENS1_29binary_search_config_selectorIybEEZNS1_14transform_implILb0ES3_S5_N6thrust23THRUST_200600_302600_NS6detail15normal_iteratorINS8_10device_ptrIyEEEENSA_INSB_IbEEEEZNS1_13binary_searchIS3_S5_SD_SD_SF_NS1_16binary_search_opENS9_16wrapped_functionINS0_4lessIvEEbEEEE10hipError_tPvRmT1_T2_T3_mmT4_T5_P12ihipStream_tbEUlRKyE_EESM_SQ_SR_mSS_SV_bEUlT_E_NS1_11comp_targetILNS1_3genE5ELNS1_11target_archE942ELNS1_3gpuE9ELNS1_3repE0EEENS1_30default_config_static_selectorELNS0_4arch9wavefront6targetE1EEEvSP_,comdat
	.protected	_ZN7rocprim17ROCPRIM_400000_NS6detail17trampoline_kernelINS0_14default_configENS1_29binary_search_config_selectorIybEEZNS1_14transform_implILb0ES3_S5_N6thrust23THRUST_200600_302600_NS6detail15normal_iteratorINS8_10device_ptrIyEEEENSA_INSB_IbEEEEZNS1_13binary_searchIS3_S5_SD_SD_SF_NS1_16binary_search_opENS9_16wrapped_functionINS0_4lessIvEEbEEEE10hipError_tPvRmT1_T2_T3_mmT4_T5_P12ihipStream_tbEUlRKyE_EESM_SQ_SR_mSS_SV_bEUlT_E_NS1_11comp_targetILNS1_3genE5ELNS1_11target_archE942ELNS1_3gpuE9ELNS1_3repE0EEENS1_30default_config_static_selectorELNS0_4arch9wavefront6targetE1EEEvSP_ ; -- Begin function _ZN7rocprim17ROCPRIM_400000_NS6detail17trampoline_kernelINS0_14default_configENS1_29binary_search_config_selectorIybEEZNS1_14transform_implILb0ES3_S5_N6thrust23THRUST_200600_302600_NS6detail15normal_iteratorINS8_10device_ptrIyEEEENSA_INSB_IbEEEEZNS1_13binary_searchIS3_S5_SD_SD_SF_NS1_16binary_search_opENS9_16wrapped_functionINS0_4lessIvEEbEEEE10hipError_tPvRmT1_T2_T3_mmT4_T5_P12ihipStream_tbEUlRKyE_EESM_SQ_SR_mSS_SV_bEUlT_E_NS1_11comp_targetILNS1_3genE5ELNS1_11target_archE942ELNS1_3gpuE9ELNS1_3repE0EEENS1_30default_config_static_selectorELNS0_4arch9wavefront6targetE1EEEvSP_
	.globl	_ZN7rocprim17ROCPRIM_400000_NS6detail17trampoline_kernelINS0_14default_configENS1_29binary_search_config_selectorIybEEZNS1_14transform_implILb0ES3_S5_N6thrust23THRUST_200600_302600_NS6detail15normal_iteratorINS8_10device_ptrIyEEEENSA_INSB_IbEEEEZNS1_13binary_searchIS3_S5_SD_SD_SF_NS1_16binary_search_opENS9_16wrapped_functionINS0_4lessIvEEbEEEE10hipError_tPvRmT1_T2_T3_mmT4_T5_P12ihipStream_tbEUlRKyE_EESM_SQ_SR_mSS_SV_bEUlT_E_NS1_11comp_targetILNS1_3genE5ELNS1_11target_archE942ELNS1_3gpuE9ELNS1_3repE0EEENS1_30default_config_static_selectorELNS0_4arch9wavefront6targetE1EEEvSP_
	.p2align	8
	.type	_ZN7rocprim17ROCPRIM_400000_NS6detail17trampoline_kernelINS0_14default_configENS1_29binary_search_config_selectorIybEEZNS1_14transform_implILb0ES3_S5_N6thrust23THRUST_200600_302600_NS6detail15normal_iteratorINS8_10device_ptrIyEEEENSA_INSB_IbEEEEZNS1_13binary_searchIS3_S5_SD_SD_SF_NS1_16binary_search_opENS9_16wrapped_functionINS0_4lessIvEEbEEEE10hipError_tPvRmT1_T2_T3_mmT4_T5_P12ihipStream_tbEUlRKyE_EESM_SQ_SR_mSS_SV_bEUlT_E_NS1_11comp_targetILNS1_3genE5ELNS1_11target_archE942ELNS1_3gpuE9ELNS1_3repE0EEENS1_30default_config_static_selectorELNS0_4arch9wavefront6targetE1EEEvSP_,@function
_ZN7rocprim17ROCPRIM_400000_NS6detail17trampoline_kernelINS0_14default_configENS1_29binary_search_config_selectorIybEEZNS1_14transform_implILb0ES3_S5_N6thrust23THRUST_200600_302600_NS6detail15normal_iteratorINS8_10device_ptrIyEEEENSA_INSB_IbEEEEZNS1_13binary_searchIS3_S5_SD_SD_SF_NS1_16binary_search_opENS9_16wrapped_functionINS0_4lessIvEEbEEEE10hipError_tPvRmT1_T2_T3_mmT4_T5_P12ihipStream_tbEUlRKyE_EESM_SQ_SR_mSS_SV_bEUlT_E_NS1_11comp_targetILNS1_3genE5ELNS1_11target_archE942ELNS1_3gpuE9ELNS1_3repE0EEENS1_30default_config_static_selectorELNS0_4arch9wavefront6targetE1EEEvSP_: ; @_ZN7rocprim17ROCPRIM_400000_NS6detail17trampoline_kernelINS0_14default_configENS1_29binary_search_config_selectorIybEEZNS1_14transform_implILb0ES3_S5_N6thrust23THRUST_200600_302600_NS6detail15normal_iteratorINS8_10device_ptrIyEEEENSA_INSB_IbEEEEZNS1_13binary_searchIS3_S5_SD_SD_SF_NS1_16binary_search_opENS9_16wrapped_functionINS0_4lessIvEEbEEEE10hipError_tPvRmT1_T2_T3_mmT4_T5_P12ihipStream_tbEUlRKyE_EESM_SQ_SR_mSS_SV_bEUlT_E_NS1_11comp_targetILNS1_3genE5ELNS1_11target_archE942ELNS1_3gpuE9ELNS1_3repE0EEENS1_30default_config_static_selectorELNS0_4arch9wavefront6targetE1EEEvSP_
; %bb.0:
	.section	.rodata,"a",@progbits
	.p2align	6, 0x0
	.amdhsa_kernel _ZN7rocprim17ROCPRIM_400000_NS6detail17trampoline_kernelINS0_14default_configENS1_29binary_search_config_selectorIybEEZNS1_14transform_implILb0ES3_S5_N6thrust23THRUST_200600_302600_NS6detail15normal_iteratorINS8_10device_ptrIyEEEENSA_INSB_IbEEEEZNS1_13binary_searchIS3_S5_SD_SD_SF_NS1_16binary_search_opENS9_16wrapped_functionINS0_4lessIvEEbEEEE10hipError_tPvRmT1_T2_T3_mmT4_T5_P12ihipStream_tbEUlRKyE_EESM_SQ_SR_mSS_SV_bEUlT_E_NS1_11comp_targetILNS1_3genE5ELNS1_11target_archE942ELNS1_3gpuE9ELNS1_3repE0EEENS1_30default_config_static_selectorELNS0_4arch9wavefront6targetE1EEEvSP_
		.amdhsa_group_segment_fixed_size 0
		.amdhsa_private_segment_fixed_size 0
		.amdhsa_kernarg_size 56
		.amdhsa_user_sgpr_count 6
		.amdhsa_user_sgpr_private_segment_buffer 1
		.amdhsa_user_sgpr_dispatch_ptr 0
		.amdhsa_user_sgpr_queue_ptr 0
		.amdhsa_user_sgpr_kernarg_segment_ptr 1
		.amdhsa_user_sgpr_dispatch_id 0
		.amdhsa_user_sgpr_flat_scratch_init 0
		.amdhsa_user_sgpr_kernarg_preload_length 0
		.amdhsa_user_sgpr_kernarg_preload_offset 0
		.amdhsa_user_sgpr_private_segment_size 0
		.amdhsa_uses_dynamic_stack 0
		.amdhsa_system_sgpr_private_segment_wavefront_offset 0
		.amdhsa_system_sgpr_workgroup_id_x 1
		.amdhsa_system_sgpr_workgroup_id_y 0
		.amdhsa_system_sgpr_workgroup_id_z 0
		.amdhsa_system_sgpr_workgroup_info 0
		.amdhsa_system_vgpr_workitem_id 0
		.amdhsa_next_free_vgpr 1
		.amdhsa_next_free_sgpr 0
		.amdhsa_accum_offset 4
		.amdhsa_reserve_vcc 0
		.amdhsa_reserve_flat_scratch 0
		.amdhsa_float_round_mode_32 0
		.amdhsa_float_round_mode_16_64 0
		.amdhsa_float_denorm_mode_32 3
		.amdhsa_float_denorm_mode_16_64 3
		.amdhsa_dx10_clamp 1
		.amdhsa_ieee_mode 1
		.amdhsa_fp16_overflow 0
		.amdhsa_tg_split 0
		.amdhsa_exception_fp_ieee_invalid_op 0
		.amdhsa_exception_fp_denorm_src 0
		.amdhsa_exception_fp_ieee_div_zero 0
		.amdhsa_exception_fp_ieee_overflow 0
		.amdhsa_exception_fp_ieee_underflow 0
		.amdhsa_exception_fp_ieee_inexact 0
		.amdhsa_exception_int_div_zero 0
	.end_amdhsa_kernel
	.section	.text._ZN7rocprim17ROCPRIM_400000_NS6detail17trampoline_kernelINS0_14default_configENS1_29binary_search_config_selectorIybEEZNS1_14transform_implILb0ES3_S5_N6thrust23THRUST_200600_302600_NS6detail15normal_iteratorINS8_10device_ptrIyEEEENSA_INSB_IbEEEEZNS1_13binary_searchIS3_S5_SD_SD_SF_NS1_16binary_search_opENS9_16wrapped_functionINS0_4lessIvEEbEEEE10hipError_tPvRmT1_T2_T3_mmT4_T5_P12ihipStream_tbEUlRKyE_EESM_SQ_SR_mSS_SV_bEUlT_E_NS1_11comp_targetILNS1_3genE5ELNS1_11target_archE942ELNS1_3gpuE9ELNS1_3repE0EEENS1_30default_config_static_selectorELNS0_4arch9wavefront6targetE1EEEvSP_,"axG",@progbits,_ZN7rocprim17ROCPRIM_400000_NS6detail17trampoline_kernelINS0_14default_configENS1_29binary_search_config_selectorIybEEZNS1_14transform_implILb0ES3_S5_N6thrust23THRUST_200600_302600_NS6detail15normal_iteratorINS8_10device_ptrIyEEEENSA_INSB_IbEEEEZNS1_13binary_searchIS3_S5_SD_SD_SF_NS1_16binary_search_opENS9_16wrapped_functionINS0_4lessIvEEbEEEE10hipError_tPvRmT1_T2_T3_mmT4_T5_P12ihipStream_tbEUlRKyE_EESM_SQ_SR_mSS_SV_bEUlT_E_NS1_11comp_targetILNS1_3genE5ELNS1_11target_archE942ELNS1_3gpuE9ELNS1_3repE0EEENS1_30default_config_static_selectorELNS0_4arch9wavefront6targetE1EEEvSP_,comdat
.Lfunc_end439:
	.size	_ZN7rocprim17ROCPRIM_400000_NS6detail17trampoline_kernelINS0_14default_configENS1_29binary_search_config_selectorIybEEZNS1_14transform_implILb0ES3_S5_N6thrust23THRUST_200600_302600_NS6detail15normal_iteratorINS8_10device_ptrIyEEEENSA_INSB_IbEEEEZNS1_13binary_searchIS3_S5_SD_SD_SF_NS1_16binary_search_opENS9_16wrapped_functionINS0_4lessIvEEbEEEE10hipError_tPvRmT1_T2_T3_mmT4_T5_P12ihipStream_tbEUlRKyE_EESM_SQ_SR_mSS_SV_bEUlT_E_NS1_11comp_targetILNS1_3genE5ELNS1_11target_archE942ELNS1_3gpuE9ELNS1_3repE0EEENS1_30default_config_static_selectorELNS0_4arch9wavefront6targetE1EEEvSP_, .Lfunc_end439-_ZN7rocprim17ROCPRIM_400000_NS6detail17trampoline_kernelINS0_14default_configENS1_29binary_search_config_selectorIybEEZNS1_14transform_implILb0ES3_S5_N6thrust23THRUST_200600_302600_NS6detail15normal_iteratorINS8_10device_ptrIyEEEENSA_INSB_IbEEEEZNS1_13binary_searchIS3_S5_SD_SD_SF_NS1_16binary_search_opENS9_16wrapped_functionINS0_4lessIvEEbEEEE10hipError_tPvRmT1_T2_T3_mmT4_T5_P12ihipStream_tbEUlRKyE_EESM_SQ_SR_mSS_SV_bEUlT_E_NS1_11comp_targetILNS1_3genE5ELNS1_11target_archE942ELNS1_3gpuE9ELNS1_3repE0EEENS1_30default_config_static_selectorELNS0_4arch9wavefront6targetE1EEEvSP_
                                        ; -- End function
	.section	.AMDGPU.csdata,"",@progbits
; Kernel info:
; codeLenInByte = 0
; NumSgprs: 4
; NumVgprs: 0
; NumAgprs: 0
; TotalNumVgprs: 0
; ScratchSize: 0
; MemoryBound: 0
; FloatMode: 240
; IeeeMode: 1
; LDSByteSize: 0 bytes/workgroup (compile time only)
; SGPRBlocks: 0
; VGPRBlocks: 0
; NumSGPRsForWavesPerEU: 4
; NumVGPRsForWavesPerEU: 1
; AccumOffset: 4
; Occupancy: 8
; WaveLimiterHint : 0
; COMPUTE_PGM_RSRC2:SCRATCH_EN: 0
; COMPUTE_PGM_RSRC2:USER_SGPR: 6
; COMPUTE_PGM_RSRC2:TRAP_HANDLER: 0
; COMPUTE_PGM_RSRC2:TGID_X_EN: 1
; COMPUTE_PGM_RSRC2:TGID_Y_EN: 0
; COMPUTE_PGM_RSRC2:TGID_Z_EN: 0
; COMPUTE_PGM_RSRC2:TIDIG_COMP_CNT: 0
; COMPUTE_PGM_RSRC3_GFX90A:ACCUM_OFFSET: 0
; COMPUTE_PGM_RSRC3_GFX90A:TG_SPLIT: 0
	.section	.text._ZN7rocprim17ROCPRIM_400000_NS6detail17trampoline_kernelINS0_14default_configENS1_29binary_search_config_selectorIybEEZNS1_14transform_implILb0ES3_S5_N6thrust23THRUST_200600_302600_NS6detail15normal_iteratorINS8_10device_ptrIyEEEENSA_INSB_IbEEEEZNS1_13binary_searchIS3_S5_SD_SD_SF_NS1_16binary_search_opENS9_16wrapped_functionINS0_4lessIvEEbEEEE10hipError_tPvRmT1_T2_T3_mmT4_T5_P12ihipStream_tbEUlRKyE_EESM_SQ_SR_mSS_SV_bEUlT_E_NS1_11comp_targetILNS1_3genE4ELNS1_11target_archE910ELNS1_3gpuE8ELNS1_3repE0EEENS1_30default_config_static_selectorELNS0_4arch9wavefront6targetE1EEEvSP_,"axG",@progbits,_ZN7rocprim17ROCPRIM_400000_NS6detail17trampoline_kernelINS0_14default_configENS1_29binary_search_config_selectorIybEEZNS1_14transform_implILb0ES3_S5_N6thrust23THRUST_200600_302600_NS6detail15normal_iteratorINS8_10device_ptrIyEEEENSA_INSB_IbEEEEZNS1_13binary_searchIS3_S5_SD_SD_SF_NS1_16binary_search_opENS9_16wrapped_functionINS0_4lessIvEEbEEEE10hipError_tPvRmT1_T2_T3_mmT4_T5_P12ihipStream_tbEUlRKyE_EESM_SQ_SR_mSS_SV_bEUlT_E_NS1_11comp_targetILNS1_3genE4ELNS1_11target_archE910ELNS1_3gpuE8ELNS1_3repE0EEENS1_30default_config_static_selectorELNS0_4arch9wavefront6targetE1EEEvSP_,comdat
	.protected	_ZN7rocprim17ROCPRIM_400000_NS6detail17trampoline_kernelINS0_14default_configENS1_29binary_search_config_selectorIybEEZNS1_14transform_implILb0ES3_S5_N6thrust23THRUST_200600_302600_NS6detail15normal_iteratorINS8_10device_ptrIyEEEENSA_INSB_IbEEEEZNS1_13binary_searchIS3_S5_SD_SD_SF_NS1_16binary_search_opENS9_16wrapped_functionINS0_4lessIvEEbEEEE10hipError_tPvRmT1_T2_T3_mmT4_T5_P12ihipStream_tbEUlRKyE_EESM_SQ_SR_mSS_SV_bEUlT_E_NS1_11comp_targetILNS1_3genE4ELNS1_11target_archE910ELNS1_3gpuE8ELNS1_3repE0EEENS1_30default_config_static_selectorELNS0_4arch9wavefront6targetE1EEEvSP_ ; -- Begin function _ZN7rocprim17ROCPRIM_400000_NS6detail17trampoline_kernelINS0_14default_configENS1_29binary_search_config_selectorIybEEZNS1_14transform_implILb0ES3_S5_N6thrust23THRUST_200600_302600_NS6detail15normal_iteratorINS8_10device_ptrIyEEEENSA_INSB_IbEEEEZNS1_13binary_searchIS3_S5_SD_SD_SF_NS1_16binary_search_opENS9_16wrapped_functionINS0_4lessIvEEbEEEE10hipError_tPvRmT1_T2_T3_mmT4_T5_P12ihipStream_tbEUlRKyE_EESM_SQ_SR_mSS_SV_bEUlT_E_NS1_11comp_targetILNS1_3genE4ELNS1_11target_archE910ELNS1_3gpuE8ELNS1_3repE0EEENS1_30default_config_static_selectorELNS0_4arch9wavefront6targetE1EEEvSP_
	.globl	_ZN7rocprim17ROCPRIM_400000_NS6detail17trampoline_kernelINS0_14default_configENS1_29binary_search_config_selectorIybEEZNS1_14transform_implILb0ES3_S5_N6thrust23THRUST_200600_302600_NS6detail15normal_iteratorINS8_10device_ptrIyEEEENSA_INSB_IbEEEEZNS1_13binary_searchIS3_S5_SD_SD_SF_NS1_16binary_search_opENS9_16wrapped_functionINS0_4lessIvEEbEEEE10hipError_tPvRmT1_T2_T3_mmT4_T5_P12ihipStream_tbEUlRKyE_EESM_SQ_SR_mSS_SV_bEUlT_E_NS1_11comp_targetILNS1_3genE4ELNS1_11target_archE910ELNS1_3gpuE8ELNS1_3repE0EEENS1_30default_config_static_selectorELNS0_4arch9wavefront6targetE1EEEvSP_
	.p2align	8
	.type	_ZN7rocprim17ROCPRIM_400000_NS6detail17trampoline_kernelINS0_14default_configENS1_29binary_search_config_selectorIybEEZNS1_14transform_implILb0ES3_S5_N6thrust23THRUST_200600_302600_NS6detail15normal_iteratorINS8_10device_ptrIyEEEENSA_INSB_IbEEEEZNS1_13binary_searchIS3_S5_SD_SD_SF_NS1_16binary_search_opENS9_16wrapped_functionINS0_4lessIvEEbEEEE10hipError_tPvRmT1_T2_T3_mmT4_T5_P12ihipStream_tbEUlRKyE_EESM_SQ_SR_mSS_SV_bEUlT_E_NS1_11comp_targetILNS1_3genE4ELNS1_11target_archE910ELNS1_3gpuE8ELNS1_3repE0EEENS1_30default_config_static_selectorELNS0_4arch9wavefront6targetE1EEEvSP_,@function
_ZN7rocprim17ROCPRIM_400000_NS6detail17trampoline_kernelINS0_14default_configENS1_29binary_search_config_selectorIybEEZNS1_14transform_implILb0ES3_S5_N6thrust23THRUST_200600_302600_NS6detail15normal_iteratorINS8_10device_ptrIyEEEENSA_INSB_IbEEEEZNS1_13binary_searchIS3_S5_SD_SD_SF_NS1_16binary_search_opENS9_16wrapped_functionINS0_4lessIvEEbEEEE10hipError_tPvRmT1_T2_T3_mmT4_T5_P12ihipStream_tbEUlRKyE_EESM_SQ_SR_mSS_SV_bEUlT_E_NS1_11comp_targetILNS1_3genE4ELNS1_11target_archE910ELNS1_3gpuE8ELNS1_3repE0EEENS1_30default_config_static_selectorELNS0_4arch9wavefront6targetE1EEEvSP_: ; @_ZN7rocprim17ROCPRIM_400000_NS6detail17trampoline_kernelINS0_14default_configENS1_29binary_search_config_selectorIybEEZNS1_14transform_implILb0ES3_S5_N6thrust23THRUST_200600_302600_NS6detail15normal_iteratorINS8_10device_ptrIyEEEENSA_INSB_IbEEEEZNS1_13binary_searchIS3_S5_SD_SD_SF_NS1_16binary_search_opENS9_16wrapped_functionINS0_4lessIvEEbEEEE10hipError_tPvRmT1_T2_T3_mmT4_T5_P12ihipStream_tbEUlRKyE_EESM_SQ_SR_mSS_SV_bEUlT_E_NS1_11comp_targetILNS1_3genE4ELNS1_11target_archE910ELNS1_3gpuE8ELNS1_3repE0EEENS1_30default_config_static_selectorELNS0_4arch9wavefront6targetE1EEEvSP_
; %bb.0:
	s_load_dwordx4 s[12:15], s[4:5], 0x0
	s_load_dwordx4 s[0:3], s[4:5], 0x18
	s_load_dwordx2 s[10:11], s[4:5], 0x28
	s_load_dword s7, s[4:5], 0x38
	s_waitcnt lgkmcnt(0)
	s_lshl_b64 s[8:9], s[14:15], 3
	s_add_u32 s16, s12, s8
	s_addc_u32 s17, s13, s9
	s_add_u32 s14, s0, s14
	s_addc_u32 s15, s1, s15
	s_lshl_b32 s8, s6, 6
	s_add_i32 s7, s7, -1
	s_mov_b32 s9, 0
	s_cmp_lg_u32 s6, s7
	s_mov_b64 s[0:1], -1
	s_cbranch_scc0 .LBB440_8
; %bb.1:
	s_lshl_b64 s[0:1], s[8:9], 3
	s_add_u32 s0, s16, s0
	s_addc_u32 s1, s17, s1
	v_lshlrev_b32_e32 v1, 3, v0
	v_mov_b32_e32 v3, s1
	v_add_co_u32_e32 v2, vcc, s0, v1
	v_addc_co_u32_e32 v3, vcc, 0, v3, vcc
	flat_load_dwordx2 v[2:3], v[2:3]
	s_mov_b64 s[0:1], 0
	s_cmp_eq_u64 s[10:11], 0
	v_pk_mov_b32 v[4:5], 0, 0
	s_cbranch_scc1 .LBB440_5
; %bb.2:
	v_pk_mov_b32 v[4:5], 0, 0
	v_pk_mov_b32 v[6:7], s[10:11], s[10:11] op_sel:[0,1]
	v_mov_b32_e32 v1, s3
.LBB440_3:                              ; =>This Inner Loop Header: Depth=1
	v_sub_co_u32_e32 v8, vcc, v6, v4
	v_subb_co_u32_e32 v9, vcc, v7, v5, vcc
	v_lshrrev_b64 v[10:11], 1, v[8:9]
	v_add_co_u32_e32 v10, vcc, v10, v4
	v_lshrrev_b64 v[8:9], 6, v[8:9]
	v_addc_co_u32_e32 v11, vcc, v11, v5, vcc
	v_add_co_u32_e32 v8, vcc, v10, v8
	v_addc_co_u32_e32 v9, vcc, v11, v9, vcc
	v_lshlrev_b64 v[10:11], 3, v[8:9]
	v_add_co_u32_e32 v10, vcc, s2, v10
	v_addc_co_u32_e32 v11, vcc, v1, v11, vcc
	global_load_dwordx2 v[10:11], v[10:11], off
	v_add_co_u32_e32 v12, vcc, 1, v8
	v_addc_co_u32_e32 v13, vcc, 0, v9, vcc
	s_waitcnt vmcnt(0) lgkmcnt(0)
	v_cmp_lt_u64_e32 vcc, v[10:11], v[2:3]
	v_cndmask_b32_e32 v7, v9, v7, vcc
	v_cndmask_b32_e32 v6, v8, v6, vcc
	;; [unrolled: 1-line block ×4, first 2 shown]
	v_cmp_ge_u64_e32 vcc, v[4:5], v[6:7]
	s_or_b64 s[0:1], vcc, s[0:1]
	s_andn2_b64 exec, exec, s[0:1]
	s_cbranch_execnz .LBB440_3
; %bb.4:
	s_or_b64 exec, exec, s[0:1]
.LBB440_5:
	v_cmp_ne_u64_e32 vcc, s[10:11], v[4:5]
	s_mov_b64 s[0:1], 0
	s_mov_b64 s[12:13], 0
	s_and_saveexec_b64 s[6:7], vcc
	s_cbranch_execz .LBB440_7
; %bb.6:
	v_lshlrev_b64 v[4:5], 3, v[4:5]
	v_mov_b32_e32 v1, s3
	v_add_co_u32_e32 v4, vcc, s2, v4
	v_addc_co_u32_e32 v5, vcc, v1, v5, vcc
	global_load_dwordx2 v[4:5], v[4:5], off
	s_waitcnt vmcnt(0) lgkmcnt(0)
	v_cmp_le_u64_e32 vcc, v[4:5], v[2:3]
	s_and_b64 s[12:13], vcc, exec
.LBB440_7:
	s_or_b64 exec, exec, s[6:7]
	s_add_u32 s6, s14, s8
	s_addc_u32 s7, s15, 0
	s_waitcnt vmcnt(0) lgkmcnt(0)
	v_mov_b32_e32 v3, s7
	v_add_co_u32_e32 v2, vcc, s6, v0
	v_cndmask_b32_e64 v1, 0, 1, s[12:13]
	v_addc_co_u32_e32 v3, vcc, 0, v3, vcc
	flat_store_byte v[2:3], v1
.LBB440_8:
	s_and_b64 vcc, exec, s[0:1]
	s_cbranch_vccz .LBB440_13
; %bb.9:
	s_load_dword s0, s[4:5], 0x10
                                        ; implicit-def: $vgpr2_vgpr3
	s_waitcnt lgkmcnt(0)
	s_sub_i32 s0, s0, s8
	v_cmp_gt_u32_e32 vcc, s0, v0
	s_and_saveexec_b64 s[4:5], vcc
	s_cbranch_execnz .LBB440_14
; %bb.10:
	s_or_b64 exec, exec, s[4:5]
                                        ; implicit-def: $vgpr1
	s_and_saveexec_b64 s[4:5], vcc
	s_cbranch_execnz .LBB440_15
.LBB440_11:
	s_or_b64 exec, exec, s[4:5]
	s_and_saveexec_b64 s[0:1], vcc
	s_cbranch_execz .LBB440_13
.LBB440_12:
	s_add_u32 s0, s14, s8
	s_addc_u32 s1, s15, 0
	s_waitcnt vmcnt(0) lgkmcnt(0)
	v_mov_b32_e32 v3, s1
	v_add_co_u32_e32 v2, vcc, s0, v0
	v_addc_co_u32_e32 v3, vcc, 0, v3, vcc
	flat_store_byte v[2:3], v1
.LBB440_13:
	s_endpgm
.LBB440_14:
	s_lshl_b64 s[0:1], s[8:9], 3
	s_add_u32 s0, s16, s0
	s_addc_u32 s1, s17, s1
	v_lshlrev_b32_e32 v1, 3, v0
	v_mov_b32_e32 v3, s1
	v_add_co_u32_e64 v2, s[0:1], s0, v1
	v_addc_co_u32_e64 v3, s[0:1], 0, v3, s[0:1]
	flat_load_dwordx2 v[2:3], v[2:3]
	s_or_b64 exec, exec, s[4:5]
                                        ; implicit-def: $vgpr1
	s_and_saveexec_b64 s[4:5], vcc
	s_cbranch_execz .LBB440_11
.LBB440_15:
	s_mov_b64 s[6:7], 0
	s_cmp_eq_u64 s[10:11], 0
	v_pk_mov_b32 v[4:5], 0, 0
	s_cbranch_scc1 .LBB440_19
; %bb.16:
	v_pk_mov_b32 v[4:5], 0, 0
	v_pk_mov_b32 v[6:7], s[10:11], s[10:11] op_sel:[0,1]
	v_mov_b32_e32 v1, s3
.LBB440_17:                             ; =>This Inner Loop Header: Depth=1
	v_sub_co_u32_e64 v8, s[0:1], v6, v4
	v_subb_co_u32_e64 v9, s[0:1], v7, v5, s[0:1]
	v_lshrrev_b64 v[10:11], 1, v[8:9]
	v_add_co_u32_e64 v10, s[0:1], v10, v4
	v_lshrrev_b64 v[8:9], 6, v[8:9]
	v_addc_co_u32_e64 v11, s[0:1], v11, v5, s[0:1]
	v_add_co_u32_e64 v8, s[0:1], v10, v8
	v_addc_co_u32_e64 v9, s[0:1], v11, v9, s[0:1]
	v_lshlrev_b64 v[10:11], 3, v[8:9]
	v_add_co_u32_e64 v10, s[0:1], s2, v10
	v_addc_co_u32_e64 v11, s[0:1], v1, v11, s[0:1]
	global_load_dwordx2 v[10:11], v[10:11], off
	v_add_co_u32_e64 v12, s[0:1], 1, v8
	v_addc_co_u32_e64 v13, s[0:1], 0, v9, s[0:1]
	s_waitcnt vmcnt(0) lgkmcnt(0)
	v_cmp_lt_u64_e64 s[0:1], v[10:11], v[2:3]
	v_cndmask_b32_e64 v7, v9, v7, s[0:1]
	v_cndmask_b32_e64 v6, v8, v6, s[0:1]
	;; [unrolled: 1-line block ×4, first 2 shown]
	v_cmp_ge_u64_e64 s[0:1], v[4:5], v[6:7]
	s_or_b64 s[6:7], s[0:1], s[6:7]
	s_andn2_b64 exec, exec, s[6:7]
	s_cbranch_execnz .LBB440_17
; %bb.18:
	s_or_b64 exec, exec, s[6:7]
.LBB440_19:
	v_cmp_ne_u64_e64 s[0:1], s[10:11], v[4:5]
	s_mov_b64 s[10:11], 0
	s_and_saveexec_b64 s[6:7], s[0:1]
	s_cbranch_execz .LBB440_21
; %bb.20:
	v_lshlrev_b64 v[4:5], 3, v[4:5]
	v_mov_b32_e32 v1, s3
	v_add_co_u32_e64 v4, s[0:1], s2, v4
	v_addc_co_u32_e64 v5, s[0:1], v1, v5, s[0:1]
	global_load_dwordx2 v[4:5], v[4:5], off
	s_waitcnt vmcnt(0) lgkmcnt(0)
	v_cmp_le_u64_e64 s[0:1], v[4:5], v[2:3]
	s_and_b64 s[10:11], s[0:1], exec
.LBB440_21:
	s_or_b64 exec, exec, s[6:7]
	v_cndmask_b32_e64 v1, 0, 1, s[10:11]
	s_or_b64 exec, exec, s[4:5]
	s_and_saveexec_b64 s[0:1], vcc
	s_cbranch_execnz .LBB440_12
	s_branch .LBB440_13
	.section	.rodata,"a",@progbits
	.p2align	6, 0x0
	.amdhsa_kernel _ZN7rocprim17ROCPRIM_400000_NS6detail17trampoline_kernelINS0_14default_configENS1_29binary_search_config_selectorIybEEZNS1_14transform_implILb0ES3_S5_N6thrust23THRUST_200600_302600_NS6detail15normal_iteratorINS8_10device_ptrIyEEEENSA_INSB_IbEEEEZNS1_13binary_searchIS3_S5_SD_SD_SF_NS1_16binary_search_opENS9_16wrapped_functionINS0_4lessIvEEbEEEE10hipError_tPvRmT1_T2_T3_mmT4_T5_P12ihipStream_tbEUlRKyE_EESM_SQ_SR_mSS_SV_bEUlT_E_NS1_11comp_targetILNS1_3genE4ELNS1_11target_archE910ELNS1_3gpuE8ELNS1_3repE0EEENS1_30default_config_static_selectorELNS0_4arch9wavefront6targetE1EEEvSP_
		.amdhsa_group_segment_fixed_size 0
		.amdhsa_private_segment_fixed_size 0
		.amdhsa_kernarg_size 312
		.amdhsa_user_sgpr_count 6
		.amdhsa_user_sgpr_private_segment_buffer 1
		.amdhsa_user_sgpr_dispatch_ptr 0
		.amdhsa_user_sgpr_queue_ptr 0
		.amdhsa_user_sgpr_kernarg_segment_ptr 1
		.amdhsa_user_sgpr_dispatch_id 0
		.amdhsa_user_sgpr_flat_scratch_init 0
		.amdhsa_user_sgpr_kernarg_preload_length 0
		.amdhsa_user_sgpr_kernarg_preload_offset 0
		.amdhsa_user_sgpr_private_segment_size 0
		.amdhsa_uses_dynamic_stack 0
		.amdhsa_system_sgpr_private_segment_wavefront_offset 0
		.amdhsa_system_sgpr_workgroup_id_x 1
		.amdhsa_system_sgpr_workgroup_id_y 0
		.amdhsa_system_sgpr_workgroup_id_z 0
		.amdhsa_system_sgpr_workgroup_info 0
		.amdhsa_system_vgpr_workitem_id 0
		.amdhsa_next_free_vgpr 14
		.amdhsa_next_free_sgpr 18
		.amdhsa_accum_offset 16
		.amdhsa_reserve_vcc 1
		.amdhsa_reserve_flat_scratch 0
		.amdhsa_float_round_mode_32 0
		.amdhsa_float_round_mode_16_64 0
		.amdhsa_float_denorm_mode_32 3
		.amdhsa_float_denorm_mode_16_64 3
		.amdhsa_dx10_clamp 1
		.amdhsa_ieee_mode 1
		.amdhsa_fp16_overflow 0
		.amdhsa_tg_split 0
		.amdhsa_exception_fp_ieee_invalid_op 0
		.amdhsa_exception_fp_denorm_src 0
		.amdhsa_exception_fp_ieee_div_zero 0
		.amdhsa_exception_fp_ieee_overflow 0
		.amdhsa_exception_fp_ieee_underflow 0
		.amdhsa_exception_fp_ieee_inexact 0
		.amdhsa_exception_int_div_zero 0
	.end_amdhsa_kernel
	.section	.text._ZN7rocprim17ROCPRIM_400000_NS6detail17trampoline_kernelINS0_14default_configENS1_29binary_search_config_selectorIybEEZNS1_14transform_implILb0ES3_S5_N6thrust23THRUST_200600_302600_NS6detail15normal_iteratorINS8_10device_ptrIyEEEENSA_INSB_IbEEEEZNS1_13binary_searchIS3_S5_SD_SD_SF_NS1_16binary_search_opENS9_16wrapped_functionINS0_4lessIvEEbEEEE10hipError_tPvRmT1_T2_T3_mmT4_T5_P12ihipStream_tbEUlRKyE_EESM_SQ_SR_mSS_SV_bEUlT_E_NS1_11comp_targetILNS1_3genE4ELNS1_11target_archE910ELNS1_3gpuE8ELNS1_3repE0EEENS1_30default_config_static_selectorELNS0_4arch9wavefront6targetE1EEEvSP_,"axG",@progbits,_ZN7rocprim17ROCPRIM_400000_NS6detail17trampoline_kernelINS0_14default_configENS1_29binary_search_config_selectorIybEEZNS1_14transform_implILb0ES3_S5_N6thrust23THRUST_200600_302600_NS6detail15normal_iteratorINS8_10device_ptrIyEEEENSA_INSB_IbEEEEZNS1_13binary_searchIS3_S5_SD_SD_SF_NS1_16binary_search_opENS9_16wrapped_functionINS0_4lessIvEEbEEEE10hipError_tPvRmT1_T2_T3_mmT4_T5_P12ihipStream_tbEUlRKyE_EESM_SQ_SR_mSS_SV_bEUlT_E_NS1_11comp_targetILNS1_3genE4ELNS1_11target_archE910ELNS1_3gpuE8ELNS1_3repE0EEENS1_30default_config_static_selectorELNS0_4arch9wavefront6targetE1EEEvSP_,comdat
.Lfunc_end440:
	.size	_ZN7rocprim17ROCPRIM_400000_NS6detail17trampoline_kernelINS0_14default_configENS1_29binary_search_config_selectorIybEEZNS1_14transform_implILb0ES3_S5_N6thrust23THRUST_200600_302600_NS6detail15normal_iteratorINS8_10device_ptrIyEEEENSA_INSB_IbEEEEZNS1_13binary_searchIS3_S5_SD_SD_SF_NS1_16binary_search_opENS9_16wrapped_functionINS0_4lessIvEEbEEEE10hipError_tPvRmT1_T2_T3_mmT4_T5_P12ihipStream_tbEUlRKyE_EESM_SQ_SR_mSS_SV_bEUlT_E_NS1_11comp_targetILNS1_3genE4ELNS1_11target_archE910ELNS1_3gpuE8ELNS1_3repE0EEENS1_30default_config_static_selectorELNS0_4arch9wavefront6targetE1EEEvSP_, .Lfunc_end440-_ZN7rocprim17ROCPRIM_400000_NS6detail17trampoline_kernelINS0_14default_configENS1_29binary_search_config_selectorIybEEZNS1_14transform_implILb0ES3_S5_N6thrust23THRUST_200600_302600_NS6detail15normal_iteratorINS8_10device_ptrIyEEEENSA_INSB_IbEEEEZNS1_13binary_searchIS3_S5_SD_SD_SF_NS1_16binary_search_opENS9_16wrapped_functionINS0_4lessIvEEbEEEE10hipError_tPvRmT1_T2_T3_mmT4_T5_P12ihipStream_tbEUlRKyE_EESM_SQ_SR_mSS_SV_bEUlT_E_NS1_11comp_targetILNS1_3genE4ELNS1_11target_archE910ELNS1_3gpuE8ELNS1_3repE0EEENS1_30default_config_static_selectorELNS0_4arch9wavefront6targetE1EEEvSP_
                                        ; -- End function
	.section	.AMDGPU.csdata,"",@progbits
; Kernel info:
; codeLenInByte = 848
; NumSgprs: 22
; NumVgprs: 14
; NumAgprs: 0
; TotalNumVgprs: 14
; ScratchSize: 0
; MemoryBound: 0
; FloatMode: 240
; IeeeMode: 1
; LDSByteSize: 0 bytes/workgroup (compile time only)
; SGPRBlocks: 2
; VGPRBlocks: 1
; NumSGPRsForWavesPerEU: 22
; NumVGPRsForWavesPerEU: 14
; AccumOffset: 16
; Occupancy: 8
; WaveLimiterHint : 0
; COMPUTE_PGM_RSRC2:SCRATCH_EN: 0
; COMPUTE_PGM_RSRC2:USER_SGPR: 6
; COMPUTE_PGM_RSRC2:TRAP_HANDLER: 0
; COMPUTE_PGM_RSRC2:TGID_X_EN: 1
; COMPUTE_PGM_RSRC2:TGID_Y_EN: 0
; COMPUTE_PGM_RSRC2:TGID_Z_EN: 0
; COMPUTE_PGM_RSRC2:TIDIG_COMP_CNT: 0
; COMPUTE_PGM_RSRC3_GFX90A:ACCUM_OFFSET: 3
; COMPUTE_PGM_RSRC3_GFX90A:TG_SPLIT: 0
	.section	.text._ZN7rocprim17ROCPRIM_400000_NS6detail17trampoline_kernelINS0_14default_configENS1_29binary_search_config_selectorIybEEZNS1_14transform_implILb0ES3_S5_N6thrust23THRUST_200600_302600_NS6detail15normal_iteratorINS8_10device_ptrIyEEEENSA_INSB_IbEEEEZNS1_13binary_searchIS3_S5_SD_SD_SF_NS1_16binary_search_opENS9_16wrapped_functionINS0_4lessIvEEbEEEE10hipError_tPvRmT1_T2_T3_mmT4_T5_P12ihipStream_tbEUlRKyE_EESM_SQ_SR_mSS_SV_bEUlT_E_NS1_11comp_targetILNS1_3genE3ELNS1_11target_archE908ELNS1_3gpuE7ELNS1_3repE0EEENS1_30default_config_static_selectorELNS0_4arch9wavefront6targetE1EEEvSP_,"axG",@progbits,_ZN7rocprim17ROCPRIM_400000_NS6detail17trampoline_kernelINS0_14default_configENS1_29binary_search_config_selectorIybEEZNS1_14transform_implILb0ES3_S5_N6thrust23THRUST_200600_302600_NS6detail15normal_iteratorINS8_10device_ptrIyEEEENSA_INSB_IbEEEEZNS1_13binary_searchIS3_S5_SD_SD_SF_NS1_16binary_search_opENS9_16wrapped_functionINS0_4lessIvEEbEEEE10hipError_tPvRmT1_T2_T3_mmT4_T5_P12ihipStream_tbEUlRKyE_EESM_SQ_SR_mSS_SV_bEUlT_E_NS1_11comp_targetILNS1_3genE3ELNS1_11target_archE908ELNS1_3gpuE7ELNS1_3repE0EEENS1_30default_config_static_selectorELNS0_4arch9wavefront6targetE1EEEvSP_,comdat
	.protected	_ZN7rocprim17ROCPRIM_400000_NS6detail17trampoline_kernelINS0_14default_configENS1_29binary_search_config_selectorIybEEZNS1_14transform_implILb0ES3_S5_N6thrust23THRUST_200600_302600_NS6detail15normal_iteratorINS8_10device_ptrIyEEEENSA_INSB_IbEEEEZNS1_13binary_searchIS3_S5_SD_SD_SF_NS1_16binary_search_opENS9_16wrapped_functionINS0_4lessIvEEbEEEE10hipError_tPvRmT1_T2_T3_mmT4_T5_P12ihipStream_tbEUlRKyE_EESM_SQ_SR_mSS_SV_bEUlT_E_NS1_11comp_targetILNS1_3genE3ELNS1_11target_archE908ELNS1_3gpuE7ELNS1_3repE0EEENS1_30default_config_static_selectorELNS0_4arch9wavefront6targetE1EEEvSP_ ; -- Begin function _ZN7rocprim17ROCPRIM_400000_NS6detail17trampoline_kernelINS0_14default_configENS1_29binary_search_config_selectorIybEEZNS1_14transform_implILb0ES3_S5_N6thrust23THRUST_200600_302600_NS6detail15normal_iteratorINS8_10device_ptrIyEEEENSA_INSB_IbEEEEZNS1_13binary_searchIS3_S5_SD_SD_SF_NS1_16binary_search_opENS9_16wrapped_functionINS0_4lessIvEEbEEEE10hipError_tPvRmT1_T2_T3_mmT4_T5_P12ihipStream_tbEUlRKyE_EESM_SQ_SR_mSS_SV_bEUlT_E_NS1_11comp_targetILNS1_3genE3ELNS1_11target_archE908ELNS1_3gpuE7ELNS1_3repE0EEENS1_30default_config_static_selectorELNS0_4arch9wavefront6targetE1EEEvSP_
	.globl	_ZN7rocprim17ROCPRIM_400000_NS6detail17trampoline_kernelINS0_14default_configENS1_29binary_search_config_selectorIybEEZNS1_14transform_implILb0ES3_S5_N6thrust23THRUST_200600_302600_NS6detail15normal_iteratorINS8_10device_ptrIyEEEENSA_INSB_IbEEEEZNS1_13binary_searchIS3_S5_SD_SD_SF_NS1_16binary_search_opENS9_16wrapped_functionINS0_4lessIvEEbEEEE10hipError_tPvRmT1_T2_T3_mmT4_T5_P12ihipStream_tbEUlRKyE_EESM_SQ_SR_mSS_SV_bEUlT_E_NS1_11comp_targetILNS1_3genE3ELNS1_11target_archE908ELNS1_3gpuE7ELNS1_3repE0EEENS1_30default_config_static_selectorELNS0_4arch9wavefront6targetE1EEEvSP_
	.p2align	8
	.type	_ZN7rocprim17ROCPRIM_400000_NS6detail17trampoline_kernelINS0_14default_configENS1_29binary_search_config_selectorIybEEZNS1_14transform_implILb0ES3_S5_N6thrust23THRUST_200600_302600_NS6detail15normal_iteratorINS8_10device_ptrIyEEEENSA_INSB_IbEEEEZNS1_13binary_searchIS3_S5_SD_SD_SF_NS1_16binary_search_opENS9_16wrapped_functionINS0_4lessIvEEbEEEE10hipError_tPvRmT1_T2_T3_mmT4_T5_P12ihipStream_tbEUlRKyE_EESM_SQ_SR_mSS_SV_bEUlT_E_NS1_11comp_targetILNS1_3genE3ELNS1_11target_archE908ELNS1_3gpuE7ELNS1_3repE0EEENS1_30default_config_static_selectorELNS0_4arch9wavefront6targetE1EEEvSP_,@function
_ZN7rocprim17ROCPRIM_400000_NS6detail17trampoline_kernelINS0_14default_configENS1_29binary_search_config_selectorIybEEZNS1_14transform_implILb0ES3_S5_N6thrust23THRUST_200600_302600_NS6detail15normal_iteratorINS8_10device_ptrIyEEEENSA_INSB_IbEEEEZNS1_13binary_searchIS3_S5_SD_SD_SF_NS1_16binary_search_opENS9_16wrapped_functionINS0_4lessIvEEbEEEE10hipError_tPvRmT1_T2_T3_mmT4_T5_P12ihipStream_tbEUlRKyE_EESM_SQ_SR_mSS_SV_bEUlT_E_NS1_11comp_targetILNS1_3genE3ELNS1_11target_archE908ELNS1_3gpuE7ELNS1_3repE0EEENS1_30default_config_static_selectorELNS0_4arch9wavefront6targetE1EEEvSP_: ; @_ZN7rocprim17ROCPRIM_400000_NS6detail17trampoline_kernelINS0_14default_configENS1_29binary_search_config_selectorIybEEZNS1_14transform_implILb0ES3_S5_N6thrust23THRUST_200600_302600_NS6detail15normal_iteratorINS8_10device_ptrIyEEEENSA_INSB_IbEEEEZNS1_13binary_searchIS3_S5_SD_SD_SF_NS1_16binary_search_opENS9_16wrapped_functionINS0_4lessIvEEbEEEE10hipError_tPvRmT1_T2_T3_mmT4_T5_P12ihipStream_tbEUlRKyE_EESM_SQ_SR_mSS_SV_bEUlT_E_NS1_11comp_targetILNS1_3genE3ELNS1_11target_archE908ELNS1_3gpuE7ELNS1_3repE0EEENS1_30default_config_static_selectorELNS0_4arch9wavefront6targetE1EEEvSP_
; %bb.0:
	.section	.rodata,"a",@progbits
	.p2align	6, 0x0
	.amdhsa_kernel _ZN7rocprim17ROCPRIM_400000_NS6detail17trampoline_kernelINS0_14default_configENS1_29binary_search_config_selectorIybEEZNS1_14transform_implILb0ES3_S5_N6thrust23THRUST_200600_302600_NS6detail15normal_iteratorINS8_10device_ptrIyEEEENSA_INSB_IbEEEEZNS1_13binary_searchIS3_S5_SD_SD_SF_NS1_16binary_search_opENS9_16wrapped_functionINS0_4lessIvEEbEEEE10hipError_tPvRmT1_T2_T3_mmT4_T5_P12ihipStream_tbEUlRKyE_EESM_SQ_SR_mSS_SV_bEUlT_E_NS1_11comp_targetILNS1_3genE3ELNS1_11target_archE908ELNS1_3gpuE7ELNS1_3repE0EEENS1_30default_config_static_selectorELNS0_4arch9wavefront6targetE1EEEvSP_
		.amdhsa_group_segment_fixed_size 0
		.amdhsa_private_segment_fixed_size 0
		.amdhsa_kernarg_size 56
		.amdhsa_user_sgpr_count 6
		.amdhsa_user_sgpr_private_segment_buffer 1
		.amdhsa_user_sgpr_dispatch_ptr 0
		.amdhsa_user_sgpr_queue_ptr 0
		.amdhsa_user_sgpr_kernarg_segment_ptr 1
		.amdhsa_user_sgpr_dispatch_id 0
		.amdhsa_user_sgpr_flat_scratch_init 0
		.amdhsa_user_sgpr_kernarg_preload_length 0
		.amdhsa_user_sgpr_kernarg_preload_offset 0
		.amdhsa_user_sgpr_private_segment_size 0
		.amdhsa_uses_dynamic_stack 0
		.amdhsa_system_sgpr_private_segment_wavefront_offset 0
		.amdhsa_system_sgpr_workgroup_id_x 1
		.amdhsa_system_sgpr_workgroup_id_y 0
		.amdhsa_system_sgpr_workgroup_id_z 0
		.amdhsa_system_sgpr_workgroup_info 0
		.amdhsa_system_vgpr_workitem_id 0
		.amdhsa_next_free_vgpr 1
		.amdhsa_next_free_sgpr 0
		.amdhsa_accum_offset 4
		.amdhsa_reserve_vcc 0
		.amdhsa_reserve_flat_scratch 0
		.amdhsa_float_round_mode_32 0
		.amdhsa_float_round_mode_16_64 0
		.amdhsa_float_denorm_mode_32 3
		.amdhsa_float_denorm_mode_16_64 3
		.amdhsa_dx10_clamp 1
		.amdhsa_ieee_mode 1
		.amdhsa_fp16_overflow 0
		.amdhsa_tg_split 0
		.amdhsa_exception_fp_ieee_invalid_op 0
		.amdhsa_exception_fp_denorm_src 0
		.amdhsa_exception_fp_ieee_div_zero 0
		.amdhsa_exception_fp_ieee_overflow 0
		.amdhsa_exception_fp_ieee_underflow 0
		.amdhsa_exception_fp_ieee_inexact 0
		.amdhsa_exception_int_div_zero 0
	.end_amdhsa_kernel
	.section	.text._ZN7rocprim17ROCPRIM_400000_NS6detail17trampoline_kernelINS0_14default_configENS1_29binary_search_config_selectorIybEEZNS1_14transform_implILb0ES3_S5_N6thrust23THRUST_200600_302600_NS6detail15normal_iteratorINS8_10device_ptrIyEEEENSA_INSB_IbEEEEZNS1_13binary_searchIS3_S5_SD_SD_SF_NS1_16binary_search_opENS9_16wrapped_functionINS0_4lessIvEEbEEEE10hipError_tPvRmT1_T2_T3_mmT4_T5_P12ihipStream_tbEUlRKyE_EESM_SQ_SR_mSS_SV_bEUlT_E_NS1_11comp_targetILNS1_3genE3ELNS1_11target_archE908ELNS1_3gpuE7ELNS1_3repE0EEENS1_30default_config_static_selectorELNS0_4arch9wavefront6targetE1EEEvSP_,"axG",@progbits,_ZN7rocprim17ROCPRIM_400000_NS6detail17trampoline_kernelINS0_14default_configENS1_29binary_search_config_selectorIybEEZNS1_14transform_implILb0ES3_S5_N6thrust23THRUST_200600_302600_NS6detail15normal_iteratorINS8_10device_ptrIyEEEENSA_INSB_IbEEEEZNS1_13binary_searchIS3_S5_SD_SD_SF_NS1_16binary_search_opENS9_16wrapped_functionINS0_4lessIvEEbEEEE10hipError_tPvRmT1_T2_T3_mmT4_T5_P12ihipStream_tbEUlRKyE_EESM_SQ_SR_mSS_SV_bEUlT_E_NS1_11comp_targetILNS1_3genE3ELNS1_11target_archE908ELNS1_3gpuE7ELNS1_3repE0EEENS1_30default_config_static_selectorELNS0_4arch9wavefront6targetE1EEEvSP_,comdat
.Lfunc_end441:
	.size	_ZN7rocprim17ROCPRIM_400000_NS6detail17trampoline_kernelINS0_14default_configENS1_29binary_search_config_selectorIybEEZNS1_14transform_implILb0ES3_S5_N6thrust23THRUST_200600_302600_NS6detail15normal_iteratorINS8_10device_ptrIyEEEENSA_INSB_IbEEEEZNS1_13binary_searchIS3_S5_SD_SD_SF_NS1_16binary_search_opENS9_16wrapped_functionINS0_4lessIvEEbEEEE10hipError_tPvRmT1_T2_T3_mmT4_T5_P12ihipStream_tbEUlRKyE_EESM_SQ_SR_mSS_SV_bEUlT_E_NS1_11comp_targetILNS1_3genE3ELNS1_11target_archE908ELNS1_3gpuE7ELNS1_3repE0EEENS1_30default_config_static_selectorELNS0_4arch9wavefront6targetE1EEEvSP_, .Lfunc_end441-_ZN7rocprim17ROCPRIM_400000_NS6detail17trampoline_kernelINS0_14default_configENS1_29binary_search_config_selectorIybEEZNS1_14transform_implILb0ES3_S5_N6thrust23THRUST_200600_302600_NS6detail15normal_iteratorINS8_10device_ptrIyEEEENSA_INSB_IbEEEEZNS1_13binary_searchIS3_S5_SD_SD_SF_NS1_16binary_search_opENS9_16wrapped_functionINS0_4lessIvEEbEEEE10hipError_tPvRmT1_T2_T3_mmT4_T5_P12ihipStream_tbEUlRKyE_EESM_SQ_SR_mSS_SV_bEUlT_E_NS1_11comp_targetILNS1_3genE3ELNS1_11target_archE908ELNS1_3gpuE7ELNS1_3repE0EEENS1_30default_config_static_selectorELNS0_4arch9wavefront6targetE1EEEvSP_
                                        ; -- End function
	.section	.AMDGPU.csdata,"",@progbits
; Kernel info:
; codeLenInByte = 0
; NumSgprs: 4
; NumVgprs: 0
; NumAgprs: 0
; TotalNumVgprs: 0
; ScratchSize: 0
; MemoryBound: 0
; FloatMode: 240
; IeeeMode: 1
; LDSByteSize: 0 bytes/workgroup (compile time only)
; SGPRBlocks: 0
; VGPRBlocks: 0
; NumSGPRsForWavesPerEU: 4
; NumVGPRsForWavesPerEU: 1
; AccumOffset: 4
; Occupancy: 8
; WaveLimiterHint : 0
; COMPUTE_PGM_RSRC2:SCRATCH_EN: 0
; COMPUTE_PGM_RSRC2:USER_SGPR: 6
; COMPUTE_PGM_RSRC2:TRAP_HANDLER: 0
; COMPUTE_PGM_RSRC2:TGID_X_EN: 1
; COMPUTE_PGM_RSRC2:TGID_Y_EN: 0
; COMPUTE_PGM_RSRC2:TGID_Z_EN: 0
; COMPUTE_PGM_RSRC2:TIDIG_COMP_CNT: 0
; COMPUTE_PGM_RSRC3_GFX90A:ACCUM_OFFSET: 0
; COMPUTE_PGM_RSRC3_GFX90A:TG_SPLIT: 0
	.section	.text._ZN7rocprim17ROCPRIM_400000_NS6detail17trampoline_kernelINS0_14default_configENS1_29binary_search_config_selectorIybEEZNS1_14transform_implILb0ES3_S5_N6thrust23THRUST_200600_302600_NS6detail15normal_iteratorINS8_10device_ptrIyEEEENSA_INSB_IbEEEEZNS1_13binary_searchIS3_S5_SD_SD_SF_NS1_16binary_search_opENS9_16wrapped_functionINS0_4lessIvEEbEEEE10hipError_tPvRmT1_T2_T3_mmT4_T5_P12ihipStream_tbEUlRKyE_EESM_SQ_SR_mSS_SV_bEUlT_E_NS1_11comp_targetILNS1_3genE2ELNS1_11target_archE906ELNS1_3gpuE6ELNS1_3repE0EEENS1_30default_config_static_selectorELNS0_4arch9wavefront6targetE1EEEvSP_,"axG",@progbits,_ZN7rocprim17ROCPRIM_400000_NS6detail17trampoline_kernelINS0_14default_configENS1_29binary_search_config_selectorIybEEZNS1_14transform_implILb0ES3_S5_N6thrust23THRUST_200600_302600_NS6detail15normal_iteratorINS8_10device_ptrIyEEEENSA_INSB_IbEEEEZNS1_13binary_searchIS3_S5_SD_SD_SF_NS1_16binary_search_opENS9_16wrapped_functionINS0_4lessIvEEbEEEE10hipError_tPvRmT1_T2_T3_mmT4_T5_P12ihipStream_tbEUlRKyE_EESM_SQ_SR_mSS_SV_bEUlT_E_NS1_11comp_targetILNS1_3genE2ELNS1_11target_archE906ELNS1_3gpuE6ELNS1_3repE0EEENS1_30default_config_static_selectorELNS0_4arch9wavefront6targetE1EEEvSP_,comdat
	.protected	_ZN7rocprim17ROCPRIM_400000_NS6detail17trampoline_kernelINS0_14default_configENS1_29binary_search_config_selectorIybEEZNS1_14transform_implILb0ES3_S5_N6thrust23THRUST_200600_302600_NS6detail15normal_iteratorINS8_10device_ptrIyEEEENSA_INSB_IbEEEEZNS1_13binary_searchIS3_S5_SD_SD_SF_NS1_16binary_search_opENS9_16wrapped_functionINS0_4lessIvEEbEEEE10hipError_tPvRmT1_T2_T3_mmT4_T5_P12ihipStream_tbEUlRKyE_EESM_SQ_SR_mSS_SV_bEUlT_E_NS1_11comp_targetILNS1_3genE2ELNS1_11target_archE906ELNS1_3gpuE6ELNS1_3repE0EEENS1_30default_config_static_selectorELNS0_4arch9wavefront6targetE1EEEvSP_ ; -- Begin function _ZN7rocprim17ROCPRIM_400000_NS6detail17trampoline_kernelINS0_14default_configENS1_29binary_search_config_selectorIybEEZNS1_14transform_implILb0ES3_S5_N6thrust23THRUST_200600_302600_NS6detail15normal_iteratorINS8_10device_ptrIyEEEENSA_INSB_IbEEEEZNS1_13binary_searchIS3_S5_SD_SD_SF_NS1_16binary_search_opENS9_16wrapped_functionINS0_4lessIvEEbEEEE10hipError_tPvRmT1_T2_T3_mmT4_T5_P12ihipStream_tbEUlRKyE_EESM_SQ_SR_mSS_SV_bEUlT_E_NS1_11comp_targetILNS1_3genE2ELNS1_11target_archE906ELNS1_3gpuE6ELNS1_3repE0EEENS1_30default_config_static_selectorELNS0_4arch9wavefront6targetE1EEEvSP_
	.globl	_ZN7rocprim17ROCPRIM_400000_NS6detail17trampoline_kernelINS0_14default_configENS1_29binary_search_config_selectorIybEEZNS1_14transform_implILb0ES3_S5_N6thrust23THRUST_200600_302600_NS6detail15normal_iteratorINS8_10device_ptrIyEEEENSA_INSB_IbEEEEZNS1_13binary_searchIS3_S5_SD_SD_SF_NS1_16binary_search_opENS9_16wrapped_functionINS0_4lessIvEEbEEEE10hipError_tPvRmT1_T2_T3_mmT4_T5_P12ihipStream_tbEUlRKyE_EESM_SQ_SR_mSS_SV_bEUlT_E_NS1_11comp_targetILNS1_3genE2ELNS1_11target_archE906ELNS1_3gpuE6ELNS1_3repE0EEENS1_30default_config_static_selectorELNS0_4arch9wavefront6targetE1EEEvSP_
	.p2align	8
	.type	_ZN7rocprim17ROCPRIM_400000_NS6detail17trampoline_kernelINS0_14default_configENS1_29binary_search_config_selectorIybEEZNS1_14transform_implILb0ES3_S5_N6thrust23THRUST_200600_302600_NS6detail15normal_iteratorINS8_10device_ptrIyEEEENSA_INSB_IbEEEEZNS1_13binary_searchIS3_S5_SD_SD_SF_NS1_16binary_search_opENS9_16wrapped_functionINS0_4lessIvEEbEEEE10hipError_tPvRmT1_T2_T3_mmT4_T5_P12ihipStream_tbEUlRKyE_EESM_SQ_SR_mSS_SV_bEUlT_E_NS1_11comp_targetILNS1_3genE2ELNS1_11target_archE906ELNS1_3gpuE6ELNS1_3repE0EEENS1_30default_config_static_selectorELNS0_4arch9wavefront6targetE1EEEvSP_,@function
_ZN7rocprim17ROCPRIM_400000_NS6detail17trampoline_kernelINS0_14default_configENS1_29binary_search_config_selectorIybEEZNS1_14transform_implILb0ES3_S5_N6thrust23THRUST_200600_302600_NS6detail15normal_iteratorINS8_10device_ptrIyEEEENSA_INSB_IbEEEEZNS1_13binary_searchIS3_S5_SD_SD_SF_NS1_16binary_search_opENS9_16wrapped_functionINS0_4lessIvEEbEEEE10hipError_tPvRmT1_T2_T3_mmT4_T5_P12ihipStream_tbEUlRKyE_EESM_SQ_SR_mSS_SV_bEUlT_E_NS1_11comp_targetILNS1_3genE2ELNS1_11target_archE906ELNS1_3gpuE6ELNS1_3repE0EEENS1_30default_config_static_selectorELNS0_4arch9wavefront6targetE1EEEvSP_: ; @_ZN7rocprim17ROCPRIM_400000_NS6detail17trampoline_kernelINS0_14default_configENS1_29binary_search_config_selectorIybEEZNS1_14transform_implILb0ES3_S5_N6thrust23THRUST_200600_302600_NS6detail15normal_iteratorINS8_10device_ptrIyEEEENSA_INSB_IbEEEEZNS1_13binary_searchIS3_S5_SD_SD_SF_NS1_16binary_search_opENS9_16wrapped_functionINS0_4lessIvEEbEEEE10hipError_tPvRmT1_T2_T3_mmT4_T5_P12ihipStream_tbEUlRKyE_EESM_SQ_SR_mSS_SV_bEUlT_E_NS1_11comp_targetILNS1_3genE2ELNS1_11target_archE906ELNS1_3gpuE6ELNS1_3repE0EEENS1_30default_config_static_selectorELNS0_4arch9wavefront6targetE1EEEvSP_
; %bb.0:
	.section	.rodata,"a",@progbits
	.p2align	6, 0x0
	.amdhsa_kernel _ZN7rocprim17ROCPRIM_400000_NS6detail17trampoline_kernelINS0_14default_configENS1_29binary_search_config_selectorIybEEZNS1_14transform_implILb0ES3_S5_N6thrust23THRUST_200600_302600_NS6detail15normal_iteratorINS8_10device_ptrIyEEEENSA_INSB_IbEEEEZNS1_13binary_searchIS3_S5_SD_SD_SF_NS1_16binary_search_opENS9_16wrapped_functionINS0_4lessIvEEbEEEE10hipError_tPvRmT1_T2_T3_mmT4_T5_P12ihipStream_tbEUlRKyE_EESM_SQ_SR_mSS_SV_bEUlT_E_NS1_11comp_targetILNS1_3genE2ELNS1_11target_archE906ELNS1_3gpuE6ELNS1_3repE0EEENS1_30default_config_static_selectorELNS0_4arch9wavefront6targetE1EEEvSP_
		.amdhsa_group_segment_fixed_size 0
		.amdhsa_private_segment_fixed_size 0
		.amdhsa_kernarg_size 56
		.amdhsa_user_sgpr_count 6
		.amdhsa_user_sgpr_private_segment_buffer 1
		.amdhsa_user_sgpr_dispatch_ptr 0
		.amdhsa_user_sgpr_queue_ptr 0
		.amdhsa_user_sgpr_kernarg_segment_ptr 1
		.amdhsa_user_sgpr_dispatch_id 0
		.amdhsa_user_sgpr_flat_scratch_init 0
		.amdhsa_user_sgpr_kernarg_preload_length 0
		.amdhsa_user_sgpr_kernarg_preload_offset 0
		.amdhsa_user_sgpr_private_segment_size 0
		.amdhsa_uses_dynamic_stack 0
		.amdhsa_system_sgpr_private_segment_wavefront_offset 0
		.amdhsa_system_sgpr_workgroup_id_x 1
		.amdhsa_system_sgpr_workgroup_id_y 0
		.amdhsa_system_sgpr_workgroup_id_z 0
		.amdhsa_system_sgpr_workgroup_info 0
		.amdhsa_system_vgpr_workitem_id 0
		.amdhsa_next_free_vgpr 1
		.amdhsa_next_free_sgpr 0
		.amdhsa_accum_offset 4
		.amdhsa_reserve_vcc 0
		.amdhsa_reserve_flat_scratch 0
		.amdhsa_float_round_mode_32 0
		.amdhsa_float_round_mode_16_64 0
		.amdhsa_float_denorm_mode_32 3
		.amdhsa_float_denorm_mode_16_64 3
		.amdhsa_dx10_clamp 1
		.amdhsa_ieee_mode 1
		.amdhsa_fp16_overflow 0
		.amdhsa_tg_split 0
		.amdhsa_exception_fp_ieee_invalid_op 0
		.amdhsa_exception_fp_denorm_src 0
		.amdhsa_exception_fp_ieee_div_zero 0
		.amdhsa_exception_fp_ieee_overflow 0
		.amdhsa_exception_fp_ieee_underflow 0
		.amdhsa_exception_fp_ieee_inexact 0
		.amdhsa_exception_int_div_zero 0
	.end_amdhsa_kernel
	.section	.text._ZN7rocprim17ROCPRIM_400000_NS6detail17trampoline_kernelINS0_14default_configENS1_29binary_search_config_selectorIybEEZNS1_14transform_implILb0ES3_S5_N6thrust23THRUST_200600_302600_NS6detail15normal_iteratorINS8_10device_ptrIyEEEENSA_INSB_IbEEEEZNS1_13binary_searchIS3_S5_SD_SD_SF_NS1_16binary_search_opENS9_16wrapped_functionINS0_4lessIvEEbEEEE10hipError_tPvRmT1_T2_T3_mmT4_T5_P12ihipStream_tbEUlRKyE_EESM_SQ_SR_mSS_SV_bEUlT_E_NS1_11comp_targetILNS1_3genE2ELNS1_11target_archE906ELNS1_3gpuE6ELNS1_3repE0EEENS1_30default_config_static_selectorELNS0_4arch9wavefront6targetE1EEEvSP_,"axG",@progbits,_ZN7rocprim17ROCPRIM_400000_NS6detail17trampoline_kernelINS0_14default_configENS1_29binary_search_config_selectorIybEEZNS1_14transform_implILb0ES3_S5_N6thrust23THRUST_200600_302600_NS6detail15normal_iteratorINS8_10device_ptrIyEEEENSA_INSB_IbEEEEZNS1_13binary_searchIS3_S5_SD_SD_SF_NS1_16binary_search_opENS9_16wrapped_functionINS0_4lessIvEEbEEEE10hipError_tPvRmT1_T2_T3_mmT4_T5_P12ihipStream_tbEUlRKyE_EESM_SQ_SR_mSS_SV_bEUlT_E_NS1_11comp_targetILNS1_3genE2ELNS1_11target_archE906ELNS1_3gpuE6ELNS1_3repE0EEENS1_30default_config_static_selectorELNS0_4arch9wavefront6targetE1EEEvSP_,comdat
.Lfunc_end442:
	.size	_ZN7rocprim17ROCPRIM_400000_NS6detail17trampoline_kernelINS0_14default_configENS1_29binary_search_config_selectorIybEEZNS1_14transform_implILb0ES3_S5_N6thrust23THRUST_200600_302600_NS6detail15normal_iteratorINS8_10device_ptrIyEEEENSA_INSB_IbEEEEZNS1_13binary_searchIS3_S5_SD_SD_SF_NS1_16binary_search_opENS9_16wrapped_functionINS0_4lessIvEEbEEEE10hipError_tPvRmT1_T2_T3_mmT4_T5_P12ihipStream_tbEUlRKyE_EESM_SQ_SR_mSS_SV_bEUlT_E_NS1_11comp_targetILNS1_3genE2ELNS1_11target_archE906ELNS1_3gpuE6ELNS1_3repE0EEENS1_30default_config_static_selectorELNS0_4arch9wavefront6targetE1EEEvSP_, .Lfunc_end442-_ZN7rocprim17ROCPRIM_400000_NS6detail17trampoline_kernelINS0_14default_configENS1_29binary_search_config_selectorIybEEZNS1_14transform_implILb0ES3_S5_N6thrust23THRUST_200600_302600_NS6detail15normal_iteratorINS8_10device_ptrIyEEEENSA_INSB_IbEEEEZNS1_13binary_searchIS3_S5_SD_SD_SF_NS1_16binary_search_opENS9_16wrapped_functionINS0_4lessIvEEbEEEE10hipError_tPvRmT1_T2_T3_mmT4_T5_P12ihipStream_tbEUlRKyE_EESM_SQ_SR_mSS_SV_bEUlT_E_NS1_11comp_targetILNS1_3genE2ELNS1_11target_archE906ELNS1_3gpuE6ELNS1_3repE0EEENS1_30default_config_static_selectorELNS0_4arch9wavefront6targetE1EEEvSP_
                                        ; -- End function
	.section	.AMDGPU.csdata,"",@progbits
; Kernel info:
; codeLenInByte = 0
; NumSgprs: 4
; NumVgprs: 0
; NumAgprs: 0
; TotalNumVgprs: 0
; ScratchSize: 0
; MemoryBound: 0
; FloatMode: 240
; IeeeMode: 1
; LDSByteSize: 0 bytes/workgroup (compile time only)
; SGPRBlocks: 0
; VGPRBlocks: 0
; NumSGPRsForWavesPerEU: 4
; NumVGPRsForWavesPerEU: 1
; AccumOffset: 4
; Occupancy: 8
; WaveLimiterHint : 0
; COMPUTE_PGM_RSRC2:SCRATCH_EN: 0
; COMPUTE_PGM_RSRC2:USER_SGPR: 6
; COMPUTE_PGM_RSRC2:TRAP_HANDLER: 0
; COMPUTE_PGM_RSRC2:TGID_X_EN: 1
; COMPUTE_PGM_RSRC2:TGID_Y_EN: 0
; COMPUTE_PGM_RSRC2:TGID_Z_EN: 0
; COMPUTE_PGM_RSRC2:TIDIG_COMP_CNT: 0
; COMPUTE_PGM_RSRC3_GFX90A:ACCUM_OFFSET: 0
; COMPUTE_PGM_RSRC3_GFX90A:TG_SPLIT: 0
	.section	.text._ZN7rocprim17ROCPRIM_400000_NS6detail17trampoline_kernelINS0_14default_configENS1_29binary_search_config_selectorIybEEZNS1_14transform_implILb0ES3_S5_N6thrust23THRUST_200600_302600_NS6detail15normal_iteratorINS8_10device_ptrIyEEEENSA_INSB_IbEEEEZNS1_13binary_searchIS3_S5_SD_SD_SF_NS1_16binary_search_opENS9_16wrapped_functionINS0_4lessIvEEbEEEE10hipError_tPvRmT1_T2_T3_mmT4_T5_P12ihipStream_tbEUlRKyE_EESM_SQ_SR_mSS_SV_bEUlT_E_NS1_11comp_targetILNS1_3genE10ELNS1_11target_archE1201ELNS1_3gpuE5ELNS1_3repE0EEENS1_30default_config_static_selectorELNS0_4arch9wavefront6targetE1EEEvSP_,"axG",@progbits,_ZN7rocprim17ROCPRIM_400000_NS6detail17trampoline_kernelINS0_14default_configENS1_29binary_search_config_selectorIybEEZNS1_14transform_implILb0ES3_S5_N6thrust23THRUST_200600_302600_NS6detail15normal_iteratorINS8_10device_ptrIyEEEENSA_INSB_IbEEEEZNS1_13binary_searchIS3_S5_SD_SD_SF_NS1_16binary_search_opENS9_16wrapped_functionINS0_4lessIvEEbEEEE10hipError_tPvRmT1_T2_T3_mmT4_T5_P12ihipStream_tbEUlRKyE_EESM_SQ_SR_mSS_SV_bEUlT_E_NS1_11comp_targetILNS1_3genE10ELNS1_11target_archE1201ELNS1_3gpuE5ELNS1_3repE0EEENS1_30default_config_static_selectorELNS0_4arch9wavefront6targetE1EEEvSP_,comdat
	.protected	_ZN7rocprim17ROCPRIM_400000_NS6detail17trampoline_kernelINS0_14default_configENS1_29binary_search_config_selectorIybEEZNS1_14transform_implILb0ES3_S5_N6thrust23THRUST_200600_302600_NS6detail15normal_iteratorINS8_10device_ptrIyEEEENSA_INSB_IbEEEEZNS1_13binary_searchIS3_S5_SD_SD_SF_NS1_16binary_search_opENS9_16wrapped_functionINS0_4lessIvEEbEEEE10hipError_tPvRmT1_T2_T3_mmT4_T5_P12ihipStream_tbEUlRKyE_EESM_SQ_SR_mSS_SV_bEUlT_E_NS1_11comp_targetILNS1_3genE10ELNS1_11target_archE1201ELNS1_3gpuE5ELNS1_3repE0EEENS1_30default_config_static_selectorELNS0_4arch9wavefront6targetE1EEEvSP_ ; -- Begin function _ZN7rocprim17ROCPRIM_400000_NS6detail17trampoline_kernelINS0_14default_configENS1_29binary_search_config_selectorIybEEZNS1_14transform_implILb0ES3_S5_N6thrust23THRUST_200600_302600_NS6detail15normal_iteratorINS8_10device_ptrIyEEEENSA_INSB_IbEEEEZNS1_13binary_searchIS3_S5_SD_SD_SF_NS1_16binary_search_opENS9_16wrapped_functionINS0_4lessIvEEbEEEE10hipError_tPvRmT1_T2_T3_mmT4_T5_P12ihipStream_tbEUlRKyE_EESM_SQ_SR_mSS_SV_bEUlT_E_NS1_11comp_targetILNS1_3genE10ELNS1_11target_archE1201ELNS1_3gpuE5ELNS1_3repE0EEENS1_30default_config_static_selectorELNS0_4arch9wavefront6targetE1EEEvSP_
	.globl	_ZN7rocprim17ROCPRIM_400000_NS6detail17trampoline_kernelINS0_14default_configENS1_29binary_search_config_selectorIybEEZNS1_14transform_implILb0ES3_S5_N6thrust23THRUST_200600_302600_NS6detail15normal_iteratorINS8_10device_ptrIyEEEENSA_INSB_IbEEEEZNS1_13binary_searchIS3_S5_SD_SD_SF_NS1_16binary_search_opENS9_16wrapped_functionINS0_4lessIvEEbEEEE10hipError_tPvRmT1_T2_T3_mmT4_T5_P12ihipStream_tbEUlRKyE_EESM_SQ_SR_mSS_SV_bEUlT_E_NS1_11comp_targetILNS1_3genE10ELNS1_11target_archE1201ELNS1_3gpuE5ELNS1_3repE0EEENS1_30default_config_static_selectorELNS0_4arch9wavefront6targetE1EEEvSP_
	.p2align	8
	.type	_ZN7rocprim17ROCPRIM_400000_NS6detail17trampoline_kernelINS0_14default_configENS1_29binary_search_config_selectorIybEEZNS1_14transform_implILb0ES3_S5_N6thrust23THRUST_200600_302600_NS6detail15normal_iteratorINS8_10device_ptrIyEEEENSA_INSB_IbEEEEZNS1_13binary_searchIS3_S5_SD_SD_SF_NS1_16binary_search_opENS9_16wrapped_functionINS0_4lessIvEEbEEEE10hipError_tPvRmT1_T2_T3_mmT4_T5_P12ihipStream_tbEUlRKyE_EESM_SQ_SR_mSS_SV_bEUlT_E_NS1_11comp_targetILNS1_3genE10ELNS1_11target_archE1201ELNS1_3gpuE5ELNS1_3repE0EEENS1_30default_config_static_selectorELNS0_4arch9wavefront6targetE1EEEvSP_,@function
_ZN7rocprim17ROCPRIM_400000_NS6detail17trampoline_kernelINS0_14default_configENS1_29binary_search_config_selectorIybEEZNS1_14transform_implILb0ES3_S5_N6thrust23THRUST_200600_302600_NS6detail15normal_iteratorINS8_10device_ptrIyEEEENSA_INSB_IbEEEEZNS1_13binary_searchIS3_S5_SD_SD_SF_NS1_16binary_search_opENS9_16wrapped_functionINS0_4lessIvEEbEEEE10hipError_tPvRmT1_T2_T3_mmT4_T5_P12ihipStream_tbEUlRKyE_EESM_SQ_SR_mSS_SV_bEUlT_E_NS1_11comp_targetILNS1_3genE10ELNS1_11target_archE1201ELNS1_3gpuE5ELNS1_3repE0EEENS1_30default_config_static_selectorELNS0_4arch9wavefront6targetE1EEEvSP_: ; @_ZN7rocprim17ROCPRIM_400000_NS6detail17trampoline_kernelINS0_14default_configENS1_29binary_search_config_selectorIybEEZNS1_14transform_implILb0ES3_S5_N6thrust23THRUST_200600_302600_NS6detail15normal_iteratorINS8_10device_ptrIyEEEENSA_INSB_IbEEEEZNS1_13binary_searchIS3_S5_SD_SD_SF_NS1_16binary_search_opENS9_16wrapped_functionINS0_4lessIvEEbEEEE10hipError_tPvRmT1_T2_T3_mmT4_T5_P12ihipStream_tbEUlRKyE_EESM_SQ_SR_mSS_SV_bEUlT_E_NS1_11comp_targetILNS1_3genE10ELNS1_11target_archE1201ELNS1_3gpuE5ELNS1_3repE0EEENS1_30default_config_static_selectorELNS0_4arch9wavefront6targetE1EEEvSP_
; %bb.0:
	.section	.rodata,"a",@progbits
	.p2align	6, 0x0
	.amdhsa_kernel _ZN7rocprim17ROCPRIM_400000_NS6detail17trampoline_kernelINS0_14default_configENS1_29binary_search_config_selectorIybEEZNS1_14transform_implILb0ES3_S5_N6thrust23THRUST_200600_302600_NS6detail15normal_iteratorINS8_10device_ptrIyEEEENSA_INSB_IbEEEEZNS1_13binary_searchIS3_S5_SD_SD_SF_NS1_16binary_search_opENS9_16wrapped_functionINS0_4lessIvEEbEEEE10hipError_tPvRmT1_T2_T3_mmT4_T5_P12ihipStream_tbEUlRKyE_EESM_SQ_SR_mSS_SV_bEUlT_E_NS1_11comp_targetILNS1_3genE10ELNS1_11target_archE1201ELNS1_3gpuE5ELNS1_3repE0EEENS1_30default_config_static_selectorELNS0_4arch9wavefront6targetE1EEEvSP_
		.amdhsa_group_segment_fixed_size 0
		.amdhsa_private_segment_fixed_size 0
		.amdhsa_kernarg_size 56
		.amdhsa_user_sgpr_count 6
		.amdhsa_user_sgpr_private_segment_buffer 1
		.amdhsa_user_sgpr_dispatch_ptr 0
		.amdhsa_user_sgpr_queue_ptr 0
		.amdhsa_user_sgpr_kernarg_segment_ptr 1
		.amdhsa_user_sgpr_dispatch_id 0
		.amdhsa_user_sgpr_flat_scratch_init 0
		.amdhsa_user_sgpr_kernarg_preload_length 0
		.amdhsa_user_sgpr_kernarg_preload_offset 0
		.amdhsa_user_sgpr_private_segment_size 0
		.amdhsa_uses_dynamic_stack 0
		.amdhsa_system_sgpr_private_segment_wavefront_offset 0
		.amdhsa_system_sgpr_workgroup_id_x 1
		.amdhsa_system_sgpr_workgroup_id_y 0
		.amdhsa_system_sgpr_workgroup_id_z 0
		.amdhsa_system_sgpr_workgroup_info 0
		.amdhsa_system_vgpr_workitem_id 0
		.amdhsa_next_free_vgpr 1
		.amdhsa_next_free_sgpr 0
		.amdhsa_accum_offset 4
		.amdhsa_reserve_vcc 0
		.amdhsa_reserve_flat_scratch 0
		.amdhsa_float_round_mode_32 0
		.amdhsa_float_round_mode_16_64 0
		.amdhsa_float_denorm_mode_32 3
		.amdhsa_float_denorm_mode_16_64 3
		.amdhsa_dx10_clamp 1
		.amdhsa_ieee_mode 1
		.amdhsa_fp16_overflow 0
		.amdhsa_tg_split 0
		.amdhsa_exception_fp_ieee_invalid_op 0
		.amdhsa_exception_fp_denorm_src 0
		.amdhsa_exception_fp_ieee_div_zero 0
		.amdhsa_exception_fp_ieee_overflow 0
		.amdhsa_exception_fp_ieee_underflow 0
		.amdhsa_exception_fp_ieee_inexact 0
		.amdhsa_exception_int_div_zero 0
	.end_amdhsa_kernel
	.section	.text._ZN7rocprim17ROCPRIM_400000_NS6detail17trampoline_kernelINS0_14default_configENS1_29binary_search_config_selectorIybEEZNS1_14transform_implILb0ES3_S5_N6thrust23THRUST_200600_302600_NS6detail15normal_iteratorINS8_10device_ptrIyEEEENSA_INSB_IbEEEEZNS1_13binary_searchIS3_S5_SD_SD_SF_NS1_16binary_search_opENS9_16wrapped_functionINS0_4lessIvEEbEEEE10hipError_tPvRmT1_T2_T3_mmT4_T5_P12ihipStream_tbEUlRKyE_EESM_SQ_SR_mSS_SV_bEUlT_E_NS1_11comp_targetILNS1_3genE10ELNS1_11target_archE1201ELNS1_3gpuE5ELNS1_3repE0EEENS1_30default_config_static_selectorELNS0_4arch9wavefront6targetE1EEEvSP_,"axG",@progbits,_ZN7rocprim17ROCPRIM_400000_NS6detail17trampoline_kernelINS0_14default_configENS1_29binary_search_config_selectorIybEEZNS1_14transform_implILb0ES3_S5_N6thrust23THRUST_200600_302600_NS6detail15normal_iteratorINS8_10device_ptrIyEEEENSA_INSB_IbEEEEZNS1_13binary_searchIS3_S5_SD_SD_SF_NS1_16binary_search_opENS9_16wrapped_functionINS0_4lessIvEEbEEEE10hipError_tPvRmT1_T2_T3_mmT4_T5_P12ihipStream_tbEUlRKyE_EESM_SQ_SR_mSS_SV_bEUlT_E_NS1_11comp_targetILNS1_3genE10ELNS1_11target_archE1201ELNS1_3gpuE5ELNS1_3repE0EEENS1_30default_config_static_selectorELNS0_4arch9wavefront6targetE1EEEvSP_,comdat
.Lfunc_end443:
	.size	_ZN7rocprim17ROCPRIM_400000_NS6detail17trampoline_kernelINS0_14default_configENS1_29binary_search_config_selectorIybEEZNS1_14transform_implILb0ES3_S5_N6thrust23THRUST_200600_302600_NS6detail15normal_iteratorINS8_10device_ptrIyEEEENSA_INSB_IbEEEEZNS1_13binary_searchIS3_S5_SD_SD_SF_NS1_16binary_search_opENS9_16wrapped_functionINS0_4lessIvEEbEEEE10hipError_tPvRmT1_T2_T3_mmT4_T5_P12ihipStream_tbEUlRKyE_EESM_SQ_SR_mSS_SV_bEUlT_E_NS1_11comp_targetILNS1_3genE10ELNS1_11target_archE1201ELNS1_3gpuE5ELNS1_3repE0EEENS1_30default_config_static_selectorELNS0_4arch9wavefront6targetE1EEEvSP_, .Lfunc_end443-_ZN7rocprim17ROCPRIM_400000_NS6detail17trampoline_kernelINS0_14default_configENS1_29binary_search_config_selectorIybEEZNS1_14transform_implILb0ES3_S5_N6thrust23THRUST_200600_302600_NS6detail15normal_iteratorINS8_10device_ptrIyEEEENSA_INSB_IbEEEEZNS1_13binary_searchIS3_S5_SD_SD_SF_NS1_16binary_search_opENS9_16wrapped_functionINS0_4lessIvEEbEEEE10hipError_tPvRmT1_T2_T3_mmT4_T5_P12ihipStream_tbEUlRKyE_EESM_SQ_SR_mSS_SV_bEUlT_E_NS1_11comp_targetILNS1_3genE10ELNS1_11target_archE1201ELNS1_3gpuE5ELNS1_3repE0EEENS1_30default_config_static_selectorELNS0_4arch9wavefront6targetE1EEEvSP_
                                        ; -- End function
	.section	.AMDGPU.csdata,"",@progbits
; Kernel info:
; codeLenInByte = 0
; NumSgprs: 4
; NumVgprs: 0
; NumAgprs: 0
; TotalNumVgprs: 0
; ScratchSize: 0
; MemoryBound: 0
; FloatMode: 240
; IeeeMode: 1
; LDSByteSize: 0 bytes/workgroup (compile time only)
; SGPRBlocks: 0
; VGPRBlocks: 0
; NumSGPRsForWavesPerEU: 4
; NumVGPRsForWavesPerEU: 1
; AccumOffset: 4
; Occupancy: 8
; WaveLimiterHint : 0
; COMPUTE_PGM_RSRC2:SCRATCH_EN: 0
; COMPUTE_PGM_RSRC2:USER_SGPR: 6
; COMPUTE_PGM_RSRC2:TRAP_HANDLER: 0
; COMPUTE_PGM_RSRC2:TGID_X_EN: 1
; COMPUTE_PGM_RSRC2:TGID_Y_EN: 0
; COMPUTE_PGM_RSRC2:TGID_Z_EN: 0
; COMPUTE_PGM_RSRC2:TIDIG_COMP_CNT: 0
; COMPUTE_PGM_RSRC3_GFX90A:ACCUM_OFFSET: 0
; COMPUTE_PGM_RSRC3_GFX90A:TG_SPLIT: 0
	.section	.text._ZN7rocprim17ROCPRIM_400000_NS6detail17trampoline_kernelINS0_14default_configENS1_29binary_search_config_selectorIybEEZNS1_14transform_implILb0ES3_S5_N6thrust23THRUST_200600_302600_NS6detail15normal_iteratorINS8_10device_ptrIyEEEENSA_INSB_IbEEEEZNS1_13binary_searchIS3_S5_SD_SD_SF_NS1_16binary_search_opENS9_16wrapped_functionINS0_4lessIvEEbEEEE10hipError_tPvRmT1_T2_T3_mmT4_T5_P12ihipStream_tbEUlRKyE_EESM_SQ_SR_mSS_SV_bEUlT_E_NS1_11comp_targetILNS1_3genE10ELNS1_11target_archE1200ELNS1_3gpuE4ELNS1_3repE0EEENS1_30default_config_static_selectorELNS0_4arch9wavefront6targetE1EEEvSP_,"axG",@progbits,_ZN7rocprim17ROCPRIM_400000_NS6detail17trampoline_kernelINS0_14default_configENS1_29binary_search_config_selectorIybEEZNS1_14transform_implILb0ES3_S5_N6thrust23THRUST_200600_302600_NS6detail15normal_iteratorINS8_10device_ptrIyEEEENSA_INSB_IbEEEEZNS1_13binary_searchIS3_S5_SD_SD_SF_NS1_16binary_search_opENS9_16wrapped_functionINS0_4lessIvEEbEEEE10hipError_tPvRmT1_T2_T3_mmT4_T5_P12ihipStream_tbEUlRKyE_EESM_SQ_SR_mSS_SV_bEUlT_E_NS1_11comp_targetILNS1_3genE10ELNS1_11target_archE1200ELNS1_3gpuE4ELNS1_3repE0EEENS1_30default_config_static_selectorELNS0_4arch9wavefront6targetE1EEEvSP_,comdat
	.protected	_ZN7rocprim17ROCPRIM_400000_NS6detail17trampoline_kernelINS0_14default_configENS1_29binary_search_config_selectorIybEEZNS1_14transform_implILb0ES3_S5_N6thrust23THRUST_200600_302600_NS6detail15normal_iteratorINS8_10device_ptrIyEEEENSA_INSB_IbEEEEZNS1_13binary_searchIS3_S5_SD_SD_SF_NS1_16binary_search_opENS9_16wrapped_functionINS0_4lessIvEEbEEEE10hipError_tPvRmT1_T2_T3_mmT4_T5_P12ihipStream_tbEUlRKyE_EESM_SQ_SR_mSS_SV_bEUlT_E_NS1_11comp_targetILNS1_3genE10ELNS1_11target_archE1200ELNS1_3gpuE4ELNS1_3repE0EEENS1_30default_config_static_selectorELNS0_4arch9wavefront6targetE1EEEvSP_ ; -- Begin function _ZN7rocprim17ROCPRIM_400000_NS6detail17trampoline_kernelINS0_14default_configENS1_29binary_search_config_selectorIybEEZNS1_14transform_implILb0ES3_S5_N6thrust23THRUST_200600_302600_NS6detail15normal_iteratorINS8_10device_ptrIyEEEENSA_INSB_IbEEEEZNS1_13binary_searchIS3_S5_SD_SD_SF_NS1_16binary_search_opENS9_16wrapped_functionINS0_4lessIvEEbEEEE10hipError_tPvRmT1_T2_T3_mmT4_T5_P12ihipStream_tbEUlRKyE_EESM_SQ_SR_mSS_SV_bEUlT_E_NS1_11comp_targetILNS1_3genE10ELNS1_11target_archE1200ELNS1_3gpuE4ELNS1_3repE0EEENS1_30default_config_static_selectorELNS0_4arch9wavefront6targetE1EEEvSP_
	.globl	_ZN7rocprim17ROCPRIM_400000_NS6detail17trampoline_kernelINS0_14default_configENS1_29binary_search_config_selectorIybEEZNS1_14transform_implILb0ES3_S5_N6thrust23THRUST_200600_302600_NS6detail15normal_iteratorINS8_10device_ptrIyEEEENSA_INSB_IbEEEEZNS1_13binary_searchIS3_S5_SD_SD_SF_NS1_16binary_search_opENS9_16wrapped_functionINS0_4lessIvEEbEEEE10hipError_tPvRmT1_T2_T3_mmT4_T5_P12ihipStream_tbEUlRKyE_EESM_SQ_SR_mSS_SV_bEUlT_E_NS1_11comp_targetILNS1_3genE10ELNS1_11target_archE1200ELNS1_3gpuE4ELNS1_3repE0EEENS1_30default_config_static_selectorELNS0_4arch9wavefront6targetE1EEEvSP_
	.p2align	8
	.type	_ZN7rocprim17ROCPRIM_400000_NS6detail17trampoline_kernelINS0_14default_configENS1_29binary_search_config_selectorIybEEZNS1_14transform_implILb0ES3_S5_N6thrust23THRUST_200600_302600_NS6detail15normal_iteratorINS8_10device_ptrIyEEEENSA_INSB_IbEEEEZNS1_13binary_searchIS3_S5_SD_SD_SF_NS1_16binary_search_opENS9_16wrapped_functionINS0_4lessIvEEbEEEE10hipError_tPvRmT1_T2_T3_mmT4_T5_P12ihipStream_tbEUlRKyE_EESM_SQ_SR_mSS_SV_bEUlT_E_NS1_11comp_targetILNS1_3genE10ELNS1_11target_archE1200ELNS1_3gpuE4ELNS1_3repE0EEENS1_30default_config_static_selectorELNS0_4arch9wavefront6targetE1EEEvSP_,@function
_ZN7rocprim17ROCPRIM_400000_NS6detail17trampoline_kernelINS0_14default_configENS1_29binary_search_config_selectorIybEEZNS1_14transform_implILb0ES3_S5_N6thrust23THRUST_200600_302600_NS6detail15normal_iteratorINS8_10device_ptrIyEEEENSA_INSB_IbEEEEZNS1_13binary_searchIS3_S5_SD_SD_SF_NS1_16binary_search_opENS9_16wrapped_functionINS0_4lessIvEEbEEEE10hipError_tPvRmT1_T2_T3_mmT4_T5_P12ihipStream_tbEUlRKyE_EESM_SQ_SR_mSS_SV_bEUlT_E_NS1_11comp_targetILNS1_3genE10ELNS1_11target_archE1200ELNS1_3gpuE4ELNS1_3repE0EEENS1_30default_config_static_selectorELNS0_4arch9wavefront6targetE1EEEvSP_: ; @_ZN7rocprim17ROCPRIM_400000_NS6detail17trampoline_kernelINS0_14default_configENS1_29binary_search_config_selectorIybEEZNS1_14transform_implILb0ES3_S5_N6thrust23THRUST_200600_302600_NS6detail15normal_iteratorINS8_10device_ptrIyEEEENSA_INSB_IbEEEEZNS1_13binary_searchIS3_S5_SD_SD_SF_NS1_16binary_search_opENS9_16wrapped_functionINS0_4lessIvEEbEEEE10hipError_tPvRmT1_T2_T3_mmT4_T5_P12ihipStream_tbEUlRKyE_EESM_SQ_SR_mSS_SV_bEUlT_E_NS1_11comp_targetILNS1_3genE10ELNS1_11target_archE1200ELNS1_3gpuE4ELNS1_3repE0EEENS1_30default_config_static_selectorELNS0_4arch9wavefront6targetE1EEEvSP_
; %bb.0:
	.section	.rodata,"a",@progbits
	.p2align	6, 0x0
	.amdhsa_kernel _ZN7rocprim17ROCPRIM_400000_NS6detail17trampoline_kernelINS0_14default_configENS1_29binary_search_config_selectorIybEEZNS1_14transform_implILb0ES3_S5_N6thrust23THRUST_200600_302600_NS6detail15normal_iteratorINS8_10device_ptrIyEEEENSA_INSB_IbEEEEZNS1_13binary_searchIS3_S5_SD_SD_SF_NS1_16binary_search_opENS9_16wrapped_functionINS0_4lessIvEEbEEEE10hipError_tPvRmT1_T2_T3_mmT4_T5_P12ihipStream_tbEUlRKyE_EESM_SQ_SR_mSS_SV_bEUlT_E_NS1_11comp_targetILNS1_3genE10ELNS1_11target_archE1200ELNS1_3gpuE4ELNS1_3repE0EEENS1_30default_config_static_selectorELNS0_4arch9wavefront6targetE1EEEvSP_
		.amdhsa_group_segment_fixed_size 0
		.amdhsa_private_segment_fixed_size 0
		.amdhsa_kernarg_size 56
		.amdhsa_user_sgpr_count 6
		.amdhsa_user_sgpr_private_segment_buffer 1
		.amdhsa_user_sgpr_dispatch_ptr 0
		.amdhsa_user_sgpr_queue_ptr 0
		.amdhsa_user_sgpr_kernarg_segment_ptr 1
		.amdhsa_user_sgpr_dispatch_id 0
		.amdhsa_user_sgpr_flat_scratch_init 0
		.amdhsa_user_sgpr_kernarg_preload_length 0
		.amdhsa_user_sgpr_kernarg_preload_offset 0
		.amdhsa_user_sgpr_private_segment_size 0
		.amdhsa_uses_dynamic_stack 0
		.amdhsa_system_sgpr_private_segment_wavefront_offset 0
		.amdhsa_system_sgpr_workgroup_id_x 1
		.amdhsa_system_sgpr_workgroup_id_y 0
		.amdhsa_system_sgpr_workgroup_id_z 0
		.amdhsa_system_sgpr_workgroup_info 0
		.amdhsa_system_vgpr_workitem_id 0
		.amdhsa_next_free_vgpr 1
		.amdhsa_next_free_sgpr 0
		.amdhsa_accum_offset 4
		.amdhsa_reserve_vcc 0
		.amdhsa_reserve_flat_scratch 0
		.amdhsa_float_round_mode_32 0
		.amdhsa_float_round_mode_16_64 0
		.amdhsa_float_denorm_mode_32 3
		.amdhsa_float_denorm_mode_16_64 3
		.amdhsa_dx10_clamp 1
		.amdhsa_ieee_mode 1
		.amdhsa_fp16_overflow 0
		.amdhsa_tg_split 0
		.amdhsa_exception_fp_ieee_invalid_op 0
		.amdhsa_exception_fp_denorm_src 0
		.amdhsa_exception_fp_ieee_div_zero 0
		.amdhsa_exception_fp_ieee_overflow 0
		.amdhsa_exception_fp_ieee_underflow 0
		.amdhsa_exception_fp_ieee_inexact 0
		.amdhsa_exception_int_div_zero 0
	.end_amdhsa_kernel
	.section	.text._ZN7rocprim17ROCPRIM_400000_NS6detail17trampoline_kernelINS0_14default_configENS1_29binary_search_config_selectorIybEEZNS1_14transform_implILb0ES3_S5_N6thrust23THRUST_200600_302600_NS6detail15normal_iteratorINS8_10device_ptrIyEEEENSA_INSB_IbEEEEZNS1_13binary_searchIS3_S5_SD_SD_SF_NS1_16binary_search_opENS9_16wrapped_functionINS0_4lessIvEEbEEEE10hipError_tPvRmT1_T2_T3_mmT4_T5_P12ihipStream_tbEUlRKyE_EESM_SQ_SR_mSS_SV_bEUlT_E_NS1_11comp_targetILNS1_3genE10ELNS1_11target_archE1200ELNS1_3gpuE4ELNS1_3repE0EEENS1_30default_config_static_selectorELNS0_4arch9wavefront6targetE1EEEvSP_,"axG",@progbits,_ZN7rocprim17ROCPRIM_400000_NS6detail17trampoline_kernelINS0_14default_configENS1_29binary_search_config_selectorIybEEZNS1_14transform_implILb0ES3_S5_N6thrust23THRUST_200600_302600_NS6detail15normal_iteratorINS8_10device_ptrIyEEEENSA_INSB_IbEEEEZNS1_13binary_searchIS3_S5_SD_SD_SF_NS1_16binary_search_opENS9_16wrapped_functionINS0_4lessIvEEbEEEE10hipError_tPvRmT1_T2_T3_mmT4_T5_P12ihipStream_tbEUlRKyE_EESM_SQ_SR_mSS_SV_bEUlT_E_NS1_11comp_targetILNS1_3genE10ELNS1_11target_archE1200ELNS1_3gpuE4ELNS1_3repE0EEENS1_30default_config_static_selectorELNS0_4arch9wavefront6targetE1EEEvSP_,comdat
.Lfunc_end444:
	.size	_ZN7rocprim17ROCPRIM_400000_NS6detail17trampoline_kernelINS0_14default_configENS1_29binary_search_config_selectorIybEEZNS1_14transform_implILb0ES3_S5_N6thrust23THRUST_200600_302600_NS6detail15normal_iteratorINS8_10device_ptrIyEEEENSA_INSB_IbEEEEZNS1_13binary_searchIS3_S5_SD_SD_SF_NS1_16binary_search_opENS9_16wrapped_functionINS0_4lessIvEEbEEEE10hipError_tPvRmT1_T2_T3_mmT4_T5_P12ihipStream_tbEUlRKyE_EESM_SQ_SR_mSS_SV_bEUlT_E_NS1_11comp_targetILNS1_3genE10ELNS1_11target_archE1200ELNS1_3gpuE4ELNS1_3repE0EEENS1_30default_config_static_selectorELNS0_4arch9wavefront6targetE1EEEvSP_, .Lfunc_end444-_ZN7rocprim17ROCPRIM_400000_NS6detail17trampoline_kernelINS0_14default_configENS1_29binary_search_config_selectorIybEEZNS1_14transform_implILb0ES3_S5_N6thrust23THRUST_200600_302600_NS6detail15normal_iteratorINS8_10device_ptrIyEEEENSA_INSB_IbEEEEZNS1_13binary_searchIS3_S5_SD_SD_SF_NS1_16binary_search_opENS9_16wrapped_functionINS0_4lessIvEEbEEEE10hipError_tPvRmT1_T2_T3_mmT4_T5_P12ihipStream_tbEUlRKyE_EESM_SQ_SR_mSS_SV_bEUlT_E_NS1_11comp_targetILNS1_3genE10ELNS1_11target_archE1200ELNS1_3gpuE4ELNS1_3repE0EEENS1_30default_config_static_selectorELNS0_4arch9wavefront6targetE1EEEvSP_
                                        ; -- End function
	.section	.AMDGPU.csdata,"",@progbits
; Kernel info:
; codeLenInByte = 0
; NumSgprs: 4
; NumVgprs: 0
; NumAgprs: 0
; TotalNumVgprs: 0
; ScratchSize: 0
; MemoryBound: 0
; FloatMode: 240
; IeeeMode: 1
; LDSByteSize: 0 bytes/workgroup (compile time only)
; SGPRBlocks: 0
; VGPRBlocks: 0
; NumSGPRsForWavesPerEU: 4
; NumVGPRsForWavesPerEU: 1
; AccumOffset: 4
; Occupancy: 8
; WaveLimiterHint : 0
; COMPUTE_PGM_RSRC2:SCRATCH_EN: 0
; COMPUTE_PGM_RSRC2:USER_SGPR: 6
; COMPUTE_PGM_RSRC2:TRAP_HANDLER: 0
; COMPUTE_PGM_RSRC2:TGID_X_EN: 1
; COMPUTE_PGM_RSRC2:TGID_Y_EN: 0
; COMPUTE_PGM_RSRC2:TGID_Z_EN: 0
; COMPUTE_PGM_RSRC2:TIDIG_COMP_CNT: 0
; COMPUTE_PGM_RSRC3_GFX90A:ACCUM_OFFSET: 0
; COMPUTE_PGM_RSRC3_GFX90A:TG_SPLIT: 0
	.section	.text._ZN7rocprim17ROCPRIM_400000_NS6detail17trampoline_kernelINS0_14default_configENS1_29binary_search_config_selectorIybEEZNS1_14transform_implILb0ES3_S5_N6thrust23THRUST_200600_302600_NS6detail15normal_iteratorINS8_10device_ptrIyEEEENSA_INSB_IbEEEEZNS1_13binary_searchIS3_S5_SD_SD_SF_NS1_16binary_search_opENS9_16wrapped_functionINS0_4lessIvEEbEEEE10hipError_tPvRmT1_T2_T3_mmT4_T5_P12ihipStream_tbEUlRKyE_EESM_SQ_SR_mSS_SV_bEUlT_E_NS1_11comp_targetILNS1_3genE9ELNS1_11target_archE1100ELNS1_3gpuE3ELNS1_3repE0EEENS1_30default_config_static_selectorELNS0_4arch9wavefront6targetE1EEEvSP_,"axG",@progbits,_ZN7rocprim17ROCPRIM_400000_NS6detail17trampoline_kernelINS0_14default_configENS1_29binary_search_config_selectorIybEEZNS1_14transform_implILb0ES3_S5_N6thrust23THRUST_200600_302600_NS6detail15normal_iteratorINS8_10device_ptrIyEEEENSA_INSB_IbEEEEZNS1_13binary_searchIS3_S5_SD_SD_SF_NS1_16binary_search_opENS9_16wrapped_functionINS0_4lessIvEEbEEEE10hipError_tPvRmT1_T2_T3_mmT4_T5_P12ihipStream_tbEUlRKyE_EESM_SQ_SR_mSS_SV_bEUlT_E_NS1_11comp_targetILNS1_3genE9ELNS1_11target_archE1100ELNS1_3gpuE3ELNS1_3repE0EEENS1_30default_config_static_selectorELNS0_4arch9wavefront6targetE1EEEvSP_,comdat
	.protected	_ZN7rocprim17ROCPRIM_400000_NS6detail17trampoline_kernelINS0_14default_configENS1_29binary_search_config_selectorIybEEZNS1_14transform_implILb0ES3_S5_N6thrust23THRUST_200600_302600_NS6detail15normal_iteratorINS8_10device_ptrIyEEEENSA_INSB_IbEEEEZNS1_13binary_searchIS3_S5_SD_SD_SF_NS1_16binary_search_opENS9_16wrapped_functionINS0_4lessIvEEbEEEE10hipError_tPvRmT1_T2_T3_mmT4_T5_P12ihipStream_tbEUlRKyE_EESM_SQ_SR_mSS_SV_bEUlT_E_NS1_11comp_targetILNS1_3genE9ELNS1_11target_archE1100ELNS1_3gpuE3ELNS1_3repE0EEENS1_30default_config_static_selectorELNS0_4arch9wavefront6targetE1EEEvSP_ ; -- Begin function _ZN7rocprim17ROCPRIM_400000_NS6detail17trampoline_kernelINS0_14default_configENS1_29binary_search_config_selectorIybEEZNS1_14transform_implILb0ES3_S5_N6thrust23THRUST_200600_302600_NS6detail15normal_iteratorINS8_10device_ptrIyEEEENSA_INSB_IbEEEEZNS1_13binary_searchIS3_S5_SD_SD_SF_NS1_16binary_search_opENS9_16wrapped_functionINS0_4lessIvEEbEEEE10hipError_tPvRmT1_T2_T3_mmT4_T5_P12ihipStream_tbEUlRKyE_EESM_SQ_SR_mSS_SV_bEUlT_E_NS1_11comp_targetILNS1_3genE9ELNS1_11target_archE1100ELNS1_3gpuE3ELNS1_3repE0EEENS1_30default_config_static_selectorELNS0_4arch9wavefront6targetE1EEEvSP_
	.globl	_ZN7rocprim17ROCPRIM_400000_NS6detail17trampoline_kernelINS0_14default_configENS1_29binary_search_config_selectorIybEEZNS1_14transform_implILb0ES3_S5_N6thrust23THRUST_200600_302600_NS6detail15normal_iteratorINS8_10device_ptrIyEEEENSA_INSB_IbEEEEZNS1_13binary_searchIS3_S5_SD_SD_SF_NS1_16binary_search_opENS9_16wrapped_functionINS0_4lessIvEEbEEEE10hipError_tPvRmT1_T2_T3_mmT4_T5_P12ihipStream_tbEUlRKyE_EESM_SQ_SR_mSS_SV_bEUlT_E_NS1_11comp_targetILNS1_3genE9ELNS1_11target_archE1100ELNS1_3gpuE3ELNS1_3repE0EEENS1_30default_config_static_selectorELNS0_4arch9wavefront6targetE1EEEvSP_
	.p2align	8
	.type	_ZN7rocprim17ROCPRIM_400000_NS6detail17trampoline_kernelINS0_14default_configENS1_29binary_search_config_selectorIybEEZNS1_14transform_implILb0ES3_S5_N6thrust23THRUST_200600_302600_NS6detail15normal_iteratorINS8_10device_ptrIyEEEENSA_INSB_IbEEEEZNS1_13binary_searchIS3_S5_SD_SD_SF_NS1_16binary_search_opENS9_16wrapped_functionINS0_4lessIvEEbEEEE10hipError_tPvRmT1_T2_T3_mmT4_T5_P12ihipStream_tbEUlRKyE_EESM_SQ_SR_mSS_SV_bEUlT_E_NS1_11comp_targetILNS1_3genE9ELNS1_11target_archE1100ELNS1_3gpuE3ELNS1_3repE0EEENS1_30default_config_static_selectorELNS0_4arch9wavefront6targetE1EEEvSP_,@function
_ZN7rocprim17ROCPRIM_400000_NS6detail17trampoline_kernelINS0_14default_configENS1_29binary_search_config_selectorIybEEZNS1_14transform_implILb0ES3_S5_N6thrust23THRUST_200600_302600_NS6detail15normal_iteratorINS8_10device_ptrIyEEEENSA_INSB_IbEEEEZNS1_13binary_searchIS3_S5_SD_SD_SF_NS1_16binary_search_opENS9_16wrapped_functionINS0_4lessIvEEbEEEE10hipError_tPvRmT1_T2_T3_mmT4_T5_P12ihipStream_tbEUlRKyE_EESM_SQ_SR_mSS_SV_bEUlT_E_NS1_11comp_targetILNS1_3genE9ELNS1_11target_archE1100ELNS1_3gpuE3ELNS1_3repE0EEENS1_30default_config_static_selectorELNS0_4arch9wavefront6targetE1EEEvSP_: ; @_ZN7rocprim17ROCPRIM_400000_NS6detail17trampoline_kernelINS0_14default_configENS1_29binary_search_config_selectorIybEEZNS1_14transform_implILb0ES3_S5_N6thrust23THRUST_200600_302600_NS6detail15normal_iteratorINS8_10device_ptrIyEEEENSA_INSB_IbEEEEZNS1_13binary_searchIS3_S5_SD_SD_SF_NS1_16binary_search_opENS9_16wrapped_functionINS0_4lessIvEEbEEEE10hipError_tPvRmT1_T2_T3_mmT4_T5_P12ihipStream_tbEUlRKyE_EESM_SQ_SR_mSS_SV_bEUlT_E_NS1_11comp_targetILNS1_3genE9ELNS1_11target_archE1100ELNS1_3gpuE3ELNS1_3repE0EEENS1_30default_config_static_selectorELNS0_4arch9wavefront6targetE1EEEvSP_
; %bb.0:
	.section	.rodata,"a",@progbits
	.p2align	6, 0x0
	.amdhsa_kernel _ZN7rocprim17ROCPRIM_400000_NS6detail17trampoline_kernelINS0_14default_configENS1_29binary_search_config_selectorIybEEZNS1_14transform_implILb0ES3_S5_N6thrust23THRUST_200600_302600_NS6detail15normal_iteratorINS8_10device_ptrIyEEEENSA_INSB_IbEEEEZNS1_13binary_searchIS3_S5_SD_SD_SF_NS1_16binary_search_opENS9_16wrapped_functionINS0_4lessIvEEbEEEE10hipError_tPvRmT1_T2_T3_mmT4_T5_P12ihipStream_tbEUlRKyE_EESM_SQ_SR_mSS_SV_bEUlT_E_NS1_11comp_targetILNS1_3genE9ELNS1_11target_archE1100ELNS1_3gpuE3ELNS1_3repE0EEENS1_30default_config_static_selectorELNS0_4arch9wavefront6targetE1EEEvSP_
		.amdhsa_group_segment_fixed_size 0
		.amdhsa_private_segment_fixed_size 0
		.amdhsa_kernarg_size 56
		.amdhsa_user_sgpr_count 6
		.amdhsa_user_sgpr_private_segment_buffer 1
		.amdhsa_user_sgpr_dispatch_ptr 0
		.amdhsa_user_sgpr_queue_ptr 0
		.amdhsa_user_sgpr_kernarg_segment_ptr 1
		.amdhsa_user_sgpr_dispatch_id 0
		.amdhsa_user_sgpr_flat_scratch_init 0
		.amdhsa_user_sgpr_kernarg_preload_length 0
		.amdhsa_user_sgpr_kernarg_preload_offset 0
		.amdhsa_user_sgpr_private_segment_size 0
		.amdhsa_uses_dynamic_stack 0
		.amdhsa_system_sgpr_private_segment_wavefront_offset 0
		.amdhsa_system_sgpr_workgroup_id_x 1
		.amdhsa_system_sgpr_workgroup_id_y 0
		.amdhsa_system_sgpr_workgroup_id_z 0
		.amdhsa_system_sgpr_workgroup_info 0
		.amdhsa_system_vgpr_workitem_id 0
		.amdhsa_next_free_vgpr 1
		.amdhsa_next_free_sgpr 0
		.amdhsa_accum_offset 4
		.amdhsa_reserve_vcc 0
		.amdhsa_reserve_flat_scratch 0
		.amdhsa_float_round_mode_32 0
		.amdhsa_float_round_mode_16_64 0
		.amdhsa_float_denorm_mode_32 3
		.amdhsa_float_denorm_mode_16_64 3
		.amdhsa_dx10_clamp 1
		.amdhsa_ieee_mode 1
		.amdhsa_fp16_overflow 0
		.amdhsa_tg_split 0
		.amdhsa_exception_fp_ieee_invalid_op 0
		.amdhsa_exception_fp_denorm_src 0
		.amdhsa_exception_fp_ieee_div_zero 0
		.amdhsa_exception_fp_ieee_overflow 0
		.amdhsa_exception_fp_ieee_underflow 0
		.amdhsa_exception_fp_ieee_inexact 0
		.amdhsa_exception_int_div_zero 0
	.end_amdhsa_kernel
	.section	.text._ZN7rocprim17ROCPRIM_400000_NS6detail17trampoline_kernelINS0_14default_configENS1_29binary_search_config_selectorIybEEZNS1_14transform_implILb0ES3_S5_N6thrust23THRUST_200600_302600_NS6detail15normal_iteratorINS8_10device_ptrIyEEEENSA_INSB_IbEEEEZNS1_13binary_searchIS3_S5_SD_SD_SF_NS1_16binary_search_opENS9_16wrapped_functionINS0_4lessIvEEbEEEE10hipError_tPvRmT1_T2_T3_mmT4_T5_P12ihipStream_tbEUlRKyE_EESM_SQ_SR_mSS_SV_bEUlT_E_NS1_11comp_targetILNS1_3genE9ELNS1_11target_archE1100ELNS1_3gpuE3ELNS1_3repE0EEENS1_30default_config_static_selectorELNS0_4arch9wavefront6targetE1EEEvSP_,"axG",@progbits,_ZN7rocprim17ROCPRIM_400000_NS6detail17trampoline_kernelINS0_14default_configENS1_29binary_search_config_selectorIybEEZNS1_14transform_implILb0ES3_S5_N6thrust23THRUST_200600_302600_NS6detail15normal_iteratorINS8_10device_ptrIyEEEENSA_INSB_IbEEEEZNS1_13binary_searchIS3_S5_SD_SD_SF_NS1_16binary_search_opENS9_16wrapped_functionINS0_4lessIvEEbEEEE10hipError_tPvRmT1_T2_T3_mmT4_T5_P12ihipStream_tbEUlRKyE_EESM_SQ_SR_mSS_SV_bEUlT_E_NS1_11comp_targetILNS1_3genE9ELNS1_11target_archE1100ELNS1_3gpuE3ELNS1_3repE0EEENS1_30default_config_static_selectorELNS0_4arch9wavefront6targetE1EEEvSP_,comdat
.Lfunc_end445:
	.size	_ZN7rocprim17ROCPRIM_400000_NS6detail17trampoline_kernelINS0_14default_configENS1_29binary_search_config_selectorIybEEZNS1_14transform_implILb0ES3_S5_N6thrust23THRUST_200600_302600_NS6detail15normal_iteratorINS8_10device_ptrIyEEEENSA_INSB_IbEEEEZNS1_13binary_searchIS3_S5_SD_SD_SF_NS1_16binary_search_opENS9_16wrapped_functionINS0_4lessIvEEbEEEE10hipError_tPvRmT1_T2_T3_mmT4_T5_P12ihipStream_tbEUlRKyE_EESM_SQ_SR_mSS_SV_bEUlT_E_NS1_11comp_targetILNS1_3genE9ELNS1_11target_archE1100ELNS1_3gpuE3ELNS1_3repE0EEENS1_30default_config_static_selectorELNS0_4arch9wavefront6targetE1EEEvSP_, .Lfunc_end445-_ZN7rocprim17ROCPRIM_400000_NS6detail17trampoline_kernelINS0_14default_configENS1_29binary_search_config_selectorIybEEZNS1_14transform_implILb0ES3_S5_N6thrust23THRUST_200600_302600_NS6detail15normal_iteratorINS8_10device_ptrIyEEEENSA_INSB_IbEEEEZNS1_13binary_searchIS3_S5_SD_SD_SF_NS1_16binary_search_opENS9_16wrapped_functionINS0_4lessIvEEbEEEE10hipError_tPvRmT1_T2_T3_mmT4_T5_P12ihipStream_tbEUlRKyE_EESM_SQ_SR_mSS_SV_bEUlT_E_NS1_11comp_targetILNS1_3genE9ELNS1_11target_archE1100ELNS1_3gpuE3ELNS1_3repE0EEENS1_30default_config_static_selectorELNS0_4arch9wavefront6targetE1EEEvSP_
                                        ; -- End function
	.section	.AMDGPU.csdata,"",@progbits
; Kernel info:
; codeLenInByte = 0
; NumSgprs: 4
; NumVgprs: 0
; NumAgprs: 0
; TotalNumVgprs: 0
; ScratchSize: 0
; MemoryBound: 0
; FloatMode: 240
; IeeeMode: 1
; LDSByteSize: 0 bytes/workgroup (compile time only)
; SGPRBlocks: 0
; VGPRBlocks: 0
; NumSGPRsForWavesPerEU: 4
; NumVGPRsForWavesPerEU: 1
; AccumOffset: 4
; Occupancy: 8
; WaveLimiterHint : 0
; COMPUTE_PGM_RSRC2:SCRATCH_EN: 0
; COMPUTE_PGM_RSRC2:USER_SGPR: 6
; COMPUTE_PGM_RSRC2:TRAP_HANDLER: 0
; COMPUTE_PGM_RSRC2:TGID_X_EN: 1
; COMPUTE_PGM_RSRC2:TGID_Y_EN: 0
; COMPUTE_PGM_RSRC2:TGID_Z_EN: 0
; COMPUTE_PGM_RSRC2:TIDIG_COMP_CNT: 0
; COMPUTE_PGM_RSRC3_GFX90A:ACCUM_OFFSET: 0
; COMPUTE_PGM_RSRC3_GFX90A:TG_SPLIT: 0
	.section	.text._ZN7rocprim17ROCPRIM_400000_NS6detail17trampoline_kernelINS0_14default_configENS1_29binary_search_config_selectorIybEEZNS1_14transform_implILb0ES3_S5_N6thrust23THRUST_200600_302600_NS6detail15normal_iteratorINS8_10device_ptrIyEEEENSA_INSB_IbEEEEZNS1_13binary_searchIS3_S5_SD_SD_SF_NS1_16binary_search_opENS9_16wrapped_functionINS0_4lessIvEEbEEEE10hipError_tPvRmT1_T2_T3_mmT4_T5_P12ihipStream_tbEUlRKyE_EESM_SQ_SR_mSS_SV_bEUlT_E_NS1_11comp_targetILNS1_3genE8ELNS1_11target_archE1030ELNS1_3gpuE2ELNS1_3repE0EEENS1_30default_config_static_selectorELNS0_4arch9wavefront6targetE1EEEvSP_,"axG",@progbits,_ZN7rocprim17ROCPRIM_400000_NS6detail17trampoline_kernelINS0_14default_configENS1_29binary_search_config_selectorIybEEZNS1_14transform_implILb0ES3_S5_N6thrust23THRUST_200600_302600_NS6detail15normal_iteratorINS8_10device_ptrIyEEEENSA_INSB_IbEEEEZNS1_13binary_searchIS3_S5_SD_SD_SF_NS1_16binary_search_opENS9_16wrapped_functionINS0_4lessIvEEbEEEE10hipError_tPvRmT1_T2_T3_mmT4_T5_P12ihipStream_tbEUlRKyE_EESM_SQ_SR_mSS_SV_bEUlT_E_NS1_11comp_targetILNS1_3genE8ELNS1_11target_archE1030ELNS1_3gpuE2ELNS1_3repE0EEENS1_30default_config_static_selectorELNS0_4arch9wavefront6targetE1EEEvSP_,comdat
	.protected	_ZN7rocprim17ROCPRIM_400000_NS6detail17trampoline_kernelINS0_14default_configENS1_29binary_search_config_selectorIybEEZNS1_14transform_implILb0ES3_S5_N6thrust23THRUST_200600_302600_NS6detail15normal_iteratorINS8_10device_ptrIyEEEENSA_INSB_IbEEEEZNS1_13binary_searchIS3_S5_SD_SD_SF_NS1_16binary_search_opENS9_16wrapped_functionINS0_4lessIvEEbEEEE10hipError_tPvRmT1_T2_T3_mmT4_T5_P12ihipStream_tbEUlRKyE_EESM_SQ_SR_mSS_SV_bEUlT_E_NS1_11comp_targetILNS1_3genE8ELNS1_11target_archE1030ELNS1_3gpuE2ELNS1_3repE0EEENS1_30default_config_static_selectorELNS0_4arch9wavefront6targetE1EEEvSP_ ; -- Begin function _ZN7rocprim17ROCPRIM_400000_NS6detail17trampoline_kernelINS0_14default_configENS1_29binary_search_config_selectorIybEEZNS1_14transform_implILb0ES3_S5_N6thrust23THRUST_200600_302600_NS6detail15normal_iteratorINS8_10device_ptrIyEEEENSA_INSB_IbEEEEZNS1_13binary_searchIS3_S5_SD_SD_SF_NS1_16binary_search_opENS9_16wrapped_functionINS0_4lessIvEEbEEEE10hipError_tPvRmT1_T2_T3_mmT4_T5_P12ihipStream_tbEUlRKyE_EESM_SQ_SR_mSS_SV_bEUlT_E_NS1_11comp_targetILNS1_3genE8ELNS1_11target_archE1030ELNS1_3gpuE2ELNS1_3repE0EEENS1_30default_config_static_selectorELNS0_4arch9wavefront6targetE1EEEvSP_
	.globl	_ZN7rocprim17ROCPRIM_400000_NS6detail17trampoline_kernelINS0_14default_configENS1_29binary_search_config_selectorIybEEZNS1_14transform_implILb0ES3_S5_N6thrust23THRUST_200600_302600_NS6detail15normal_iteratorINS8_10device_ptrIyEEEENSA_INSB_IbEEEEZNS1_13binary_searchIS3_S5_SD_SD_SF_NS1_16binary_search_opENS9_16wrapped_functionINS0_4lessIvEEbEEEE10hipError_tPvRmT1_T2_T3_mmT4_T5_P12ihipStream_tbEUlRKyE_EESM_SQ_SR_mSS_SV_bEUlT_E_NS1_11comp_targetILNS1_3genE8ELNS1_11target_archE1030ELNS1_3gpuE2ELNS1_3repE0EEENS1_30default_config_static_selectorELNS0_4arch9wavefront6targetE1EEEvSP_
	.p2align	8
	.type	_ZN7rocprim17ROCPRIM_400000_NS6detail17trampoline_kernelINS0_14default_configENS1_29binary_search_config_selectorIybEEZNS1_14transform_implILb0ES3_S5_N6thrust23THRUST_200600_302600_NS6detail15normal_iteratorINS8_10device_ptrIyEEEENSA_INSB_IbEEEEZNS1_13binary_searchIS3_S5_SD_SD_SF_NS1_16binary_search_opENS9_16wrapped_functionINS0_4lessIvEEbEEEE10hipError_tPvRmT1_T2_T3_mmT4_T5_P12ihipStream_tbEUlRKyE_EESM_SQ_SR_mSS_SV_bEUlT_E_NS1_11comp_targetILNS1_3genE8ELNS1_11target_archE1030ELNS1_3gpuE2ELNS1_3repE0EEENS1_30default_config_static_selectorELNS0_4arch9wavefront6targetE1EEEvSP_,@function
_ZN7rocprim17ROCPRIM_400000_NS6detail17trampoline_kernelINS0_14default_configENS1_29binary_search_config_selectorIybEEZNS1_14transform_implILb0ES3_S5_N6thrust23THRUST_200600_302600_NS6detail15normal_iteratorINS8_10device_ptrIyEEEENSA_INSB_IbEEEEZNS1_13binary_searchIS3_S5_SD_SD_SF_NS1_16binary_search_opENS9_16wrapped_functionINS0_4lessIvEEbEEEE10hipError_tPvRmT1_T2_T3_mmT4_T5_P12ihipStream_tbEUlRKyE_EESM_SQ_SR_mSS_SV_bEUlT_E_NS1_11comp_targetILNS1_3genE8ELNS1_11target_archE1030ELNS1_3gpuE2ELNS1_3repE0EEENS1_30default_config_static_selectorELNS0_4arch9wavefront6targetE1EEEvSP_: ; @_ZN7rocprim17ROCPRIM_400000_NS6detail17trampoline_kernelINS0_14default_configENS1_29binary_search_config_selectorIybEEZNS1_14transform_implILb0ES3_S5_N6thrust23THRUST_200600_302600_NS6detail15normal_iteratorINS8_10device_ptrIyEEEENSA_INSB_IbEEEEZNS1_13binary_searchIS3_S5_SD_SD_SF_NS1_16binary_search_opENS9_16wrapped_functionINS0_4lessIvEEbEEEE10hipError_tPvRmT1_T2_T3_mmT4_T5_P12ihipStream_tbEUlRKyE_EESM_SQ_SR_mSS_SV_bEUlT_E_NS1_11comp_targetILNS1_3genE8ELNS1_11target_archE1030ELNS1_3gpuE2ELNS1_3repE0EEENS1_30default_config_static_selectorELNS0_4arch9wavefront6targetE1EEEvSP_
; %bb.0:
	.section	.rodata,"a",@progbits
	.p2align	6, 0x0
	.amdhsa_kernel _ZN7rocprim17ROCPRIM_400000_NS6detail17trampoline_kernelINS0_14default_configENS1_29binary_search_config_selectorIybEEZNS1_14transform_implILb0ES3_S5_N6thrust23THRUST_200600_302600_NS6detail15normal_iteratorINS8_10device_ptrIyEEEENSA_INSB_IbEEEEZNS1_13binary_searchIS3_S5_SD_SD_SF_NS1_16binary_search_opENS9_16wrapped_functionINS0_4lessIvEEbEEEE10hipError_tPvRmT1_T2_T3_mmT4_T5_P12ihipStream_tbEUlRKyE_EESM_SQ_SR_mSS_SV_bEUlT_E_NS1_11comp_targetILNS1_3genE8ELNS1_11target_archE1030ELNS1_3gpuE2ELNS1_3repE0EEENS1_30default_config_static_selectorELNS0_4arch9wavefront6targetE1EEEvSP_
		.amdhsa_group_segment_fixed_size 0
		.amdhsa_private_segment_fixed_size 0
		.amdhsa_kernarg_size 56
		.amdhsa_user_sgpr_count 6
		.amdhsa_user_sgpr_private_segment_buffer 1
		.amdhsa_user_sgpr_dispatch_ptr 0
		.amdhsa_user_sgpr_queue_ptr 0
		.amdhsa_user_sgpr_kernarg_segment_ptr 1
		.amdhsa_user_sgpr_dispatch_id 0
		.amdhsa_user_sgpr_flat_scratch_init 0
		.amdhsa_user_sgpr_kernarg_preload_length 0
		.amdhsa_user_sgpr_kernarg_preload_offset 0
		.amdhsa_user_sgpr_private_segment_size 0
		.amdhsa_uses_dynamic_stack 0
		.amdhsa_system_sgpr_private_segment_wavefront_offset 0
		.amdhsa_system_sgpr_workgroup_id_x 1
		.amdhsa_system_sgpr_workgroup_id_y 0
		.amdhsa_system_sgpr_workgroup_id_z 0
		.amdhsa_system_sgpr_workgroup_info 0
		.amdhsa_system_vgpr_workitem_id 0
		.amdhsa_next_free_vgpr 1
		.amdhsa_next_free_sgpr 0
		.amdhsa_accum_offset 4
		.amdhsa_reserve_vcc 0
		.amdhsa_reserve_flat_scratch 0
		.amdhsa_float_round_mode_32 0
		.amdhsa_float_round_mode_16_64 0
		.amdhsa_float_denorm_mode_32 3
		.amdhsa_float_denorm_mode_16_64 3
		.amdhsa_dx10_clamp 1
		.amdhsa_ieee_mode 1
		.amdhsa_fp16_overflow 0
		.amdhsa_tg_split 0
		.amdhsa_exception_fp_ieee_invalid_op 0
		.amdhsa_exception_fp_denorm_src 0
		.amdhsa_exception_fp_ieee_div_zero 0
		.amdhsa_exception_fp_ieee_overflow 0
		.amdhsa_exception_fp_ieee_underflow 0
		.amdhsa_exception_fp_ieee_inexact 0
		.amdhsa_exception_int_div_zero 0
	.end_amdhsa_kernel
	.section	.text._ZN7rocprim17ROCPRIM_400000_NS6detail17trampoline_kernelINS0_14default_configENS1_29binary_search_config_selectorIybEEZNS1_14transform_implILb0ES3_S5_N6thrust23THRUST_200600_302600_NS6detail15normal_iteratorINS8_10device_ptrIyEEEENSA_INSB_IbEEEEZNS1_13binary_searchIS3_S5_SD_SD_SF_NS1_16binary_search_opENS9_16wrapped_functionINS0_4lessIvEEbEEEE10hipError_tPvRmT1_T2_T3_mmT4_T5_P12ihipStream_tbEUlRKyE_EESM_SQ_SR_mSS_SV_bEUlT_E_NS1_11comp_targetILNS1_3genE8ELNS1_11target_archE1030ELNS1_3gpuE2ELNS1_3repE0EEENS1_30default_config_static_selectorELNS0_4arch9wavefront6targetE1EEEvSP_,"axG",@progbits,_ZN7rocprim17ROCPRIM_400000_NS6detail17trampoline_kernelINS0_14default_configENS1_29binary_search_config_selectorIybEEZNS1_14transform_implILb0ES3_S5_N6thrust23THRUST_200600_302600_NS6detail15normal_iteratorINS8_10device_ptrIyEEEENSA_INSB_IbEEEEZNS1_13binary_searchIS3_S5_SD_SD_SF_NS1_16binary_search_opENS9_16wrapped_functionINS0_4lessIvEEbEEEE10hipError_tPvRmT1_T2_T3_mmT4_T5_P12ihipStream_tbEUlRKyE_EESM_SQ_SR_mSS_SV_bEUlT_E_NS1_11comp_targetILNS1_3genE8ELNS1_11target_archE1030ELNS1_3gpuE2ELNS1_3repE0EEENS1_30default_config_static_selectorELNS0_4arch9wavefront6targetE1EEEvSP_,comdat
.Lfunc_end446:
	.size	_ZN7rocprim17ROCPRIM_400000_NS6detail17trampoline_kernelINS0_14default_configENS1_29binary_search_config_selectorIybEEZNS1_14transform_implILb0ES3_S5_N6thrust23THRUST_200600_302600_NS6detail15normal_iteratorINS8_10device_ptrIyEEEENSA_INSB_IbEEEEZNS1_13binary_searchIS3_S5_SD_SD_SF_NS1_16binary_search_opENS9_16wrapped_functionINS0_4lessIvEEbEEEE10hipError_tPvRmT1_T2_T3_mmT4_T5_P12ihipStream_tbEUlRKyE_EESM_SQ_SR_mSS_SV_bEUlT_E_NS1_11comp_targetILNS1_3genE8ELNS1_11target_archE1030ELNS1_3gpuE2ELNS1_3repE0EEENS1_30default_config_static_selectorELNS0_4arch9wavefront6targetE1EEEvSP_, .Lfunc_end446-_ZN7rocprim17ROCPRIM_400000_NS6detail17trampoline_kernelINS0_14default_configENS1_29binary_search_config_selectorIybEEZNS1_14transform_implILb0ES3_S5_N6thrust23THRUST_200600_302600_NS6detail15normal_iteratorINS8_10device_ptrIyEEEENSA_INSB_IbEEEEZNS1_13binary_searchIS3_S5_SD_SD_SF_NS1_16binary_search_opENS9_16wrapped_functionINS0_4lessIvEEbEEEE10hipError_tPvRmT1_T2_T3_mmT4_T5_P12ihipStream_tbEUlRKyE_EESM_SQ_SR_mSS_SV_bEUlT_E_NS1_11comp_targetILNS1_3genE8ELNS1_11target_archE1030ELNS1_3gpuE2ELNS1_3repE0EEENS1_30default_config_static_selectorELNS0_4arch9wavefront6targetE1EEEvSP_
                                        ; -- End function
	.section	.AMDGPU.csdata,"",@progbits
; Kernel info:
; codeLenInByte = 0
; NumSgprs: 4
; NumVgprs: 0
; NumAgprs: 0
; TotalNumVgprs: 0
; ScratchSize: 0
; MemoryBound: 0
; FloatMode: 240
; IeeeMode: 1
; LDSByteSize: 0 bytes/workgroup (compile time only)
; SGPRBlocks: 0
; VGPRBlocks: 0
; NumSGPRsForWavesPerEU: 4
; NumVGPRsForWavesPerEU: 1
; AccumOffset: 4
; Occupancy: 8
; WaveLimiterHint : 0
; COMPUTE_PGM_RSRC2:SCRATCH_EN: 0
; COMPUTE_PGM_RSRC2:USER_SGPR: 6
; COMPUTE_PGM_RSRC2:TRAP_HANDLER: 0
; COMPUTE_PGM_RSRC2:TGID_X_EN: 1
; COMPUTE_PGM_RSRC2:TGID_Y_EN: 0
; COMPUTE_PGM_RSRC2:TGID_Z_EN: 0
; COMPUTE_PGM_RSRC2:TIDIG_COMP_CNT: 0
; COMPUTE_PGM_RSRC3_GFX90A:ACCUM_OFFSET: 0
; COMPUTE_PGM_RSRC3_GFX90A:TG_SPLIT: 0
	.section	.text._ZN7rocprim17ROCPRIM_400000_NS6detail17trampoline_kernelINS0_14default_configENS1_29binary_search_config_selectorIyiEEZNS1_14transform_implILb0ES3_S5_N6thrust23THRUST_200600_302600_NS6detail15normal_iteratorINS8_10device_ptrIyEEEENSA_INSB_IiEEEEZNS1_13binary_searchIS3_S5_SD_SD_SF_NS1_16binary_search_opENS9_16wrapped_functionINS0_4lessIvEEbEEEE10hipError_tPvRmT1_T2_T3_mmT4_T5_P12ihipStream_tbEUlRKyE_EESM_SQ_SR_mSS_SV_bEUlT_E_NS1_11comp_targetILNS1_3genE0ELNS1_11target_archE4294967295ELNS1_3gpuE0ELNS1_3repE0EEENS1_30default_config_static_selectorELNS0_4arch9wavefront6targetE1EEEvSP_,"axG",@progbits,_ZN7rocprim17ROCPRIM_400000_NS6detail17trampoline_kernelINS0_14default_configENS1_29binary_search_config_selectorIyiEEZNS1_14transform_implILb0ES3_S5_N6thrust23THRUST_200600_302600_NS6detail15normal_iteratorINS8_10device_ptrIyEEEENSA_INSB_IiEEEEZNS1_13binary_searchIS3_S5_SD_SD_SF_NS1_16binary_search_opENS9_16wrapped_functionINS0_4lessIvEEbEEEE10hipError_tPvRmT1_T2_T3_mmT4_T5_P12ihipStream_tbEUlRKyE_EESM_SQ_SR_mSS_SV_bEUlT_E_NS1_11comp_targetILNS1_3genE0ELNS1_11target_archE4294967295ELNS1_3gpuE0ELNS1_3repE0EEENS1_30default_config_static_selectorELNS0_4arch9wavefront6targetE1EEEvSP_,comdat
	.protected	_ZN7rocprim17ROCPRIM_400000_NS6detail17trampoline_kernelINS0_14default_configENS1_29binary_search_config_selectorIyiEEZNS1_14transform_implILb0ES3_S5_N6thrust23THRUST_200600_302600_NS6detail15normal_iteratorINS8_10device_ptrIyEEEENSA_INSB_IiEEEEZNS1_13binary_searchIS3_S5_SD_SD_SF_NS1_16binary_search_opENS9_16wrapped_functionINS0_4lessIvEEbEEEE10hipError_tPvRmT1_T2_T3_mmT4_T5_P12ihipStream_tbEUlRKyE_EESM_SQ_SR_mSS_SV_bEUlT_E_NS1_11comp_targetILNS1_3genE0ELNS1_11target_archE4294967295ELNS1_3gpuE0ELNS1_3repE0EEENS1_30default_config_static_selectorELNS0_4arch9wavefront6targetE1EEEvSP_ ; -- Begin function _ZN7rocprim17ROCPRIM_400000_NS6detail17trampoline_kernelINS0_14default_configENS1_29binary_search_config_selectorIyiEEZNS1_14transform_implILb0ES3_S5_N6thrust23THRUST_200600_302600_NS6detail15normal_iteratorINS8_10device_ptrIyEEEENSA_INSB_IiEEEEZNS1_13binary_searchIS3_S5_SD_SD_SF_NS1_16binary_search_opENS9_16wrapped_functionINS0_4lessIvEEbEEEE10hipError_tPvRmT1_T2_T3_mmT4_T5_P12ihipStream_tbEUlRKyE_EESM_SQ_SR_mSS_SV_bEUlT_E_NS1_11comp_targetILNS1_3genE0ELNS1_11target_archE4294967295ELNS1_3gpuE0ELNS1_3repE0EEENS1_30default_config_static_selectorELNS0_4arch9wavefront6targetE1EEEvSP_
	.globl	_ZN7rocprim17ROCPRIM_400000_NS6detail17trampoline_kernelINS0_14default_configENS1_29binary_search_config_selectorIyiEEZNS1_14transform_implILb0ES3_S5_N6thrust23THRUST_200600_302600_NS6detail15normal_iteratorINS8_10device_ptrIyEEEENSA_INSB_IiEEEEZNS1_13binary_searchIS3_S5_SD_SD_SF_NS1_16binary_search_opENS9_16wrapped_functionINS0_4lessIvEEbEEEE10hipError_tPvRmT1_T2_T3_mmT4_T5_P12ihipStream_tbEUlRKyE_EESM_SQ_SR_mSS_SV_bEUlT_E_NS1_11comp_targetILNS1_3genE0ELNS1_11target_archE4294967295ELNS1_3gpuE0ELNS1_3repE0EEENS1_30default_config_static_selectorELNS0_4arch9wavefront6targetE1EEEvSP_
	.p2align	8
	.type	_ZN7rocprim17ROCPRIM_400000_NS6detail17trampoline_kernelINS0_14default_configENS1_29binary_search_config_selectorIyiEEZNS1_14transform_implILb0ES3_S5_N6thrust23THRUST_200600_302600_NS6detail15normal_iteratorINS8_10device_ptrIyEEEENSA_INSB_IiEEEEZNS1_13binary_searchIS3_S5_SD_SD_SF_NS1_16binary_search_opENS9_16wrapped_functionINS0_4lessIvEEbEEEE10hipError_tPvRmT1_T2_T3_mmT4_T5_P12ihipStream_tbEUlRKyE_EESM_SQ_SR_mSS_SV_bEUlT_E_NS1_11comp_targetILNS1_3genE0ELNS1_11target_archE4294967295ELNS1_3gpuE0ELNS1_3repE0EEENS1_30default_config_static_selectorELNS0_4arch9wavefront6targetE1EEEvSP_,@function
_ZN7rocprim17ROCPRIM_400000_NS6detail17trampoline_kernelINS0_14default_configENS1_29binary_search_config_selectorIyiEEZNS1_14transform_implILb0ES3_S5_N6thrust23THRUST_200600_302600_NS6detail15normal_iteratorINS8_10device_ptrIyEEEENSA_INSB_IiEEEEZNS1_13binary_searchIS3_S5_SD_SD_SF_NS1_16binary_search_opENS9_16wrapped_functionINS0_4lessIvEEbEEEE10hipError_tPvRmT1_T2_T3_mmT4_T5_P12ihipStream_tbEUlRKyE_EESM_SQ_SR_mSS_SV_bEUlT_E_NS1_11comp_targetILNS1_3genE0ELNS1_11target_archE4294967295ELNS1_3gpuE0ELNS1_3repE0EEENS1_30default_config_static_selectorELNS0_4arch9wavefront6targetE1EEEvSP_: ; @_ZN7rocprim17ROCPRIM_400000_NS6detail17trampoline_kernelINS0_14default_configENS1_29binary_search_config_selectorIyiEEZNS1_14transform_implILb0ES3_S5_N6thrust23THRUST_200600_302600_NS6detail15normal_iteratorINS8_10device_ptrIyEEEENSA_INSB_IiEEEEZNS1_13binary_searchIS3_S5_SD_SD_SF_NS1_16binary_search_opENS9_16wrapped_functionINS0_4lessIvEEbEEEE10hipError_tPvRmT1_T2_T3_mmT4_T5_P12ihipStream_tbEUlRKyE_EESM_SQ_SR_mSS_SV_bEUlT_E_NS1_11comp_targetILNS1_3genE0ELNS1_11target_archE4294967295ELNS1_3gpuE0ELNS1_3repE0EEENS1_30default_config_static_selectorELNS0_4arch9wavefront6targetE1EEEvSP_
; %bb.0:
	.section	.rodata,"a",@progbits
	.p2align	6, 0x0
	.amdhsa_kernel _ZN7rocprim17ROCPRIM_400000_NS6detail17trampoline_kernelINS0_14default_configENS1_29binary_search_config_selectorIyiEEZNS1_14transform_implILb0ES3_S5_N6thrust23THRUST_200600_302600_NS6detail15normal_iteratorINS8_10device_ptrIyEEEENSA_INSB_IiEEEEZNS1_13binary_searchIS3_S5_SD_SD_SF_NS1_16binary_search_opENS9_16wrapped_functionINS0_4lessIvEEbEEEE10hipError_tPvRmT1_T2_T3_mmT4_T5_P12ihipStream_tbEUlRKyE_EESM_SQ_SR_mSS_SV_bEUlT_E_NS1_11comp_targetILNS1_3genE0ELNS1_11target_archE4294967295ELNS1_3gpuE0ELNS1_3repE0EEENS1_30default_config_static_selectorELNS0_4arch9wavefront6targetE1EEEvSP_
		.amdhsa_group_segment_fixed_size 0
		.amdhsa_private_segment_fixed_size 0
		.amdhsa_kernarg_size 56
		.amdhsa_user_sgpr_count 6
		.amdhsa_user_sgpr_private_segment_buffer 1
		.amdhsa_user_sgpr_dispatch_ptr 0
		.amdhsa_user_sgpr_queue_ptr 0
		.amdhsa_user_sgpr_kernarg_segment_ptr 1
		.amdhsa_user_sgpr_dispatch_id 0
		.amdhsa_user_sgpr_flat_scratch_init 0
		.amdhsa_user_sgpr_kernarg_preload_length 0
		.amdhsa_user_sgpr_kernarg_preload_offset 0
		.amdhsa_user_sgpr_private_segment_size 0
		.amdhsa_uses_dynamic_stack 0
		.amdhsa_system_sgpr_private_segment_wavefront_offset 0
		.amdhsa_system_sgpr_workgroup_id_x 1
		.amdhsa_system_sgpr_workgroup_id_y 0
		.amdhsa_system_sgpr_workgroup_id_z 0
		.amdhsa_system_sgpr_workgroup_info 0
		.amdhsa_system_vgpr_workitem_id 0
		.amdhsa_next_free_vgpr 1
		.amdhsa_next_free_sgpr 0
		.amdhsa_accum_offset 4
		.amdhsa_reserve_vcc 0
		.amdhsa_reserve_flat_scratch 0
		.amdhsa_float_round_mode_32 0
		.amdhsa_float_round_mode_16_64 0
		.amdhsa_float_denorm_mode_32 3
		.amdhsa_float_denorm_mode_16_64 3
		.amdhsa_dx10_clamp 1
		.amdhsa_ieee_mode 1
		.amdhsa_fp16_overflow 0
		.amdhsa_tg_split 0
		.amdhsa_exception_fp_ieee_invalid_op 0
		.amdhsa_exception_fp_denorm_src 0
		.amdhsa_exception_fp_ieee_div_zero 0
		.amdhsa_exception_fp_ieee_overflow 0
		.amdhsa_exception_fp_ieee_underflow 0
		.amdhsa_exception_fp_ieee_inexact 0
		.amdhsa_exception_int_div_zero 0
	.end_amdhsa_kernel
	.section	.text._ZN7rocprim17ROCPRIM_400000_NS6detail17trampoline_kernelINS0_14default_configENS1_29binary_search_config_selectorIyiEEZNS1_14transform_implILb0ES3_S5_N6thrust23THRUST_200600_302600_NS6detail15normal_iteratorINS8_10device_ptrIyEEEENSA_INSB_IiEEEEZNS1_13binary_searchIS3_S5_SD_SD_SF_NS1_16binary_search_opENS9_16wrapped_functionINS0_4lessIvEEbEEEE10hipError_tPvRmT1_T2_T3_mmT4_T5_P12ihipStream_tbEUlRKyE_EESM_SQ_SR_mSS_SV_bEUlT_E_NS1_11comp_targetILNS1_3genE0ELNS1_11target_archE4294967295ELNS1_3gpuE0ELNS1_3repE0EEENS1_30default_config_static_selectorELNS0_4arch9wavefront6targetE1EEEvSP_,"axG",@progbits,_ZN7rocprim17ROCPRIM_400000_NS6detail17trampoline_kernelINS0_14default_configENS1_29binary_search_config_selectorIyiEEZNS1_14transform_implILb0ES3_S5_N6thrust23THRUST_200600_302600_NS6detail15normal_iteratorINS8_10device_ptrIyEEEENSA_INSB_IiEEEEZNS1_13binary_searchIS3_S5_SD_SD_SF_NS1_16binary_search_opENS9_16wrapped_functionINS0_4lessIvEEbEEEE10hipError_tPvRmT1_T2_T3_mmT4_T5_P12ihipStream_tbEUlRKyE_EESM_SQ_SR_mSS_SV_bEUlT_E_NS1_11comp_targetILNS1_3genE0ELNS1_11target_archE4294967295ELNS1_3gpuE0ELNS1_3repE0EEENS1_30default_config_static_selectorELNS0_4arch9wavefront6targetE1EEEvSP_,comdat
.Lfunc_end447:
	.size	_ZN7rocprim17ROCPRIM_400000_NS6detail17trampoline_kernelINS0_14default_configENS1_29binary_search_config_selectorIyiEEZNS1_14transform_implILb0ES3_S5_N6thrust23THRUST_200600_302600_NS6detail15normal_iteratorINS8_10device_ptrIyEEEENSA_INSB_IiEEEEZNS1_13binary_searchIS3_S5_SD_SD_SF_NS1_16binary_search_opENS9_16wrapped_functionINS0_4lessIvEEbEEEE10hipError_tPvRmT1_T2_T3_mmT4_T5_P12ihipStream_tbEUlRKyE_EESM_SQ_SR_mSS_SV_bEUlT_E_NS1_11comp_targetILNS1_3genE0ELNS1_11target_archE4294967295ELNS1_3gpuE0ELNS1_3repE0EEENS1_30default_config_static_selectorELNS0_4arch9wavefront6targetE1EEEvSP_, .Lfunc_end447-_ZN7rocprim17ROCPRIM_400000_NS6detail17trampoline_kernelINS0_14default_configENS1_29binary_search_config_selectorIyiEEZNS1_14transform_implILb0ES3_S5_N6thrust23THRUST_200600_302600_NS6detail15normal_iteratorINS8_10device_ptrIyEEEENSA_INSB_IiEEEEZNS1_13binary_searchIS3_S5_SD_SD_SF_NS1_16binary_search_opENS9_16wrapped_functionINS0_4lessIvEEbEEEE10hipError_tPvRmT1_T2_T3_mmT4_T5_P12ihipStream_tbEUlRKyE_EESM_SQ_SR_mSS_SV_bEUlT_E_NS1_11comp_targetILNS1_3genE0ELNS1_11target_archE4294967295ELNS1_3gpuE0ELNS1_3repE0EEENS1_30default_config_static_selectorELNS0_4arch9wavefront6targetE1EEEvSP_
                                        ; -- End function
	.section	.AMDGPU.csdata,"",@progbits
; Kernel info:
; codeLenInByte = 0
; NumSgprs: 4
; NumVgprs: 0
; NumAgprs: 0
; TotalNumVgprs: 0
; ScratchSize: 0
; MemoryBound: 0
; FloatMode: 240
; IeeeMode: 1
; LDSByteSize: 0 bytes/workgroup (compile time only)
; SGPRBlocks: 0
; VGPRBlocks: 0
; NumSGPRsForWavesPerEU: 4
; NumVGPRsForWavesPerEU: 1
; AccumOffset: 4
; Occupancy: 8
; WaveLimiterHint : 0
; COMPUTE_PGM_RSRC2:SCRATCH_EN: 0
; COMPUTE_PGM_RSRC2:USER_SGPR: 6
; COMPUTE_PGM_RSRC2:TRAP_HANDLER: 0
; COMPUTE_PGM_RSRC2:TGID_X_EN: 1
; COMPUTE_PGM_RSRC2:TGID_Y_EN: 0
; COMPUTE_PGM_RSRC2:TGID_Z_EN: 0
; COMPUTE_PGM_RSRC2:TIDIG_COMP_CNT: 0
; COMPUTE_PGM_RSRC3_GFX90A:ACCUM_OFFSET: 0
; COMPUTE_PGM_RSRC3_GFX90A:TG_SPLIT: 0
	.section	.text._ZN7rocprim17ROCPRIM_400000_NS6detail17trampoline_kernelINS0_14default_configENS1_29binary_search_config_selectorIyiEEZNS1_14transform_implILb0ES3_S5_N6thrust23THRUST_200600_302600_NS6detail15normal_iteratorINS8_10device_ptrIyEEEENSA_INSB_IiEEEEZNS1_13binary_searchIS3_S5_SD_SD_SF_NS1_16binary_search_opENS9_16wrapped_functionINS0_4lessIvEEbEEEE10hipError_tPvRmT1_T2_T3_mmT4_T5_P12ihipStream_tbEUlRKyE_EESM_SQ_SR_mSS_SV_bEUlT_E_NS1_11comp_targetILNS1_3genE5ELNS1_11target_archE942ELNS1_3gpuE9ELNS1_3repE0EEENS1_30default_config_static_selectorELNS0_4arch9wavefront6targetE1EEEvSP_,"axG",@progbits,_ZN7rocprim17ROCPRIM_400000_NS6detail17trampoline_kernelINS0_14default_configENS1_29binary_search_config_selectorIyiEEZNS1_14transform_implILb0ES3_S5_N6thrust23THRUST_200600_302600_NS6detail15normal_iteratorINS8_10device_ptrIyEEEENSA_INSB_IiEEEEZNS1_13binary_searchIS3_S5_SD_SD_SF_NS1_16binary_search_opENS9_16wrapped_functionINS0_4lessIvEEbEEEE10hipError_tPvRmT1_T2_T3_mmT4_T5_P12ihipStream_tbEUlRKyE_EESM_SQ_SR_mSS_SV_bEUlT_E_NS1_11comp_targetILNS1_3genE5ELNS1_11target_archE942ELNS1_3gpuE9ELNS1_3repE0EEENS1_30default_config_static_selectorELNS0_4arch9wavefront6targetE1EEEvSP_,comdat
	.protected	_ZN7rocprim17ROCPRIM_400000_NS6detail17trampoline_kernelINS0_14default_configENS1_29binary_search_config_selectorIyiEEZNS1_14transform_implILb0ES3_S5_N6thrust23THRUST_200600_302600_NS6detail15normal_iteratorINS8_10device_ptrIyEEEENSA_INSB_IiEEEEZNS1_13binary_searchIS3_S5_SD_SD_SF_NS1_16binary_search_opENS9_16wrapped_functionINS0_4lessIvEEbEEEE10hipError_tPvRmT1_T2_T3_mmT4_T5_P12ihipStream_tbEUlRKyE_EESM_SQ_SR_mSS_SV_bEUlT_E_NS1_11comp_targetILNS1_3genE5ELNS1_11target_archE942ELNS1_3gpuE9ELNS1_3repE0EEENS1_30default_config_static_selectorELNS0_4arch9wavefront6targetE1EEEvSP_ ; -- Begin function _ZN7rocprim17ROCPRIM_400000_NS6detail17trampoline_kernelINS0_14default_configENS1_29binary_search_config_selectorIyiEEZNS1_14transform_implILb0ES3_S5_N6thrust23THRUST_200600_302600_NS6detail15normal_iteratorINS8_10device_ptrIyEEEENSA_INSB_IiEEEEZNS1_13binary_searchIS3_S5_SD_SD_SF_NS1_16binary_search_opENS9_16wrapped_functionINS0_4lessIvEEbEEEE10hipError_tPvRmT1_T2_T3_mmT4_T5_P12ihipStream_tbEUlRKyE_EESM_SQ_SR_mSS_SV_bEUlT_E_NS1_11comp_targetILNS1_3genE5ELNS1_11target_archE942ELNS1_3gpuE9ELNS1_3repE0EEENS1_30default_config_static_selectorELNS0_4arch9wavefront6targetE1EEEvSP_
	.globl	_ZN7rocprim17ROCPRIM_400000_NS6detail17trampoline_kernelINS0_14default_configENS1_29binary_search_config_selectorIyiEEZNS1_14transform_implILb0ES3_S5_N6thrust23THRUST_200600_302600_NS6detail15normal_iteratorINS8_10device_ptrIyEEEENSA_INSB_IiEEEEZNS1_13binary_searchIS3_S5_SD_SD_SF_NS1_16binary_search_opENS9_16wrapped_functionINS0_4lessIvEEbEEEE10hipError_tPvRmT1_T2_T3_mmT4_T5_P12ihipStream_tbEUlRKyE_EESM_SQ_SR_mSS_SV_bEUlT_E_NS1_11comp_targetILNS1_3genE5ELNS1_11target_archE942ELNS1_3gpuE9ELNS1_3repE0EEENS1_30default_config_static_selectorELNS0_4arch9wavefront6targetE1EEEvSP_
	.p2align	8
	.type	_ZN7rocprim17ROCPRIM_400000_NS6detail17trampoline_kernelINS0_14default_configENS1_29binary_search_config_selectorIyiEEZNS1_14transform_implILb0ES3_S5_N6thrust23THRUST_200600_302600_NS6detail15normal_iteratorINS8_10device_ptrIyEEEENSA_INSB_IiEEEEZNS1_13binary_searchIS3_S5_SD_SD_SF_NS1_16binary_search_opENS9_16wrapped_functionINS0_4lessIvEEbEEEE10hipError_tPvRmT1_T2_T3_mmT4_T5_P12ihipStream_tbEUlRKyE_EESM_SQ_SR_mSS_SV_bEUlT_E_NS1_11comp_targetILNS1_3genE5ELNS1_11target_archE942ELNS1_3gpuE9ELNS1_3repE0EEENS1_30default_config_static_selectorELNS0_4arch9wavefront6targetE1EEEvSP_,@function
_ZN7rocprim17ROCPRIM_400000_NS6detail17trampoline_kernelINS0_14default_configENS1_29binary_search_config_selectorIyiEEZNS1_14transform_implILb0ES3_S5_N6thrust23THRUST_200600_302600_NS6detail15normal_iteratorINS8_10device_ptrIyEEEENSA_INSB_IiEEEEZNS1_13binary_searchIS3_S5_SD_SD_SF_NS1_16binary_search_opENS9_16wrapped_functionINS0_4lessIvEEbEEEE10hipError_tPvRmT1_T2_T3_mmT4_T5_P12ihipStream_tbEUlRKyE_EESM_SQ_SR_mSS_SV_bEUlT_E_NS1_11comp_targetILNS1_3genE5ELNS1_11target_archE942ELNS1_3gpuE9ELNS1_3repE0EEENS1_30default_config_static_selectorELNS0_4arch9wavefront6targetE1EEEvSP_: ; @_ZN7rocprim17ROCPRIM_400000_NS6detail17trampoline_kernelINS0_14default_configENS1_29binary_search_config_selectorIyiEEZNS1_14transform_implILb0ES3_S5_N6thrust23THRUST_200600_302600_NS6detail15normal_iteratorINS8_10device_ptrIyEEEENSA_INSB_IiEEEEZNS1_13binary_searchIS3_S5_SD_SD_SF_NS1_16binary_search_opENS9_16wrapped_functionINS0_4lessIvEEbEEEE10hipError_tPvRmT1_T2_T3_mmT4_T5_P12ihipStream_tbEUlRKyE_EESM_SQ_SR_mSS_SV_bEUlT_E_NS1_11comp_targetILNS1_3genE5ELNS1_11target_archE942ELNS1_3gpuE9ELNS1_3repE0EEENS1_30default_config_static_selectorELNS0_4arch9wavefront6targetE1EEEvSP_
; %bb.0:
	.section	.rodata,"a",@progbits
	.p2align	6, 0x0
	.amdhsa_kernel _ZN7rocprim17ROCPRIM_400000_NS6detail17trampoline_kernelINS0_14default_configENS1_29binary_search_config_selectorIyiEEZNS1_14transform_implILb0ES3_S5_N6thrust23THRUST_200600_302600_NS6detail15normal_iteratorINS8_10device_ptrIyEEEENSA_INSB_IiEEEEZNS1_13binary_searchIS3_S5_SD_SD_SF_NS1_16binary_search_opENS9_16wrapped_functionINS0_4lessIvEEbEEEE10hipError_tPvRmT1_T2_T3_mmT4_T5_P12ihipStream_tbEUlRKyE_EESM_SQ_SR_mSS_SV_bEUlT_E_NS1_11comp_targetILNS1_3genE5ELNS1_11target_archE942ELNS1_3gpuE9ELNS1_3repE0EEENS1_30default_config_static_selectorELNS0_4arch9wavefront6targetE1EEEvSP_
		.amdhsa_group_segment_fixed_size 0
		.amdhsa_private_segment_fixed_size 0
		.amdhsa_kernarg_size 56
		.amdhsa_user_sgpr_count 6
		.amdhsa_user_sgpr_private_segment_buffer 1
		.amdhsa_user_sgpr_dispatch_ptr 0
		.amdhsa_user_sgpr_queue_ptr 0
		.amdhsa_user_sgpr_kernarg_segment_ptr 1
		.amdhsa_user_sgpr_dispatch_id 0
		.amdhsa_user_sgpr_flat_scratch_init 0
		.amdhsa_user_sgpr_kernarg_preload_length 0
		.amdhsa_user_sgpr_kernarg_preload_offset 0
		.amdhsa_user_sgpr_private_segment_size 0
		.amdhsa_uses_dynamic_stack 0
		.amdhsa_system_sgpr_private_segment_wavefront_offset 0
		.amdhsa_system_sgpr_workgroup_id_x 1
		.amdhsa_system_sgpr_workgroup_id_y 0
		.amdhsa_system_sgpr_workgroup_id_z 0
		.amdhsa_system_sgpr_workgroup_info 0
		.amdhsa_system_vgpr_workitem_id 0
		.amdhsa_next_free_vgpr 1
		.amdhsa_next_free_sgpr 0
		.amdhsa_accum_offset 4
		.amdhsa_reserve_vcc 0
		.amdhsa_reserve_flat_scratch 0
		.amdhsa_float_round_mode_32 0
		.amdhsa_float_round_mode_16_64 0
		.amdhsa_float_denorm_mode_32 3
		.amdhsa_float_denorm_mode_16_64 3
		.amdhsa_dx10_clamp 1
		.amdhsa_ieee_mode 1
		.amdhsa_fp16_overflow 0
		.amdhsa_tg_split 0
		.amdhsa_exception_fp_ieee_invalid_op 0
		.amdhsa_exception_fp_denorm_src 0
		.amdhsa_exception_fp_ieee_div_zero 0
		.amdhsa_exception_fp_ieee_overflow 0
		.amdhsa_exception_fp_ieee_underflow 0
		.amdhsa_exception_fp_ieee_inexact 0
		.amdhsa_exception_int_div_zero 0
	.end_amdhsa_kernel
	.section	.text._ZN7rocprim17ROCPRIM_400000_NS6detail17trampoline_kernelINS0_14default_configENS1_29binary_search_config_selectorIyiEEZNS1_14transform_implILb0ES3_S5_N6thrust23THRUST_200600_302600_NS6detail15normal_iteratorINS8_10device_ptrIyEEEENSA_INSB_IiEEEEZNS1_13binary_searchIS3_S5_SD_SD_SF_NS1_16binary_search_opENS9_16wrapped_functionINS0_4lessIvEEbEEEE10hipError_tPvRmT1_T2_T3_mmT4_T5_P12ihipStream_tbEUlRKyE_EESM_SQ_SR_mSS_SV_bEUlT_E_NS1_11comp_targetILNS1_3genE5ELNS1_11target_archE942ELNS1_3gpuE9ELNS1_3repE0EEENS1_30default_config_static_selectorELNS0_4arch9wavefront6targetE1EEEvSP_,"axG",@progbits,_ZN7rocprim17ROCPRIM_400000_NS6detail17trampoline_kernelINS0_14default_configENS1_29binary_search_config_selectorIyiEEZNS1_14transform_implILb0ES3_S5_N6thrust23THRUST_200600_302600_NS6detail15normal_iteratorINS8_10device_ptrIyEEEENSA_INSB_IiEEEEZNS1_13binary_searchIS3_S5_SD_SD_SF_NS1_16binary_search_opENS9_16wrapped_functionINS0_4lessIvEEbEEEE10hipError_tPvRmT1_T2_T3_mmT4_T5_P12ihipStream_tbEUlRKyE_EESM_SQ_SR_mSS_SV_bEUlT_E_NS1_11comp_targetILNS1_3genE5ELNS1_11target_archE942ELNS1_3gpuE9ELNS1_3repE0EEENS1_30default_config_static_selectorELNS0_4arch9wavefront6targetE1EEEvSP_,comdat
.Lfunc_end448:
	.size	_ZN7rocprim17ROCPRIM_400000_NS6detail17trampoline_kernelINS0_14default_configENS1_29binary_search_config_selectorIyiEEZNS1_14transform_implILb0ES3_S5_N6thrust23THRUST_200600_302600_NS6detail15normal_iteratorINS8_10device_ptrIyEEEENSA_INSB_IiEEEEZNS1_13binary_searchIS3_S5_SD_SD_SF_NS1_16binary_search_opENS9_16wrapped_functionINS0_4lessIvEEbEEEE10hipError_tPvRmT1_T2_T3_mmT4_T5_P12ihipStream_tbEUlRKyE_EESM_SQ_SR_mSS_SV_bEUlT_E_NS1_11comp_targetILNS1_3genE5ELNS1_11target_archE942ELNS1_3gpuE9ELNS1_3repE0EEENS1_30default_config_static_selectorELNS0_4arch9wavefront6targetE1EEEvSP_, .Lfunc_end448-_ZN7rocprim17ROCPRIM_400000_NS6detail17trampoline_kernelINS0_14default_configENS1_29binary_search_config_selectorIyiEEZNS1_14transform_implILb0ES3_S5_N6thrust23THRUST_200600_302600_NS6detail15normal_iteratorINS8_10device_ptrIyEEEENSA_INSB_IiEEEEZNS1_13binary_searchIS3_S5_SD_SD_SF_NS1_16binary_search_opENS9_16wrapped_functionINS0_4lessIvEEbEEEE10hipError_tPvRmT1_T2_T3_mmT4_T5_P12ihipStream_tbEUlRKyE_EESM_SQ_SR_mSS_SV_bEUlT_E_NS1_11comp_targetILNS1_3genE5ELNS1_11target_archE942ELNS1_3gpuE9ELNS1_3repE0EEENS1_30default_config_static_selectorELNS0_4arch9wavefront6targetE1EEEvSP_
                                        ; -- End function
	.section	.AMDGPU.csdata,"",@progbits
; Kernel info:
; codeLenInByte = 0
; NumSgprs: 4
; NumVgprs: 0
; NumAgprs: 0
; TotalNumVgprs: 0
; ScratchSize: 0
; MemoryBound: 0
; FloatMode: 240
; IeeeMode: 1
; LDSByteSize: 0 bytes/workgroup (compile time only)
; SGPRBlocks: 0
; VGPRBlocks: 0
; NumSGPRsForWavesPerEU: 4
; NumVGPRsForWavesPerEU: 1
; AccumOffset: 4
; Occupancy: 8
; WaveLimiterHint : 0
; COMPUTE_PGM_RSRC2:SCRATCH_EN: 0
; COMPUTE_PGM_RSRC2:USER_SGPR: 6
; COMPUTE_PGM_RSRC2:TRAP_HANDLER: 0
; COMPUTE_PGM_RSRC2:TGID_X_EN: 1
; COMPUTE_PGM_RSRC2:TGID_Y_EN: 0
; COMPUTE_PGM_RSRC2:TGID_Z_EN: 0
; COMPUTE_PGM_RSRC2:TIDIG_COMP_CNT: 0
; COMPUTE_PGM_RSRC3_GFX90A:ACCUM_OFFSET: 0
; COMPUTE_PGM_RSRC3_GFX90A:TG_SPLIT: 0
	.section	.text._ZN7rocprim17ROCPRIM_400000_NS6detail17trampoline_kernelINS0_14default_configENS1_29binary_search_config_selectorIyiEEZNS1_14transform_implILb0ES3_S5_N6thrust23THRUST_200600_302600_NS6detail15normal_iteratorINS8_10device_ptrIyEEEENSA_INSB_IiEEEEZNS1_13binary_searchIS3_S5_SD_SD_SF_NS1_16binary_search_opENS9_16wrapped_functionINS0_4lessIvEEbEEEE10hipError_tPvRmT1_T2_T3_mmT4_T5_P12ihipStream_tbEUlRKyE_EESM_SQ_SR_mSS_SV_bEUlT_E_NS1_11comp_targetILNS1_3genE4ELNS1_11target_archE910ELNS1_3gpuE8ELNS1_3repE0EEENS1_30default_config_static_selectorELNS0_4arch9wavefront6targetE1EEEvSP_,"axG",@progbits,_ZN7rocprim17ROCPRIM_400000_NS6detail17trampoline_kernelINS0_14default_configENS1_29binary_search_config_selectorIyiEEZNS1_14transform_implILb0ES3_S5_N6thrust23THRUST_200600_302600_NS6detail15normal_iteratorINS8_10device_ptrIyEEEENSA_INSB_IiEEEEZNS1_13binary_searchIS3_S5_SD_SD_SF_NS1_16binary_search_opENS9_16wrapped_functionINS0_4lessIvEEbEEEE10hipError_tPvRmT1_T2_T3_mmT4_T5_P12ihipStream_tbEUlRKyE_EESM_SQ_SR_mSS_SV_bEUlT_E_NS1_11comp_targetILNS1_3genE4ELNS1_11target_archE910ELNS1_3gpuE8ELNS1_3repE0EEENS1_30default_config_static_selectorELNS0_4arch9wavefront6targetE1EEEvSP_,comdat
	.protected	_ZN7rocprim17ROCPRIM_400000_NS6detail17trampoline_kernelINS0_14default_configENS1_29binary_search_config_selectorIyiEEZNS1_14transform_implILb0ES3_S5_N6thrust23THRUST_200600_302600_NS6detail15normal_iteratorINS8_10device_ptrIyEEEENSA_INSB_IiEEEEZNS1_13binary_searchIS3_S5_SD_SD_SF_NS1_16binary_search_opENS9_16wrapped_functionINS0_4lessIvEEbEEEE10hipError_tPvRmT1_T2_T3_mmT4_T5_P12ihipStream_tbEUlRKyE_EESM_SQ_SR_mSS_SV_bEUlT_E_NS1_11comp_targetILNS1_3genE4ELNS1_11target_archE910ELNS1_3gpuE8ELNS1_3repE0EEENS1_30default_config_static_selectorELNS0_4arch9wavefront6targetE1EEEvSP_ ; -- Begin function _ZN7rocprim17ROCPRIM_400000_NS6detail17trampoline_kernelINS0_14default_configENS1_29binary_search_config_selectorIyiEEZNS1_14transform_implILb0ES3_S5_N6thrust23THRUST_200600_302600_NS6detail15normal_iteratorINS8_10device_ptrIyEEEENSA_INSB_IiEEEEZNS1_13binary_searchIS3_S5_SD_SD_SF_NS1_16binary_search_opENS9_16wrapped_functionINS0_4lessIvEEbEEEE10hipError_tPvRmT1_T2_T3_mmT4_T5_P12ihipStream_tbEUlRKyE_EESM_SQ_SR_mSS_SV_bEUlT_E_NS1_11comp_targetILNS1_3genE4ELNS1_11target_archE910ELNS1_3gpuE8ELNS1_3repE0EEENS1_30default_config_static_selectorELNS0_4arch9wavefront6targetE1EEEvSP_
	.globl	_ZN7rocprim17ROCPRIM_400000_NS6detail17trampoline_kernelINS0_14default_configENS1_29binary_search_config_selectorIyiEEZNS1_14transform_implILb0ES3_S5_N6thrust23THRUST_200600_302600_NS6detail15normal_iteratorINS8_10device_ptrIyEEEENSA_INSB_IiEEEEZNS1_13binary_searchIS3_S5_SD_SD_SF_NS1_16binary_search_opENS9_16wrapped_functionINS0_4lessIvEEbEEEE10hipError_tPvRmT1_T2_T3_mmT4_T5_P12ihipStream_tbEUlRKyE_EESM_SQ_SR_mSS_SV_bEUlT_E_NS1_11comp_targetILNS1_3genE4ELNS1_11target_archE910ELNS1_3gpuE8ELNS1_3repE0EEENS1_30default_config_static_selectorELNS0_4arch9wavefront6targetE1EEEvSP_
	.p2align	8
	.type	_ZN7rocprim17ROCPRIM_400000_NS6detail17trampoline_kernelINS0_14default_configENS1_29binary_search_config_selectorIyiEEZNS1_14transform_implILb0ES3_S5_N6thrust23THRUST_200600_302600_NS6detail15normal_iteratorINS8_10device_ptrIyEEEENSA_INSB_IiEEEEZNS1_13binary_searchIS3_S5_SD_SD_SF_NS1_16binary_search_opENS9_16wrapped_functionINS0_4lessIvEEbEEEE10hipError_tPvRmT1_T2_T3_mmT4_T5_P12ihipStream_tbEUlRKyE_EESM_SQ_SR_mSS_SV_bEUlT_E_NS1_11comp_targetILNS1_3genE4ELNS1_11target_archE910ELNS1_3gpuE8ELNS1_3repE0EEENS1_30default_config_static_selectorELNS0_4arch9wavefront6targetE1EEEvSP_,@function
_ZN7rocprim17ROCPRIM_400000_NS6detail17trampoline_kernelINS0_14default_configENS1_29binary_search_config_selectorIyiEEZNS1_14transform_implILb0ES3_S5_N6thrust23THRUST_200600_302600_NS6detail15normal_iteratorINS8_10device_ptrIyEEEENSA_INSB_IiEEEEZNS1_13binary_searchIS3_S5_SD_SD_SF_NS1_16binary_search_opENS9_16wrapped_functionINS0_4lessIvEEbEEEE10hipError_tPvRmT1_T2_T3_mmT4_T5_P12ihipStream_tbEUlRKyE_EESM_SQ_SR_mSS_SV_bEUlT_E_NS1_11comp_targetILNS1_3genE4ELNS1_11target_archE910ELNS1_3gpuE8ELNS1_3repE0EEENS1_30default_config_static_selectorELNS0_4arch9wavefront6targetE1EEEvSP_: ; @_ZN7rocprim17ROCPRIM_400000_NS6detail17trampoline_kernelINS0_14default_configENS1_29binary_search_config_selectorIyiEEZNS1_14transform_implILb0ES3_S5_N6thrust23THRUST_200600_302600_NS6detail15normal_iteratorINS8_10device_ptrIyEEEENSA_INSB_IiEEEEZNS1_13binary_searchIS3_S5_SD_SD_SF_NS1_16binary_search_opENS9_16wrapped_functionINS0_4lessIvEEbEEEE10hipError_tPvRmT1_T2_T3_mmT4_T5_P12ihipStream_tbEUlRKyE_EESM_SQ_SR_mSS_SV_bEUlT_E_NS1_11comp_targetILNS1_3genE4ELNS1_11target_archE910ELNS1_3gpuE8ELNS1_3repE0EEENS1_30default_config_static_selectorELNS0_4arch9wavefront6targetE1EEEvSP_
; %bb.0:
	s_load_dwordx4 s[16:19], s[4:5], 0x0
	s_load_dwordx4 s[0:3], s[4:5], 0x18
	s_load_dwordx2 s[10:11], s[4:5], 0x28
	s_load_dword s15, s[4:5], 0x38
	s_waitcnt lgkmcnt(0)
	s_lshl_b64 s[8:9], s[18:19], 3
	s_add_u32 s7, s16, s8
	s_addc_u32 s14, s17, s9
	s_lshl_b64 s[8:9], s[18:19], 2
	s_add_u32 s12, s0, s8
	s_addc_u32 s13, s1, s9
	s_lshl_b32 s8, s6, 6
	s_add_i32 s15, s15, -1
	s_mov_b32 s9, 0
	s_cmp_lg_u32 s6, s15
	s_mov_b64 s[0:1], -1
	s_cbranch_scc0 .LBB449_8
; %bb.1:
	s_lshl_b64 s[0:1], s[8:9], 3
	s_add_u32 s0, s7, s0
	s_addc_u32 s1, s14, s1
	v_lshlrev_b32_e32 v1, 3, v0
	v_mov_b32_e32 v3, s1
	v_add_co_u32_e32 v2, vcc, s0, v1
	v_addc_co_u32_e32 v3, vcc, 0, v3, vcc
	flat_load_dwordx2 v[2:3], v[2:3]
	s_mov_b64 s[0:1], 0
	s_cmp_eq_u64 s[10:11], 0
	v_pk_mov_b32 v[4:5], 0, 0
	s_cbranch_scc1 .LBB449_5
; %bb.2:
	v_pk_mov_b32 v[4:5], 0, 0
	v_pk_mov_b32 v[6:7], s[10:11], s[10:11] op_sel:[0,1]
	v_mov_b32_e32 v1, s3
.LBB449_3:                              ; =>This Inner Loop Header: Depth=1
	v_sub_co_u32_e32 v8, vcc, v6, v4
	v_subb_co_u32_e32 v9, vcc, v7, v5, vcc
	v_lshrrev_b64 v[10:11], 1, v[8:9]
	v_add_co_u32_e32 v10, vcc, v10, v4
	v_lshrrev_b64 v[8:9], 6, v[8:9]
	v_addc_co_u32_e32 v11, vcc, v11, v5, vcc
	v_add_co_u32_e32 v8, vcc, v10, v8
	v_addc_co_u32_e32 v9, vcc, v11, v9, vcc
	v_lshlrev_b64 v[10:11], 3, v[8:9]
	v_add_co_u32_e32 v10, vcc, s2, v10
	v_addc_co_u32_e32 v11, vcc, v1, v11, vcc
	global_load_dwordx2 v[10:11], v[10:11], off
	v_add_co_u32_e32 v12, vcc, 1, v8
	v_addc_co_u32_e32 v13, vcc, 0, v9, vcc
	s_waitcnt vmcnt(0) lgkmcnt(0)
	v_cmp_lt_u64_e32 vcc, v[10:11], v[2:3]
	v_cndmask_b32_e32 v7, v9, v7, vcc
	v_cndmask_b32_e32 v6, v8, v6, vcc
	;; [unrolled: 1-line block ×4, first 2 shown]
	v_cmp_ge_u64_e32 vcc, v[4:5], v[6:7]
	s_or_b64 s[0:1], vcc, s[0:1]
	s_andn2_b64 exec, exec, s[0:1]
	s_cbranch_execnz .LBB449_3
; %bb.4:
	s_or_b64 exec, exec, s[0:1]
.LBB449_5:
	v_cmp_ne_u64_e32 vcc, s[10:11], v[4:5]
	v_mov_b32_e32 v1, 0
	s_and_saveexec_b64 s[0:1], vcc
	s_cbranch_execz .LBB449_7
; %bb.6:
	v_lshlrev_b64 v[4:5], 3, v[4:5]
	v_mov_b32_e32 v1, s3
	v_add_co_u32_e32 v4, vcc, s2, v4
	v_addc_co_u32_e32 v5, vcc, v1, v5, vcc
	global_load_dwordx2 v[4:5], v[4:5], off
	s_waitcnt vmcnt(0) lgkmcnt(0)
	v_cmp_le_u64_e32 vcc, v[4:5], v[2:3]
	v_cndmask_b32_e64 v1, 0, 1, vcc
.LBB449_7:
	s_or_b64 exec, exec, s[0:1]
	s_lshl_b64 s[0:1], s[8:9], 2
	s_add_u32 s0, s12, s0
	s_addc_u32 s1, s13, s1
	s_waitcnt vmcnt(0) lgkmcnt(0)
	v_lshlrev_b32_e32 v2, 2, v0
	v_mov_b32_e32 v3, s1
	v_add_co_u32_e32 v2, vcc, s0, v2
	v_addc_co_u32_e32 v3, vcc, 0, v3, vcc
	s_mov_b64 s[0:1], 0
	flat_store_dword v[2:3], v1
.LBB449_8:
	s_and_b64 vcc, exec, s[0:1]
	s_cbranch_vccz .LBB449_13
; %bb.9:
	s_load_dword s0, s[4:5], 0x10
                                        ; implicit-def: $vgpr2_vgpr3
	s_waitcnt lgkmcnt(0)
	s_sub_i32 s0, s0, s8
	v_cmp_gt_u32_e32 vcc, s0, v0
	s_and_saveexec_b64 s[4:5], vcc
	s_cbranch_execnz .LBB449_14
; %bb.10:
	s_or_b64 exec, exec, s[4:5]
                                        ; implicit-def: $vgpr1
	s_and_saveexec_b64 s[4:5], vcc
	s_cbranch_execnz .LBB449_15
.LBB449_11:
	s_or_b64 exec, exec, s[4:5]
	s_and_saveexec_b64 s[0:1], vcc
	s_cbranch_execz .LBB449_13
.LBB449_12:
	s_lshl_b64 s[0:1], s[8:9], 2
	s_add_u32 s0, s12, s0
	s_addc_u32 s1, s13, s1
	v_lshlrev_b32_e32 v0, 2, v0
	s_waitcnt vmcnt(0) lgkmcnt(0)
	v_mov_b32_e32 v3, s1
	v_add_co_u32_e32 v2, vcc, s0, v0
	v_addc_co_u32_e32 v3, vcc, 0, v3, vcc
	flat_store_dword v[2:3], v1
.LBB449_13:
	s_endpgm
.LBB449_14:
	s_lshl_b64 s[0:1], s[8:9], 3
	s_add_u32 s0, s7, s0
	s_addc_u32 s1, s14, s1
	v_lshlrev_b32_e32 v1, 3, v0
	v_mov_b32_e32 v3, s1
	v_add_co_u32_e64 v2, s[0:1], s0, v1
	v_addc_co_u32_e64 v3, s[0:1], 0, v3, s[0:1]
	flat_load_dwordx2 v[2:3], v[2:3]
	s_or_b64 exec, exec, s[4:5]
                                        ; implicit-def: $vgpr1
	s_and_saveexec_b64 s[4:5], vcc
	s_cbranch_execz .LBB449_11
.LBB449_15:
	s_mov_b64 s[6:7], 0
	s_cmp_eq_u64 s[10:11], 0
	v_pk_mov_b32 v[4:5], 0, 0
	s_cbranch_scc1 .LBB449_19
; %bb.16:
	v_pk_mov_b32 v[4:5], 0, 0
	v_pk_mov_b32 v[6:7], s[10:11], s[10:11] op_sel:[0,1]
	v_mov_b32_e32 v1, s3
.LBB449_17:                             ; =>This Inner Loop Header: Depth=1
	v_sub_co_u32_e64 v8, s[0:1], v6, v4
	v_subb_co_u32_e64 v9, s[0:1], v7, v5, s[0:1]
	v_lshrrev_b64 v[10:11], 1, v[8:9]
	v_add_co_u32_e64 v10, s[0:1], v10, v4
	v_lshrrev_b64 v[8:9], 6, v[8:9]
	v_addc_co_u32_e64 v11, s[0:1], v11, v5, s[0:1]
	v_add_co_u32_e64 v8, s[0:1], v10, v8
	v_addc_co_u32_e64 v9, s[0:1], v11, v9, s[0:1]
	v_lshlrev_b64 v[10:11], 3, v[8:9]
	v_add_co_u32_e64 v10, s[0:1], s2, v10
	v_addc_co_u32_e64 v11, s[0:1], v1, v11, s[0:1]
	global_load_dwordx2 v[10:11], v[10:11], off
	v_add_co_u32_e64 v12, s[0:1], 1, v8
	v_addc_co_u32_e64 v13, s[0:1], 0, v9, s[0:1]
	s_waitcnt vmcnt(0) lgkmcnt(0)
	v_cmp_lt_u64_e64 s[0:1], v[10:11], v[2:3]
	v_cndmask_b32_e64 v7, v9, v7, s[0:1]
	v_cndmask_b32_e64 v6, v8, v6, s[0:1]
	;; [unrolled: 1-line block ×4, first 2 shown]
	v_cmp_ge_u64_e64 s[0:1], v[4:5], v[6:7]
	s_or_b64 s[6:7], s[0:1], s[6:7]
	s_andn2_b64 exec, exec, s[6:7]
	s_cbranch_execnz .LBB449_17
; %bb.18:
	s_or_b64 exec, exec, s[6:7]
.LBB449_19:
	v_cmp_ne_u64_e64 s[0:1], s[10:11], v[4:5]
	v_mov_b32_e32 v1, 0
	s_and_saveexec_b64 s[6:7], s[0:1]
	s_cbranch_execz .LBB449_21
; %bb.20:
	v_lshlrev_b64 v[4:5], 3, v[4:5]
	v_mov_b32_e32 v1, s3
	v_add_co_u32_e64 v4, s[0:1], s2, v4
	v_addc_co_u32_e64 v5, s[0:1], v1, v5, s[0:1]
	global_load_dwordx2 v[4:5], v[4:5], off
	s_waitcnt vmcnt(0) lgkmcnt(0)
	v_cmp_le_u64_e64 s[0:1], v[4:5], v[2:3]
	v_cndmask_b32_e64 v1, 0, 1, s[0:1]
.LBB449_21:
	s_or_b64 exec, exec, s[6:7]
	s_or_b64 exec, exec, s[4:5]
	s_and_saveexec_b64 s[0:1], vcc
	s_cbranch_execnz .LBB449_12
	s_branch .LBB449_13
	.section	.rodata,"a",@progbits
	.p2align	6, 0x0
	.amdhsa_kernel _ZN7rocprim17ROCPRIM_400000_NS6detail17trampoline_kernelINS0_14default_configENS1_29binary_search_config_selectorIyiEEZNS1_14transform_implILb0ES3_S5_N6thrust23THRUST_200600_302600_NS6detail15normal_iteratorINS8_10device_ptrIyEEEENSA_INSB_IiEEEEZNS1_13binary_searchIS3_S5_SD_SD_SF_NS1_16binary_search_opENS9_16wrapped_functionINS0_4lessIvEEbEEEE10hipError_tPvRmT1_T2_T3_mmT4_T5_P12ihipStream_tbEUlRKyE_EESM_SQ_SR_mSS_SV_bEUlT_E_NS1_11comp_targetILNS1_3genE4ELNS1_11target_archE910ELNS1_3gpuE8ELNS1_3repE0EEENS1_30default_config_static_selectorELNS0_4arch9wavefront6targetE1EEEvSP_
		.amdhsa_group_segment_fixed_size 0
		.amdhsa_private_segment_fixed_size 0
		.amdhsa_kernarg_size 312
		.amdhsa_user_sgpr_count 6
		.amdhsa_user_sgpr_private_segment_buffer 1
		.amdhsa_user_sgpr_dispatch_ptr 0
		.amdhsa_user_sgpr_queue_ptr 0
		.amdhsa_user_sgpr_kernarg_segment_ptr 1
		.amdhsa_user_sgpr_dispatch_id 0
		.amdhsa_user_sgpr_flat_scratch_init 0
		.amdhsa_user_sgpr_kernarg_preload_length 0
		.amdhsa_user_sgpr_kernarg_preload_offset 0
		.amdhsa_user_sgpr_private_segment_size 0
		.amdhsa_uses_dynamic_stack 0
		.amdhsa_system_sgpr_private_segment_wavefront_offset 0
		.amdhsa_system_sgpr_workgroup_id_x 1
		.amdhsa_system_sgpr_workgroup_id_y 0
		.amdhsa_system_sgpr_workgroup_id_z 0
		.amdhsa_system_sgpr_workgroup_info 0
		.amdhsa_system_vgpr_workitem_id 0
		.amdhsa_next_free_vgpr 14
		.amdhsa_next_free_sgpr 20
		.amdhsa_accum_offset 16
		.amdhsa_reserve_vcc 1
		.amdhsa_reserve_flat_scratch 0
		.amdhsa_float_round_mode_32 0
		.amdhsa_float_round_mode_16_64 0
		.amdhsa_float_denorm_mode_32 3
		.amdhsa_float_denorm_mode_16_64 3
		.amdhsa_dx10_clamp 1
		.amdhsa_ieee_mode 1
		.amdhsa_fp16_overflow 0
		.amdhsa_tg_split 0
		.amdhsa_exception_fp_ieee_invalid_op 0
		.amdhsa_exception_fp_denorm_src 0
		.amdhsa_exception_fp_ieee_div_zero 0
		.amdhsa_exception_fp_ieee_overflow 0
		.amdhsa_exception_fp_ieee_underflow 0
		.amdhsa_exception_fp_ieee_inexact 0
		.amdhsa_exception_int_div_zero 0
	.end_amdhsa_kernel
	.section	.text._ZN7rocprim17ROCPRIM_400000_NS6detail17trampoline_kernelINS0_14default_configENS1_29binary_search_config_selectorIyiEEZNS1_14transform_implILb0ES3_S5_N6thrust23THRUST_200600_302600_NS6detail15normal_iteratorINS8_10device_ptrIyEEEENSA_INSB_IiEEEEZNS1_13binary_searchIS3_S5_SD_SD_SF_NS1_16binary_search_opENS9_16wrapped_functionINS0_4lessIvEEbEEEE10hipError_tPvRmT1_T2_T3_mmT4_T5_P12ihipStream_tbEUlRKyE_EESM_SQ_SR_mSS_SV_bEUlT_E_NS1_11comp_targetILNS1_3genE4ELNS1_11target_archE910ELNS1_3gpuE8ELNS1_3repE0EEENS1_30default_config_static_selectorELNS0_4arch9wavefront6targetE1EEEvSP_,"axG",@progbits,_ZN7rocprim17ROCPRIM_400000_NS6detail17trampoline_kernelINS0_14default_configENS1_29binary_search_config_selectorIyiEEZNS1_14transform_implILb0ES3_S5_N6thrust23THRUST_200600_302600_NS6detail15normal_iteratorINS8_10device_ptrIyEEEENSA_INSB_IiEEEEZNS1_13binary_searchIS3_S5_SD_SD_SF_NS1_16binary_search_opENS9_16wrapped_functionINS0_4lessIvEEbEEEE10hipError_tPvRmT1_T2_T3_mmT4_T5_P12ihipStream_tbEUlRKyE_EESM_SQ_SR_mSS_SV_bEUlT_E_NS1_11comp_targetILNS1_3genE4ELNS1_11target_archE910ELNS1_3gpuE8ELNS1_3repE0EEENS1_30default_config_static_selectorELNS0_4arch9wavefront6targetE1EEEvSP_,comdat
.Lfunc_end449:
	.size	_ZN7rocprim17ROCPRIM_400000_NS6detail17trampoline_kernelINS0_14default_configENS1_29binary_search_config_selectorIyiEEZNS1_14transform_implILb0ES3_S5_N6thrust23THRUST_200600_302600_NS6detail15normal_iteratorINS8_10device_ptrIyEEEENSA_INSB_IiEEEEZNS1_13binary_searchIS3_S5_SD_SD_SF_NS1_16binary_search_opENS9_16wrapped_functionINS0_4lessIvEEbEEEE10hipError_tPvRmT1_T2_T3_mmT4_T5_P12ihipStream_tbEUlRKyE_EESM_SQ_SR_mSS_SV_bEUlT_E_NS1_11comp_targetILNS1_3genE4ELNS1_11target_archE910ELNS1_3gpuE8ELNS1_3repE0EEENS1_30default_config_static_selectorELNS0_4arch9wavefront6targetE1EEEvSP_, .Lfunc_end449-_ZN7rocprim17ROCPRIM_400000_NS6detail17trampoline_kernelINS0_14default_configENS1_29binary_search_config_selectorIyiEEZNS1_14transform_implILb0ES3_S5_N6thrust23THRUST_200600_302600_NS6detail15normal_iteratorINS8_10device_ptrIyEEEENSA_INSB_IiEEEEZNS1_13binary_searchIS3_S5_SD_SD_SF_NS1_16binary_search_opENS9_16wrapped_functionINS0_4lessIvEEbEEEE10hipError_tPvRmT1_T2_T3_mmT4_T5_P12ihipStream_tbEUlRKyE_EESM_SQ_SR_mSS_SV_bEUlT_E_NS1_11comp_targetILNS1_3genE4ELNS1_11target_archE910ELNS1_3gpuE8ELNS1_3repE0EEENS1_30default_config_static_selectorELNS0_4arch9wavefront6targetE1EEEvSP_
                                        ; -- End function
	.section	.AMDGPU.csdata,"",@progbits
; Kernel info:
; codeLenInByte = 860
; NumSgprs: 24
; NumVgprs: 14
; NumAgprs: 0
; TotalNumVgprs: 14
; ScratchSize: 0
; MemoryBound: 0
; FloatMode: 240
; IeeeMode: 1
; LDSByteSize: 0 bytes/workgroup (compile time only)
; SGPRBlocks: 2
; VGPRBlocks: 1
; NumSGPRsForWavesPerEU: 24
; NumVGPRsForWavesPerEU: 14
; AccumOffset: 16
; Occupancy: 8
; WaveLimiterHint : 0
; COMPUTE_PGM_RSRC2:SCRATCH_EN: 0
; COMPUTE_PGM_RSRC2:USER_SGPR: 6
; COMPUTE_PGM_RSRC2:TRAP_HANDLER: 0
; COMPUTE_PGM_RSRC2:TGID_X_EN: 1
; COMPUTE_PGM_RSRC2:TGID_Y_EN: 0
; COMPUTE_PGM_RSRC2:TGID_Z_EN: 0
; COMPUTE_PGM_RSRC2:TIDIG_COMP_CNT: 0
; COMPUTE_PGM_RSRC3_GFX90A:ACCUM_OFFSET: 3
; COMPUTE_PGM_RSRC3_GFX90A:TG_SPLIT: 0
	.section	.text._ZN7rocprim17ROCPRIM_400000_NS6detail17trampoline_kernelINS0_14default_configENS1_29binary_search_config_selectorIyiEEZNS1_14transform_implILb0ES3_S5_N6thrust23THRUST_200600_302600_NS6detail15normal_iteratorINS8_10device_ptrIyEEEENSA_INSB_IiEEEEZNS1_13binary_searchIS3_S5_SD_SD_SF_NS1_16binary_search_opENS9_16wrapped_functionINS0_4lessIvEEbEEEE10hipError_tPvRmT1_T2_T3_mmT4_T5_P12ihipStream_tbEUlRKyE_EESM_SQ_SR_mSS_SV_bEUlT_E_NS1_11comp_targetILNS1_3genE3ELNS1_11target_archE908ELNS1_3gpuE7ELNS1_3repE0EEENS1_30default_config_static_selectorELNS0_4arch9wavefront6targetE1EEEvSP_,"axG",@progbits,_ZN7rocprim17ROCPRIM_400000_NS6detail17trampoline_kernelINS0_14default_configENS1_29binary_search_config_selectorIyiEEZNS1_14transform_implILb0ES3_S5_N6thrust23THRUST_200600_302600_NS6detail15normal_iteratorINS8_10device_ptrIyEEEENSA_INSB_IiEEEEZNS1_13binary_searchIS3_S5_SD_SD_SF_NS1_16binary_search_opENS9_16wrapped_functionINS0_4lessIvEEbEEEE10hipError_tPvRmT1_T2_T3_mmT4_T5_P12ihipStream_tbEUlRKyE_EESM_SQ_SR_mSS_SV_bEUlT_E_NS1_11comp_targetILNS1_3genE3ELNS1_11target_archE908ELNS1_3gpuE7ELNS1_3repE0EEENS1_30default_config_static_selectorELNS0_4arch9wavefront6targetE1EEEvSP_,comdat
	.protected	_ZN7rocprim17ROCPRIM_400000_NS6detail17trampoline_kernelINS0_14default_configENS1_29binary_search_config_selectorIyiEEZNS1_14transform_implILb0ES3_S5_N6thrust23THRUST_200600_302600_NS6detail15normal_iteratorINS8_10device_ptrIyEEEENSA_INSB_IiEEEEZNS1_13binary_searchIS3_S5_SD_SD_SF_NS1_16binary_search_opENS9_16wrapped_functionINS0_4lessIvEEbEEEE10hipError_tPvRmT1_T2_T3_mmT4_T5_P12ihipStream_tbEUlRKyE_EESM_SQ_SR_mSS_SV_bEUlT_E_NS1_11comp_targetILNS1_3genE3ELNS1_11target_archE908ELNS1_3gpuE7ELNS1_3repE0EEENS1_30default_config_static_selectorELNS0_4arch9wavefront6targetE1EEEvSP_ ; -- Begin function _ZN7rocprim17ROCPRIM_400000_NS6detail17trampoline_kernelINS0_14default_configENS1_29binary_search_config_selectorIyiEEZNS1_14transform_implILb0ES3_S5_N6thrust23THRUST_200600_302600_NS6detail15normal_iteratorINS8_10device_ptrIyEEEENSA_INSB_IiEEEEZNS1_13binary_searchIS3_S5_SD_SD_SF_NS1_16binary_search_opENS9_16wrapped_functionINS0_4lessIvEEbEEEE10hipError_tPvRmT1_T2_T3_mmT4_T5_P12ihipStream_tbEUlRKyE_EESM_SQ_SR_mSS_SV_bEUlT_E_NS1_11comp_targetILNS1_3genE3ELNS1_11target_archE908ELNS1_3gpuE7ELNS1_3repE0EEENS1_30default_config_static_selectorELNS0_4arch9wavefront6targetE1EEEvSP_
	.globl	_ZN7rocprim17ROCPRIM_400000_NS6detail17trampoline_kernelINS0_14default_configENS1_29binary_search_config_selectorIyiEEZNS1_14transform_implILb0ES3_S5_N6thrust23THRUST_200600_302600_NS6detail15normal_iteratorINS8_10device_ptrIyEEEENSA_INSB_IiEEEEZNS1_13binary_searchIS3_S5_SD_SD_SF_NS1_16binary_search_opENS9_16wrapped_functionINS0_4lessIvEEbEEEE10hipError_tPvRmT1_T2_T3_mmT4_T5_P12ihipStream_tbEUlRKyE_EESM_SQ_SR_mSS_SV_bEUlT_E_NS1_11comp_targetILNS1_3genE3ELNS1_11target_archE908ELNS1_3gpuE7ELNS1_3repE0EEENS1_30default_config_static_selectorELNS0_4arch9wavefront6targetE1EEEvSP_
	.p2align	8
	.type	_ZN7rocprim17ROCPRIM_400000_NS6detail17trampoline_kernelINS0_14default_configENS1_29binary_search_config_selectorIyiEEZNS1_14transform_implILb0ES3_S5_N6thrust23THRUST_200600_302600_NS6detail15normal_iteratorINS8_10device_ptrIyEEEENSA_INSB_IiEEEEZNS1_13binary_searchIS3_S5_SD_SD_SF_NS1_16binary_search_opENS9_16wrapped_functionINS0_4lessIvEEbEEEE10hipError_tPvRmT1_T2_T3_mmT4_T5_P12ihipStream_tbEUlRKyE_EESM_SQ_SR_mSS_SV_bEUlT_E_NS1_11comp_targetILNS1_3genE3ELNS1_11target_archE908ELNS1_3gpuE7ELNS1_3repE0EEENS1_30default_config_static_selectorELNS0_4arch9wavefront6targetE1EEEvSP_,@function
_ZN7rocprim17ROCPRIM_400000_NS6detail17trampoline_kernelINS0_14default_configENS1_29binary_search_config_selectorIyiEEZNS1_14transform_implILb0ES3_S5_N6thrust23THRUST_200600_302600_NS6detail15normal_iteratorINS8_10device_ptrIyEEEENSA_INSB_IiEEEEZNS1_13binary_searchIS3_S5_SD_SD_SF_NS1_16binary_search_opENS9_16wrapped_functionINS0_4lessIvEEbEEEE10hipError_tPvRmT1_T2_T3_mmT4_T5_P12ihipStream_tbEUlRKyE_EESM_SQ_SR_mSS_SV_bEUlT_E_NS1_11comp_targetILNS1_3genE3ELNS1_11target_archE908ELNS1_3gpuE7ELNS1_3repE0EEENS1_30default_config_static_selectorELNS0_4arch9wavefront6targetE1EEEvSP_: ; @_ZN7rocprim17ROCPRIM_400000_NS6detail17trampoline_kernelINS0_14default_configENS1_29binary_search_config_selectorIyiEEZNS1_14transform_implILb0ES3_S5_N6thrust23THRUST_200600_302600_NS6detail15normal_iteratorINS8_10device_ptrIyEEEENSA_INSB_IiEEEEZNS1_13binary_searchIS3_S5_SD_SD_SF_NS1_16binary_search_opENS9_16wrapped_functionINS0_4lessIvEEbEEEE10hipError_tPvRmT1_T2_T3_mmT4_T5_P12ihipStream_tbEUlRKyE_EESM_SQ_SR_mSS_SV_bEUlT_E_NS1_11comp_targetILNS1_3genE3ELNS1_11target_archE908ELNS1_3gpuE7ELNS1_3repE0EEENS1_30default_config_static_selectorELNS0_4arch9wavefront6targetE1EEEvSP_
; %bb.0:
	.section	.rodata,"a",@progbits
	.p2align	6, 0x0
	.amdhsa_kernel _ZN7rocprim17ROCPRIM_400000_NS6detail17trampoline_kernelINS0_14default_configENS1_29binary_search_config_selectorIyiEEZNS1_14transform_implILb0ES3_S5_N6thrust23THRUST_200600_302600_NS6detail15normal_iteratorINS8_10device_ptrIyEEEENSA_INSB_IiEEEEZNS1_13binary_searchIS3_S5_SD_SD_SF_NS1_16binary_search_opENS9_16wrapped_functionINS0_4lessIvEEbEEEE10hipError_tPvRmT1_T2_T3_mmT4_T5_P12ihipStream_tbEUlRKyE_EESM_SQ_SR_mSS_SV_bEUlT_E_NS1_11comp_targetILNS1_3genE3ELNS1_11target_archE908ELNS1_3gpuE7ELNS1_3repE0EEENS1_30default_config_static_selectorELNS0_4arch9wavefront6targetE1EEEvSP_
		.amdhsa_group_segment_fixed_size 0
		.amdhsa_private_segment_fixed_size 0
		.amdhsa_kernarg_size 56
		.amdhsa_user_sgpr_count 6
		.amdhsa_user_sgpr_private_segment_buffer 1
		.amdhsa_user_sgpr_dispatch_ptr 0
		.amdhsa_user_sgpr_queue_ptr 0
		.amdhsa_user_sgpr_kernarg_segment_ptr 1
		.amdhsa_user_sgpr_dispatch_id 0
		.amdhsa_user_sgpr_flat_scratch_init 0
		.amdhsa_user_sgpr_kernarg_preload_length 0
		.amdhsa_user_sgpr_kernarg_preload_offset 0
		.amdhsa_user_sgpr_private_segment_size 0
		.amdhsa_uses_dynamic_stack 0
		.amdhsa_system_sgpr_private_segment_wavefront_offset 0
		.amdhsa_system_sgpr_workgroup_id_x 1
		.amdhsa_system_sgpr_workgroup_id_y 0
		.amdhsa_system_sgpr_workgroup_id_z 0
		.amdhsa_system_sgpr_workgroup_info 0
		.amdhsa_system_vgpr_workitem_id 0
		.amdhsa_next_free_vgpr 1
		.amdhsa_next_free_sgpr 0
		.amdhsa_accum_offset 4
		.amdhsa_reserve_vcc 0
		.amdhsa_reserve_flat_scratch 0
		.amdhsa_float_round_mode_32 0
		.amdhsa_float_round_mode_16_64 0
		.amdhsa_float_denorm_mode_32 3
		.amdhsa_float_denorm_mode_16_64 3
		.amdhsa_dx10_clamp 1
		.amdhsa_ieee_mode 1
		.amdhsa_fp16_overflow 0
		.amdhsa_tg_split 0
		.amdhsa_exception_fp_ieee_invalid_op 0
		.amdhsa_exception_fp_denorm_src 0
		.amdhsa_exception_fp_ieee_div_zero 0
		.amdhsa_exception_fp_ieee_overflow 0
		.amdhsa_exception_fp_ieee_underflow 0
		.amdhsa_exception_fp_ieee_inexact 0
		.amdhsa_exception_int_div_zero 0
	.end_amdhsa_kernel
	.section	.text._ZN7rocprim17ROCPRIM_400000_NS6detail17trampoline_kernelINS0_14default_configENS1_29binary_search_config_selectorIyiEEZNS1_14transform_implILb0ES3_S5_N6thrust23THRUST_200600_302600_NS6detail15normal_iteratorINS8_10device_ptrIyEEEENSA_INSB_IiEEEEZNS1_13binary_searchIS3_S5_SD_SD_SF_NS1_16binary_search_opENS9_16wrapped_functionINS0_4lessIvEEbEEEE10hipError_tPvRmT1_T2_T3_mmT4_T5_P12ihipStream_tbEUlRKyE_EESM_SQ_SR_mSS_SV_bEUlT_E_NS1_11comp_targetILNS1_3genE3ELNS1_11target_archE908ELNS1_3gpuE7ELNS1_3repE0EEENS1_30default_config_static_selectorELNS0_4arch9wavefront6targetE1EEEvSP_,"axG",@progbits,_ZN7rocprim17ROCPRIM_400000_NS6detail17trampoline_kernelINS0_14default_configENS1_29binary_search_config_selectorIyiEEZNS1_14transform_implILb0ES3_S5_N6thrust23THRUST_200600_302600_NS6detail15normal_iteratorINS8_10device_ptrIyEEEENSA_INSB_IiEEEEZNS1_13binary_searchIS3_S5_SD_SD_SF_NS1_16binary_search_opENS9_16wrapped_functionINS0_4lessIvEEbEEEE10hipError_tPvRmT1_T2_T3_mmT4_T5_P12ihipStream_tbEUlRKyE_EESM_SQ_SR_mSS_SV_bEUlT_E_NS1_11comp_targetILNS1_3genE3ELNS1_11target_archE908ELNS1_3gpuE7ELNS1_3repE0EEENS1_30default_config_static_selectorELNS0_4arch9wavefront6targetE1EEEvSP_,comdat
.Lfunc_end450:
	.size	_ZN7rocprim17ROCPRIM_400000_NS6detail17trampoline_kernelINS0_14default_configENS1_29binary_search_config_selectorIyiEEZNS1_14transform_implILb0ES3_S5_N6thrust23THRUST_200600_302600_NS6detail15normal_iteratorINS8_10device_ptrIyEEEENSA_INSB_IiEEEEZNS1_13binary_searchIS3_S5_SD_SD_SF_NS1_16binary_search_opENS9_16wrapped_functionINS0_4lessIvEEbEEEE10hipError_tPvRmT1_T2_T3_mmT4_T5_P12ihipStream_tbEUlRKyE_EESM_SQ_SR_mSS_SV_bEUlT_E_NS1_11comp_targetILNS1_3genE3ELNS1_11target_archE908ELNS1_3gpuE7ELNS1_3repE0EEENS1_30default_config_static_selectorELNS0_4arch9wavefront6targetE1EEEvSP_, .Lfunc_end450-_ZN7rocprim17ROCPRIM_400000_NS6detail17trampoline_kernelINS0_14default_configENS1_29binary_search_config_selectorIyiEEZNS1_14transform_implILb0ES3_S5_N6thrust23THRUST_200600_302600_NS6detail15normal_iteratorINS8_10device_ptrIyEEEENSA_INSB_IiEEEEZNS1_13binary_searchIS3_S5_SD_SD_SF_NS1_16binary_search_opENS9_16wrapped_functionINS0_4lessIvEEbEEEE10hipError_tPvRmT1_T2_T3_mmT4_T5_P12ihipStream_tbEUlRKyE_EESM_SQ_SR_mSS_SV_bEUlT_E_NS1_11comp_targetILNS1_3genE3ELNS1_11target_archE908ELNS1_3gpuE7ELNS1_3repE0EEENS1_30default_config_static_selectorELNS0_4arch9wavefront6targetE1EEEvSP_
                                        ; -- End function
	.section	.AMDGPU.csdata,"",@progbits
; Kernel info:
; codeLenInByte = 0
; NumSgprs: 4
; NumVgprs: 0
; NumAgprs: 0
; TotalNumVgprs: 0
; ScratchSize: 0
; MemoryBound: 0
; FloatMode: 240
; IeeeMode: 1
; LDSByteSize: 0 bytes/workgroup (compile time only)
; SGPRBlocks: 0
; VGPRBlocks: 0
; NumSGPRsForWavesPerEU: 4
; NumVGPRsForWavesPerEU: 1
; AccumOffset: 4
; Occupancy: 8
; WaveLimiterHint : 0
; COMPUTE_PGM_RSRC2:SCRATCH_EN: 0
; COMPUTE_PGM_RSRC2:USER_SGPR: 6
; COMPUTE_PGM_RSRC2:TRAP_HANDLER: 0
; COMPUTE_PGM_RSRC2:TGID_X_EN: 1
; COMPUTE_PGM_RSRC2:TGID_Y_EN: 0
; COMPUTE_PGM_RSRC2:TGID_Z_EN: 0
; COMPUTE_PGM_RSRC2:TIDIG_COMP_CNT: 0
; COMPUTE_PGM_RSRC3_GFX90A:ACCUM_OFFSET: 0
; COMPUTE_PGM_RSRC3_GFX90A:TG_SPLIT: 0
	.section	.text._ZN7rocprim17ROCPRIM_400000_NS6detail17trampoline_kernelINS0_14default_configENS1_29binary_search_config_selectorIyiEEZNS1_14transform_implILb0ES3_S5_N6thrust23THRUST_200600_302600_NS6detail15normal_iteratorINS8_10device_ptrIyEEEENSA_INSB_IiEEEEZNS1_13binary_searchIS3_S5_SD_SD_SF_NS1_16binary_search_opENS9_16wrapped_functionINS0_4lessIvEEbEEEE10hipError_tPvRmT1_T2_T3_mmT4_T5_P12ihipStream_tbEUlRKyE_EESM_SQ_SR_mSS_SV_bEUlT_E_NS1_11comp_targetILNS1_3genE2ELNS1_11target_archE906ELNS1_3gpuE6ELNS1_3repE0EEENS1_30default_config_static_selectorELNS0_4arch9wavefront6targetE1EEEvSP_,"axG",@progbits,_ZN7rocprim17ROCPRIM_400000_NS6detail17trampoline_kernelINS0_14default_configENS1_29binary_search_config_selectorIyiEEZNS1_14transform_implILb0ES3_S5_N6thrust23THRUST_200600_302600_NS6detail15normal_iteratorINS8_10device_ptrIyEEEENSA_INSB_IiEEEEZNS1_13binary_searchIS3_S5_SD_SD_SF_NS1_16binary_search_opENS9_16wrapped_functionINS0_4lessIvEEbEEEE10hipError_tPvRmT1_T2_T3_mmT4_T5_P12ihipStream_tbEUlRKyE_EESM_SQ_SR_mSS_SV_bEUlT_E_NS1_11comp_targetILNS1_3genE2ELNS1_11target_archE906ELNS1_3gpuE6ELNS1_3repE0EEENS1_30default_config_static_selectorELNS0_4arch9wavefront6targetE1EEEvSP_,comdat
	.protected	_ZN7rocprim17ROCPRIM_400000_NS6detail17trampoline_kernelINS0_14default_configENS1_29binary_search_config_selectorIyiEEZNS1_14transform_implILb0ES3_S5_N6thrust23THRUST_200600_302600_NS6detail15normal_iteratorINS8_10device_ptrIyEEEENSA_INSB_IiEEEEZNS1_13binary_searchIS3_S5_SD_SD_SF_NS1_16binary_search_opENS9_16wrapped_functionINS0_4lessIvEEbEEEE10hipError_tPvRmT1_T2_T3_mmT4_T5_P12ihipStream_tbEUlRKyE_EESM_SQ_SR_mSS_SV_bEUlT_E_NS1_11comp_targetILNS1_3genE2ELNS1_11target_archE906ELNS1_3gpuE6ELNS1_3repE0EEENS1_30default_config_static_selectorELNS0_4arch9wavefront6targetE1EEEvSP_ ; -- Begin function _ZN7rocprim17ROCPRIM_400000_NS6detail17trampoline_kernelINS0_14default_configENS1_29binary_search_config_selectorIyiEEZNS1_14transform_implILb0ES3_S5_N6thrust23THRUST_200600_302600_NS6detail15normal_iteratorINS8_10device_ptrIyEEEENSA_INSB_IiEEEEZNS1_13binary_searchIS3_S5_SD_SD_SF_NS1_16binary_search_opENS9_16wrapped_functionINS0_4lessIvEEbEEEE10hipError_tPvRmT1_T2_T3_mmT4_T5_P12ihipStream_tbEUlRKyE_EESM_SQ_SR_mSS_SV_bEUlT_E_NS1_11comp_targetILNS1_3genE2ELNS1_11target_archE906ELNS1_3gpuE6ELNS1_3repE0EEENS1_30default_config_static_selectorELNS0_4arch9wavefront6targetE1EEEvSP_
	.globl	_ZN7rocprim17ROCPRIM_400000_NS6detail17trampoline_kernelINS0_14default_configENS1_29binary_search_config_selectorIyiEEZNS1_14transform_implILb0ES3_S5_N6thrust23THRUST_200600_302600_NS6detail15normal_iteratorINS8_10device_ptrIyEEEENSA_INSB_IiEEEEZNS1_13binary_searchIS3_S5_SD_SD_SF_NS1_16binary_search_opENS9_16wrapped_functionINS0_4lessIvEEbEEEE10hipError_tPvRmT1_T2_T3_mmT4_T5_P12ihipStream_tbEUlRKyE_EESM_SQ_SR_mSS_SV_bEUlT_E_NS1_11comp_targetILNS1_3genE2ELNS1_11target_archE906ELNS1_3gpuE6ELNS1_3repE0EEENS1_30default_config_static_selectorELNS0_4arch9wavefront6targetE1EEEvSP_
	.p2align	8
	.type	_ZN7rocprim17ROCPRIM_400000_NS6detail17trampoline_kernelINS0_14default_configENS1_29binary_search_config_selectorIyiEEZNS1_14transform_implILb0ES3_S5_N6thrust23THRUST_200600_302600_NS6detail15normal_iteratorINS8_10device_ptrIyEEEENSA_INSB_IiEEEEZNS1_13binary_searchIS3_S5_SD_SD_SF_NS1_16binary_search_opENS9_16wrapped_functionINS0_4lessIvEEbEEEE10hipError_tPvRmT1_T2_T3_mmT4_T5_P12ihipStream_tbEUlRKyE_EESM_SQ_SR_mSS_SV_bEUlT_E_NS1_11comp_targetILNS1_3genE2ELNS1_11target_archE906ELNS1_3gpuE6ELNS1_3repE0EEENS1_30default_config_static_selectorELNS0_4arch9wavefront6targetE1EEEvSP_,@function
_ZN7rocprim17ROCPRIM_400000_NS6detail17trampoline_kernelINS0_14default_configENS1_29binary_search_config_selectorIyiEEZNS1_14transform_implILb0ES3_S5_N6thrust23THRUST_200600_302600_NS6detail15normal_iteratorINS8_10device_ptrIyEEEENSA_INSB_IiEEEEZNS1_13binary_searchIS3_S5_SD_SD_SF_NS1_16binary_search_opENS9_16wrapped_functionINS0_4lessIvEEbEEEE10hipError_tPvRmT1_T2_T3_mmT4_T5_P12ihipStream_tbEUlRKyE_EESM_SQ_SR_mSS_SV_bEUlT_E_NS1_11comp_targetILNS1_3genE2ELNS1_11target_archE906ELNS1_3gpuE6ELNS1_3repE0EEENS1_30default_config_static_selectorELNS0_4arch9wavefront6targetE1EEEvSP_: ; @_ZN7rocprim17ROCPRIM_400000_NS6detail17trampoline_kernelINS0_14default_configENS1_29binary_search_config_selectorIyiEEZNS1_14transform_implILb0ES3_S5_N6thrust23THRUST_200600_302600_NS6detail15normal_iteratorINS8_10device_ptrIyEEEENSA_INSB_IiEEEEZNS1_13binary_searchIS3_S5_SD_SD_SF_NS1_16binary_search_opENS9_16wrapped_functionINS0_4lessIvEEbEEEE10hipError_tPvRmT1_T2_T3_mmT4_T5_P12ihipStream_tbEUlRKyE_EESM_SQ_SR_mSS_SV_bEUlT_E_NS1_11comp_targetILNS1_3genE2ELNS1_11target_archE906ELNS1_3gpuE6ELNS1_3repE0EEENS1_30default_config_static_selectorELNS0_4arch9wavefront6targetE1EEEvSP_
; %bb.0:
	.section	.rodata,"a",@progbits
	.p2align	6, 0x0
	.amdhsa_kernel _ZN7rocprim17ROCPRIM_400000_NS6detail17trampoline_kernelINS0_14default_configENS1_29binary_search_config_selectorIyiEEZNS1_14transform_implILb0ES3_S5_N6thrust23THRUST_200600_302600_NS6detail15normal_iteratorINS8_10device_ptrIyEEEENSA_INSB_IiEEEEZNS1_13binary_searchIS3_S5_SD_SD_SF_NS1_16binary_search_opENS9_16wrapped_functionINS0_4lessIvEEbEEEE10hipError_tPvRmT1_T2_T3_mmT4_T5_P12ihipStream_tbEUlRKyE_EESM_SQ_SR_mSS_SV_bEUlT_E_NS1_11comp_targetILNS1_3genE2ELNS1_11target_archE906ELNS1_3gpuE6ELNS1_3repE0EEENS1_30default_config_static_selectorELNS0_4arch9wavefront6targetE1EEEvSP_
		.amdhsa_group_segment_fixed_size 0
		.amdhsa_private_segment_fixed_size 0
		.amdhsa_kernarg_size 56
		.amdhsa_user_sgpr_count 6
		.amdhsa_user_sgpr_private_segment_buffer 1
		.amdhsa_user_sgpr_dispatch_ptr 0
		.amdhsa_user_sgpr_queue_ptr 0
		.amdhsa_user_sgpr_kernarg_segment_ptr 1
		.amdhsa_user_sgpr_dispatch_id 0
		.amdhsa_user_sgpr_flat_scratch_init 0
		.amdhsa_user_sgpr_kernarg_preload_length 0
		.amdhsa_user_sgpr_kernarg_preload_offset 0
		.amdhsa_user_sgpr_private_segment_size 0
		.amdhsa_uses_dynamic_stack 0
		.amdhsa_system_sgpr_private_segment_wavefront_offset 0
		.amdhsa_system_sgpr_workgroup_id_x 1
		.amdhsa_system_sgpr_workgroup_id_y 0
		.amdhsa_system_sgpr_workgroup_id_z 0
		.amdhsa_system_sgpr_workgroup_info 0
		.amdhsa_system_vgpr_workitem_id 0
		.amdhsa_next_free_vgpr 1
		.amdhsa_next_free_sgpr 0
		.amdhsa_accum_offset 4
		.amdhsa_reserve_vcc 0
		.amdhsa_reserve_flat_scratch 0
		.amdhsa_float_round_mode_32 0
		.amdhsa_float_round_mode_16_64 0
		.amdhsa_float_denorm_mode_32 3
		.amdhsa_float_denorm_mode_16_64 3
		.amdhsa_dx10_clamp 1
		.amdhsa_ieee_mode 1
		.amdhsa_fp16_overflow 0
		.amdhsa_tg_split 0
		.amdhsa_exception_fp_ieee_invalid_op 0
		.amdhsa_exception_fp_denorm_src 0
		.amdhsa_exception_fp_ieee_div_zero 0
		.amdhsa_exception_fp_ieee_overflow 0
		.amdhsa_exception_fp_ieee_underflow 0
		.amdhsa_exception_fp_ieee_inexact 0
		.amdhsa_exception_int_div_zero 0
	.end_amdhsa_kernel
	.section	.text._ZN7rocprim17ROCPRIM_400000_NS6detail17trampoline_kernelINS0_14default_configENS1_29binary_search_config_selectorIyiEEZNS1_14transform_implILb0ES3_S5_N6thrust23THRUST_200600_302600_NS6detail15normal_iteratorINS8_10device_ptrIyEEEENSA_INSB_IiEEEEZNS1_13binary_searchIS3_S5_SD_SD_SF_NS1_16binary_search_opENS9_16wrapped_functionINS0_4lessIvEEbEEEE10hipError_tPvRmT1_T2_T3_mmT4_T5_P12ihipStream_tbEUlRKyE_EESM_SQ_SR_mSS_SV_bEUlT_E_NS1_11comp_targetILNS1_3genE2ELNS1_11target_archE906ELNS1_3gpuE6ELNS1_3repE0EEENS1_30default_config_static_selectorELNS0_4arch9wavefront6targetE1EEEvSP_,"axG",@progbits,_ZN7rocprim17ROCPRIM_400000_NS6detail17trampoline_kernelINS0_14default_configENS1_29binary_search_config_selectorIyiEEZNS1_14transform_implILb0ES3_S5_N6thrust23THRUST_200600_302600_NS6detail15normal_iteratorINS8_10device_ptrIyEEEENSA_INSB_IiEEEEZNS1_13binary_searchIS3_S5_SD_SD_SF_NS1_16binary_search_opENS9_16wrapped_functionINS0_4lessIvEEbEEEE10hipError_tPvRmT1_T2_T3_mmT4_T5_P12ihipStream_tbEUlRKyE_EESM_SQ_SR_mSS_SV_bEUlT_E_NS1_11comp_targetILNS1_3genE2ELNS1_11target_archE906ELNS1_3gpuE6ELNS1_3repE0EEENS1_30default_config_static_selectorELNS0_4arch9wavefront6targetE1EEEvSP_,comdat
.Lfunc_end451:
	.size	_ZN7rocprim17ROCPRIM_400000_NS6detail17trampoline_kernelINS0_14default_configENS1_29binary_search_config_selectorIyiEEZNS1_14transform_implILb0ES3_S5_N6thrust23THRUST_200600_302600_NS6detail15normal_iteratorINS8_10device_ptrIyEEEENSA_INSB_IiEEEEZNS1_13binary_searchIS3_S5_SD_SD_SF_NS1_16binary_search_opENS9_16wrapped_functionINS0_4lessIvEEbEEEE10hipError_tPvRmT1_T2_T3_mmT4_T5_P12ihipStream_tbEUlRKyE_EESM_SQ_SR_mSS_SV_bEUlT_E_NS1_11comp_targetILNS1_3genE2ELNS1_11target_archE906ELNS1_3gpuE6ELNS1_3repE0EEENS1_30default_config_static_selectorELNS0_4arch9wavefront6targetE1EEEvSP_, .Lfunc_end451-_ZN7rocprim17ROCPRIM_400000_NS6detail17trampoline_kernelINS0_14default_configENS1_29binary_search_config_selectorIyiEEZNS1_14transform_implILb0ES3_S5_N6thrust23THRUST_200600_302600_NS6detail15normal_iteratorINS8_10device_ptrIyEEEENSA_INSB_IiEEEEZNS1_13binary_searchIS3_S5_SD_SD_SF_NS1_16binary_search_opENS9_16wrapped_functionINS0_4lessIvEEbEEEE10hipError_tPvRmT1_T2_T3_mmT4_T5_P12ihipStream_tbEUlRKyE_EESM_SQ_SR_mSS_SV_bEUlT_E_NS1_11comp_targetILNS1_3genE2ELNS1_11target_archE906ELNS1_3gpuE6ELNS1_3repE0EEENS1_30default_config_static_selectorELNS0_4arch9wavefront6targetE1EEEvSP_
                                        ; -- End function
	.section	.AMDGPU.csdata,"",@progbits
; Kernel info:
; codeLenInByte = 0
; NumSgprs: 4
; NumVgprs: 0
; NumAgprs: 0
; TotalNumVgprs: 0
; ScratchSize: 0
; MemoryBound: 0
; FloatMode: 240
; IeeeMode: 1
; LDSByteSize: 0 bytes/workgroup (compile time only)
; SGPRBlocks: 0
; VGPRBlocks: 0
; NumSGPRsForWavesPerEU: 4
; NumVGPRsForWavesPerEU: 1
; AccumOffset: 4
; Occupancy: 8
; WaveLimiterHint : 0
; COMPUTE_PGM_RSRC2:SCRATCH_EN: 0
; COMPUTE_PGM_RSRC2:USER_SGPR: 6
; COMPUTE_PGM_RSRC2:TRAP_HANDLER: 0
; COMPUTE_PGM_RSRC2:TGID_X_EN: 1
; COMPUTE_PGM_RSRC2:TGID_Y_EN: 0
; COMPUTE_PGM_RSRC2:TGID_Z_EN: 0
; COMPUTE_PGM_RSRC2:TIDIG_COMP_CNT: 0
; COMPUTE_PGM_RSRC3_GFX90A:ACCUM_OFFSET: 0
; COMPUTE_PGM_RSRC3_GFX90A:TG_SPLIT: 0
	.section	.text._ZN7rocprim17ROCPRIM_400000_NS6detail17trampoline_kernelINS0_14default_configENS1_29binary_search_config_selectorIyiEEZNS1_14transform_implILb0ES3_S5_N6thrust23THRUST_200600_302600_NS6detail15normal_iteratorINS8_10device_ptrIyEEEENSA_INSB_IiEEEEZNS1_13binary_searchIS3_S5_SD_SD_SF_NS1_16binary_search_opENS9_16wrapped_functionINS0_4lessIvEEbEEEE10hipError_tPvRmT1_T2_T3_mmT4_T5_P12ihipStream_tbEUlRKyE_EESM_SQ_SR_mSS_SV_bEUlT_E_NS1_11comp_targetILNS1_3genE10ELNS1_11target_archE1201ELNS1_3gpuE5ELNS1_3repE0EEENS1_30default_config_static_selectorELNS0_4arch9wavefront6targetE1EEEvSP_,"axG",@progbits,_ZN7rocprim17ROCPRIM_400000_NS6detail17trampoline_kernelINS0_14default_configENS1_29binary_search_config_selectorIyiEEZNS1_14transform_implILb0ES3_S5_N6thrust23THRUST_200600_302600_NS6detail15normal_iteratorINS8_10device_ptrIyEEEENSA_INSB_IiEEEEZNS1_13binary_searchIS3_S5_SD_SD_SF_NS1_16binary_search_opENS9_16wrapped_functionINS0_4lessIvEEbEEEE10hipError_tPvRmT1_T2_T3_mmT4_T5_P12ihipStream_tbEUlRKyE_EESM_SQ_SR_mSS_SV_bEUlT_E_NS1_11comp_targetILNS1_3genE10ELNS1_11target_archE1201ELNS1_3gpuE5ELNS1_3repE0EEENS1_30default_config_static_selectorELNS0_4arch9wavefront6targetE1EEEvSP_,comdat
	.protected	_ZN7rocprim17ROCPRIM_400000_NS6detail17trampoline_kernelINS0_14default_configENS1_29binary_search_config_selectorIyiEEZNS1_14transform_implILb0ES3_S5_N6thrust23THRUST_200600_302600_NS6detail15normal_iteratorINS8_10device_ptrIyEEEENSA_INSB_IiEEEEZNS1_13binary_searchIS3_S5_SD_SD_SF_NS1_16binary_search_opENS9_16wrapped_functionINS0_4lessIvEEbEEEE10hipError_tPvRmT1_T2_T3_mmT4_T5_P12ihipStream_tbEUlRKyE_EESM_SQ_SR_mSS_SV_bEUlT_E_NS1_11comp_targetILNS1_3genE10ELNS1_11target_archE1201ELNS1_3gpuE5ELNS1_3repE0EEENS1_30default_config_static_selectorELNS0_4arch9wavefront6targetE1EEEvSP_ ; -- Begin function _ZN7rocprim17ROCPRIM_400000_NS6detail17trampoline_kernelINS0_14default_configENS1_29binary_search_config_selectorIyiEEZNS1_14transform_implILb0ES3_S5_N6thrust23THRUST_200600_302600_NS6detail15normal_iteratorINS8_10device_ptrIyEEEENSA_INSB_IiEEEEZNS1_13binary_searchIS3_S5_SD_SD_SF_NS1_16binary_search_opENS9_16wrapped_functionINS0_4lessIvEEbEEEE10hipError_tPvRmT1_T2_T3_mmT4_T5_P12ihipStream_tbEUlRKyE_EESM_SQ_SR_mSS_SV_bEUlT_E_NS1_11comp_targetILNS1_3genE10ELNS1_11target_archE1201ELNS1_3gpuE5ELNS1_3repE0EEENS1_30default_config_static_selectorELNS0_4arch9wavefront6targetE1EEEvSP_
	.globl	_ZN7rocprim17ROCPRIM_400000_NS6detail17trampoline_kernelINS0_14default_configENS1_29binary_search_config_selectorIyiEEZNS1_14transform_implILb0ES3_S5_N6thrust23THRUST_200600_302600_NS6detail15normal_iteratorINS8_10device_ptrIyEEEENSA_INSB_IiEEEEZNS1_13binary_searchIS3_S5_SD_SD_SF_NS1_16binary_search_opENS9_16wrapped_functionINS0_4lessIvEEbEEEE10hipError_tPvRmT1_T2_T3_mmT4_T5_P12ihipStream_tbEUlRKyE_EESM_SQ_SR_mSS_SV_bEUlT_E_NS1_11comp_targetILNS1_3genE10ELNS1_11target_archE1201ELNS1_3gpuE5ELNS1_3repE0EEENS1_30default_config_static_selectorELNS0_4arch9wavefront6targetE1EEEvSP_
	.p2align	8
	.type	_ZN7rocprim17ROCPRIM_400000_NS6detail17trampoline_kernelINS0_14default_configENS1_29binary_search_config_selectorIyiEEZNS1_14transform_implILb0ES3_S5_N6thrust23THRUST_200600_302600_NS6detail15normal_iteratorINS8_10device_ptrIyEEEENSA_INSB_IiEEEEZNS1_13binary_searchIS3_S5_SD_SD_SF_NS1_16binary_search_opENS9_16wrapped_functionINS0_4lessIvEEbEEEE10hipError_tPvRmT1_T2_T3_mmT4_T5_P12ihipStream_tbEUlRKyE_EESM_SQ_SR_mSS_SV_bEUlT_E_NS1_11comp_targetILNS1_3genE10ELNS1_11target_archE1201ELNS1_3gpuE5ELNS1_3repE0EEENS1_30default_config_static_selectorELNS0_4arch9wavefront6targetE1EEEvSP_,@function
_ZN7rocprim17ROCPRIM_400000_NS6detail17trampoline_kernelINS0_14default_configENS1_29binary_search_config_selectorIyiEEZNS1_14transform_implILb0ES3_S5_N6thrust23THRUST_200600_302600_NS6detail15normal_iteratorINS8_10device_ptrIyEEEENSA_INSB_IiEEEEZNS1_13binary_searchIS3_S5_SD_SD_SF_NS1_16binary_search_opENS9_16wrapped_functionINS0_4lessIvEEbEEEE10hipError_tPvRmT1_T2_T3_mmT4_T5_P12ihipStream_tbEUlRKyE_EESM_SQ_SR_mSS_SV_bEUlT_E_NS1_11comp_targetILNS1_3genE10ELNS1_11target_archE1201ELNS1_3gpuE5ELNS1_3repE0EEENS1_30default_config_static_selectorELNS0_4arch9wavefront6targetE1EEEvSP_: ; @_ZN7rocprim17ROCPRIM_400000_NS6detail17trampoline_kernelINS0_14default_configENS1_29binary_search_config_selectorIyiEEZNS1_14transform_implILb0ES3_S5_N6thrust23THRUST_200600_302600_NS6detail15normal_iteratorINS8_10device_ptrIyEEEENSA_INSB_IiEEEEZNS1_13binary_searchIS3_S5_SD_SD_SF_NS1_16binary_search_opENS9_16wrapped_functionINS0_4lessIvEEbEEEE10hipError_tPvRmT1_T2_T3_mmT4_T5_P12ihipStream_tbEUlRKyE_EESM_SQ_SR_mSS_SV_bEUlT_E_NS1_11comp_targetILNS1_3genE10ELNS1_11target_archE1201ELNS1_3gpuE5ELNS1_3repE0EEENS1_30default_config_static_selectorELNS0_4arch9wavefront6targetE1EEEvSP_
; %bb.0:
	.section	.rodata,"a",@progbits
	.p2align	6, 0x0
	.amdhsa_kernel _ZN7rocprim17ROCPRIM_400000_NS6detail17trampoline_kernelINS0_14default_configENS1_29binary_search_config_selectorIyiEEZNS1_14transform_implILb0ES3_S5_N6thrust23THRUST_200600_302600_NS6detail15normal_iteratorINS8_10device_ptrIyEEEENSA_INSB_IiEEEEZNS1_13binary_searchIS3_S5_SD_SD_SF_NS1_16binary_search_opENS9_16wrapped_functionINS0_4lessIvEEbEEEE10hipError_tPvRmT1_T2_T3_mmT4_T5_P12ihipStream_tbEUlRKyE_EESM_SQ_SR_mSS_SV_bEUlT_E_NS1_11comp_targetILNS1_3genE10ELNS1_11target_archE1201ELNS1_3gpuE5ELNS1_3repE0EEENS1_30default_config_static_selectorELNS0_4arch9wavefront6targetE1EEEvSP_
		.amdhsa_group_segment_fixed_size 0
		.amdhsa_private_segment_fixed_size 0
		.amdhsa_kernarg_size 56
		.amdhsa_user_sgpr_count 6
		.amdhsa_user_sgpr_private_segment_buffer 1
		.amdhsa_user_sgpr_dispatch_ptr 0
		.amdhsa_user_sgpr_queue_ptr 0
		.amdhsa_user_sgpr_kernarg_segment_ptr 1
		.amdhsa_user_sgpr_dispatch_id 0
		.amdhsa_user_sgpr_flat_scratch_init 0
		.amdhsa_user_sgpr_kernarg_preload_length 0
		.amdhsa_user_sgpr_kernarg_preload_offset 0
		.amdhsa_user_sgpr_private_segment_size 0
		.amdhsa_uses_dynamic_stack 0
		.amdhsa_system_sgpr_private_segment_wavefront_offset 0
		.amdhsa_system_sgpr_workgroup_id_x 1
		.amdhsa_system_sgpr_workgroup_id_y 0
		.amdhsa_system_sgpr_workgroup_id_z 0
		.amdhsa_system_sgpr_workgroup_info 0
		.amdhsa_system_vgpr_workitem_id 0
		.amdhsa_next_free_vgpr 1
		.amdhsa_next_free_sgpr 0
		.amdhsa_accum_offset 4
		.amdhsa_reserve_vcc 0
		.amdhsa_reserve_flat_scratch 0
		.amdhsa_float_round_mode_32 0
		.amdhsa_float_round_mode_16_64 0
		.amdhsa_float_denorm_mode_32 3
		.amdhsa_float_denorm_mode_16_64 3
		.amdhsa_dx10_clamp 1
		.amdhsa_ieee_mode 1
		.amdhsa_fp16_overflow 0
		.amdhsa_tg_split 0
		.amdhsa_exception_fp_ieee_invalid_op 0
		.amdhsa_exception_fp_denorm_src 0
		.amdhsa_exception_fp_ieee_div_zero 0
		.amdhsa_exception_fp_ieee_overflow 0
		.amdhsa_exception_fp_ieee_underflow 0
		.amdhsa_exception_fp_ieee_inexact 0
		.amdhsa_exception_int_div_zero 0
	.end_amdhsa_kernel
	.section	.text._ZN7rocprim17ROCPRIM_400000_NS6detail17trampoline_kernelINS0_14default_configENS1_29binary_search_config_selectorIyiEEZNS1_14transform_implILb0ES3_S5_N6thrust23THRUST_200600_302600_NS6detail15normal_iteratorINS8_10device_ptrIyEEEENSA_INSB_IiEEEEZNS1_13binary_searchIS3_S5_SD_SD_SF_NS1_16binary_search_opENS9_16wrapped_functionINS0_4lessIvEEbEEEE10hipError_tPvRmT1_T2_T3_mmT4_T5_P12ihipStream_tbEUlRKyE_EESM_SQ_SR_mSS_SV_bEUlT_E_NS1_11comp_targetILNS1_3genE10ELNS1_11target_archE1201ELNS1_3gpuE5ELNS1_3repE0EEENS1_30default_config_static_selectorELNS0_4arch9wavefront6targetE1EEEvSP_,"axG",@progbits,_ZN7rocprim17ROCPRIM_400000_NS6detail17trampoline_kernelINS0_14default_configENS1_29binary_search_config_selectorIyiEEZNS1_14transform_implILb0ES3_S5_N6thrust23THRUST_200600_302600_NS6detail15normal_iteratorINS8_10device_ptrIyEEEENSA_INSB_IiEEEEZNS1_13binary_searchIS3_S5_SD_SD_SF_NS1_16binary_search_opENS9_16wrapped_functionINS0_4lessIvEEbEEEE10hipError_tPvRmT1_T2_T3_mmT4_T5_P12ihipStream_tbEUlRKyE_EESM_SQ_SR_mSS_SV_bEUlT_E_NS1_11comp_targetILNS1_3genE10ELNS1_11target_archE1201ELNS1_3gpuE5ELNS1_3repE0EEENS1_30default_config_static_selectorELNS0_4arch9wavefront6targetE1EEEvSP_,comdat
.Lfunc_end452:
	.size	_ZN7rocprim17ROCPRIM_400000_NS6detail17trampoline_kernelINS0_14default_configENS1_29binary_search_config_selectorIyiEEZNS1_14transform_implILb0ES3_S5_N6thrust23THRUST_200600_302600_NS6detail15normal_iteratorINS8_10device_ptrIyEEEENSA_INSB_IiEEEEZNS1_13binary_searchIS3_S5_SD_SD_SF_NS1_16binary_search_opENS9_16wrapped_functionINS0_4lessIvEEbEEEE10hipError_tPvRmT1_T2_T3_mmT4_T5_P12ihipStream_tbEUlRKyE_EESM_SQ_SR_mSS_SV_bEUlT_E_NS1_11comp_targetILNS1_3genE10ELNS1_11target_archE1201ELNS1_3gpuE5ELNS1_3repE0EEENS1_30default_config_static_selectorELNS0_4arch9wavefront6targetE1EEEvSP_, .Lfunc_end452-_ZN7rocprim17ROCPRIM_400000_NS6detail17trampoline_kernelINS0_14default_configENS1_29binary_search_config_selectorIyiEEZNS1_14transform_implILb0ES3_S5_N6thrust23THRUST_200600_302600_NS6detail15normal_iteratorINS8_10device_ptrIyEEEENSA_INSB_IiEEEEZNS1_13binary_searchIS3_S5_SD_SD_SF_NS1_16binary_search_opENS9_16wrapped_functionINS0_4lessIvEEbEEEE10hipError_tPvRmT1_T2_T3_mmT4_T5_P12ihipStream_tbEUlRKyE_EESM_SQ_SR_mSS_SV_bEUlT_E_NS1_11comp_targetILNS1_3genE10ELNS1_11target_archE1201ELNS1_3gpuE5ELNS1_3repE0EEENS1_30default_config_static_selectorELNS0_4arch9wavefront6targetE1EEEvSP_
                                        ; -- End function
	.section	.AMDGPU.csdata,"",@progbits
; Kernel info:
; codeLenInByte = 0
; NumSgprs: 4
; NumVgprs: 0
; NumAgprs: 0
; TotalNumVgprs: 0
; ScratchSize: 0
; MemoryBound: 0
; FloatMode: 240
; IeeeMode: 1
; LDSByteSize: 0 bytes/workgroup (compile time only)
; SGPRBlocks: 0
; VGPRBlocks: 0
; NumSGPRsForWavesPerEU: 4
; NumVGPRsForWavesPerEU: 1
; AccumOffset: 4
; Occupancy: 8
; WaveLimiterHint : 0
; COMPUTE_PGM_RSRC2:SCRATCH_EN: 0
; COMPUTE_PGM_RSRC2:USER_SGPR: 6
; COMPUTE_PGM_RSRC2:TRAP_HANDLER: 0
; COMPUTE_PGM_RSRC2:TGID_X_EN: 1
; COMPUTE_PGM_RSRC2:TGID_Y_EN: 0
; COMPUTE_PGM_RSRC2:TGID_Z_EN: 0
; COMPUTE_PGM_RSRC2:TIDIG_COMP_CNT: 0
; COMPUTE_PGM_RSRC3_GFX90A:ACCUM_OFFSET: 0
; COMPUTE_PGM_RSRC3_GFX90A:TG_SPLIT: 0
	.section	.text._ZN7rocprim17ROCPRIM_400000_NS6detail17trampoline_kernelINS0_14default_configENS1_29binary_search_config_selectorIyiEEZNS1_14transform_implILb0ES3_S5_N6thrust23THRUST_200600_302600_NS6detail15normal_iteratorINS8_10device_ptrIyEEEENSA_INSB_IiEEEEZNS1_13binary_searchIS3_S5_SD_SD_SF_NS1_16binary_search_opENS9_16wrapped_functionINS0_4lessIvEEbEEEE10hipError_tPvRmT1_T2_T3_mmT4_T5_P12ihipStream_tbEUlRKyE_EESM_SQ_SR_mSS_SV_bEUlT_E_NS1_11comp_targetILNS1_3genE10ELNS1_11target_archE1200ELNS1_3gpuE4ELNS1_3repE0EEENS1_30default_config_static_selectorELNS0_4arch9wavefront6targetE1EEEvSP_,"axG",@progbits,_ZN7rocprim17ROCPRIM_400000_NS6detail17trampoline_kernelINS0_14default_configENS1_29binary_search_config_selectorIyiEEZNS1_14transform_implILb0ES3_S5_N6thrust23THRUST_200600_302600_NS6detail15normal_iteratorINS8_10device_ptrIyEEEENSA_INSB_IiEEEEZNS1_13binary_searchIS3_S5_SD_SD_SF_NS1_16binary_search_opENS9_16wrapped_functionINS0_4lessIvEEbEEEE10hipError_tPvRmT1_T2_T3_mmT4_T5_P12ihipStream_tbEUlRKyE_EESM_SQ_SR_mSS_SV_bEUlT_E_NS1_11comp_targetILNS1_3genE10ELNS1_11target_archE1200ELNS1_3gpuE4ELNS1_3repE0EEENS1_30default_config_static_selectorELNS0_4arch9wavefront6targetE1EEEvSP_,comdat
	.protected	_ZN7rocprim17ROCPRIM_400000_NS6detail17trampoline_kernelINS0_14default_configENS1_29binary_search_config_selectorIyiEEZNS1_14transform_implILb0ES3_S5_N6thrust23THRUST_200600_302600_NS6detail15normal_iteratorINS8_10device_ptrIyEEEENSA_INSB_IiEEEEZNS1_13binary_searchIS3_S5_SD_SD_SF_NS1_16binary_search_opENS9_16wrapped_functionINS0_4lessIvEEbEEEE10hipError_tPvRmT1_T2_T3_mmT4_T5_P12ihipStream_tbEUlRKyE_EESM_SQ_SR_mSS_SV_bEUlT_E_NS1_11comp_targetILNS1_3genE10ELNS1_11target_archE1200ELNS1_3gpuE4ELNS1_3repE0EEENS1_30default_config_static_selectorELNS0_4arch9wavefront6targetE1EEEvSP_ ; -- Begin function _ZN7rocprim17ROCPRIM_400000_NS6detail17trampoline_kernelINS0_14default_configENS1_29binary_search_config_selectorIyiEEZNS1_14transform_implILb0ES3_S5_N6thrust23THRUST_200600_302600_NS6detail15normal_iteratorINS8_10device_ptrIyEEEENSA_INSB_IiEEEEZNS1_13binary_searchIS3_S5_SD_SD_SF_NS1_16binary_search_opENS9_16wrapped_functionINS0_4lessIvEEbEEEE10hipError_tPvRmT1_T2_T3_mmT4_T5_P12ihipStream_tbEUlRKyE_EESM_SQ_SR_mSS_SV_bEUlT_E_NS1_11comp_targetILNS1_3genE10ELNS1_11target_archE1200ELNS1_3gpuE4ELNS1_3repE0EEENS1_30default_config_static_selectorELNS0_4arch9wavefront6targetE1EEEvSP_
	.globl	_ZN7rocprim17ROCPRIM_400000_NS6detail17trampoline_kernelINS0_14default_configENS1_29binary_search_config_selectorIyiEEZNS1_14transform_implILb0ES3_S5_N6thrust23THRUST_200600_302600_NS6detail15normal_iteratorINS8_10device_ptrIyEEEENSA_INSB_IiEEEEZNS1_13binary_searchIS3_S5_SD_SD_SF_NS1_16binary_search_opENS9_16wrapped_functionINS0_4lessIvEEbEEEE10hipError_tPvRmT1_T2_T3_mmT4_T5_P12ihipStream_tbEUlRKyE_EESM_SQ_SR_mSS_SV_bEUlT_E_NS1_11comp_targetILNS1_3genE10ELNS1_11target_archE1200ELNS1_3gpuE4ELNS1_3repE0EEENS1_30default_config_static_selectorELNS0_4arch9wavefront6targetE1EEEvSP_
	.p2align	8
	.type	_ZN7rocprim17ROCPRIM_400000_NS6detail17trampoline_kernelINS0_14default_configENS1_29binary_search_config_selectorIyiEEZNS1_14transform_implILb0ES3_S5_N6thrust23THRUST_200600_302600_NS6detail15normal_iteratorINS8_10device_ptrIyEEEENSA_INSB_IiEEEEZNS1_13binary_searchIS3_S5_SD_SD_SF_NS1_16binary_search_opENS9_16wrapped_functionINS0_4lessIvEEbEEEE10hipError_tPvRmT1_T2_T3_mmT4_T5_P12ihipStream_tbEUlRKyE_EESM_SQ_SR_mSS_SV_bEUlT_E_NS1_11comp_targetILNS1_3genE10ELNS1_11target_archE1200ELNS1_3gpuE4ELNS1_3repE0EEENS1_30default_config_static_selectorELNS0_4arch9wavefront6targetE1EEEvSP_,@function
_ZN7rocprim17ROCPRIM_400000_NS6detail17trampoline_kernelINS0_14default_configENS1_29binary_search_config_selectorIyiEEZNS1_14transform_implILb0ES3_S5_N6thrust23THRUST_200600_302600_NS6detail15normal_iteratorINS8_10device_ptrIyEEEENSA_INSB_IiEEEEZNS1_13binary_searchIS3_S5_SD_SD_SF_NS1_16binary_search_opENS9_16wrapped_functionINS0_4lessIvEEbEEEE10hipError_tPvRmT1_T2_T3_mmT4_T5_P12ihipStream_tbEUlRKyE_EESM_SQ_SR_mSS_SV_bEUlT_E_NS1_11comp_targetILNS1_3genE10ELNS1_11target_archE1200ELNS1_3gpuE4ELNS1_3repE0EEENS1_30default_config_static_selectorELNS0_4arch9wavefront6targetE1EEEvSP_: ; @_ZN7rocprim17ROCPRIM_400000_NS6detail17trampoline_kernelINS0_14default_configENS1_29binary_search_config_selectorIyiEEZNS1_14transform_implILb0ES3_S5_N6thrust23THRUST_200600_302600_NS6detail15normal_iteratorINS8_10device_ptrIyEEEENSA_INSB_IiEEEEZNS1_13binary_searchIS3_S5_SD_SD_SF_NS1_16binary_search_opENS9_16wrapped_functionINS0_4lessIvEEbEEEE10hipError_tPvRmT1_T2_T3_mmT4_T5_P12ihipStream_tbEUlRKyE_EESM_SQ_SR_mSS_SV_bEUlT_E_NS1_11comp_targetILNS1_3genE10ELNS1_11target_archE1200ELNS1_3gpuE4ELNS1_3repE0EEENS1_30default_config_static_selectorELNS0_4arch9wavefront6targetE1EEEvSP_
; %bb.0:
	.section	.rodata,"a",@progbits
	.p2align	6, 0x0
	.amdhsa_kernel _ZN7rocprim17ROCPRIM_400000_NS6detail17trampoline_kernelINS0_14default_configENS1_29binary_search_config_selectorIyiEEZNS1_14transform_implILb0ES3_S5_N6thrust23THRUST_200600_302600_NS6detail15normal_iteratorINS8_10device_ptrIyEEEENSA_INSB_IiEEEEZNS1_13binary_searchIS3_S5_SD_SD_SF_NS1_16binary_search_opENS9_16wrapped_functionINS0_4lessIvEEbEEEE10hipError_tPvRmT1_T2_T3_mmT4_T5_P12ihipStream_tbEUlRKyE_EESM_SQ_SR_mSS_SV_bEUlT_E_NS1_11comp_targetILNS1_3genE10ELNS1_11target_archE1200ELNS1_3gpuE4ELNS1_3repE0EEENS1_30default_config_static_selectorELNS0_4arch9wavefront6targetE1EEEvSP_
		.amdhsa_group_segment_fixed_size 0
		.amdhsa_private_segment_fixed_size 0
		.amdhsa_kernarg_size 56
		.amdhsa_user_sgpr_count 6
		.amdhsa_user_sgpr_private_segment_buffer 1
		.amdhsa_user_sgpr_dispatch_ptr 0
		.amdhsa_user_sgpr_queue_ptr 0
		.amdhsa_user_sgpr_kernarg_segment_ptr 1
		.amdhsa_user_sgpr_dispatch_id 0
		.amdhsa_user_sgpr_flat_scratch_init 0
		.amdhsa_user_sgpr_kernarg_preload_length 0
		.amdhsa_user_sgpr_kernarg_preload_offset 0
		.amdhsa_user_sgpr_private_segment_size 0
		.amdhsa_uses_dynamic_stack 0
		.amdhsa_system_sgpr_private_segment_wavefront_offset 0
		.amdhsa_system_sgpr_workgroup_id_x 1
		.amdhsa_system_sgpr_workgroup_id_y 0
		.amdhsa_system_sgpr_workgroup_id_z 0
		.amdhsa_system_sgpr_workgroup_info 0
		.amdhsa_system_vgpr_workitem_id 0
		.amdhsa_next_free_vgpr 1
		.amdhsa_next_free_sgpr 0
		.amdhsa_accum_offset 4
		.amdhsa_reserve_vcc 0
		.amdhsa_reserve_flat_scratch 0
		.amdhsa_float_round_mode_32 0
		.amdhsa_float_round_mode_16_64 0
		.amdhsa_float_denorm_mode_32 3
		.amdhsa_float_denorm_mode_16_64 3
		.amdhsa_dx10_clamp 1
		.amdhsa_ieee_mode 1
		.amdhsa_fp16_overflow 0
		.amdhsa_tg_split 0
		.amdhsa_exception_fp_ieee_invalid_op 0
		.amdhsa_exception_fp_denorm_src 0
		.amdhsa_exception_fp_ieee_div_zero 0
		.amdhsa_exception_fp_ieee_overflow 0
		.amdhsa_exception_fp_ieee_underflow 0
		.amdhsa_exception_fp_ieee_inexact 0
		.amdhsa_exception_int_div_zero 0
	.end_amdhsa_kernel
	.section	.text._ZN7rocprim17ROCPRIM_400000_NS6detail17trampoline_kernelINS0_14default_configENS1_29binary_search_config_selectorIyiEEZNS1_14transform_implILb0ES3_S5_N6thrust23THRUST_200600_302600_NS6detail15normal_iteratorINS8_10device_ptrIyEEEENSA_INSB_IiEEEEZNS1_13binary_searchIS3_S5_SD_SD_SF_NS1_16binary_search_opENS9_16wrapped_functionINS0_4lessIvEEbEEEE10hipError_tPvRmT1_T2_T3_mmT4_T5_P12ihipStream_tbEUlRKyE_EESM_SQ_SR_mSS_SV_bEUlT_E_NS1_11comp_targetILNS1_3genE10ELNS1_11target_archE1200ELNS1_3gpuE4ELNS1_3repE0EEENS1_30default_config_static_selectorELNS0_4arch9wavefront6targetE1EEEvSP_,"axG",@progbits,_ZN7rocprim17ROCPRIM_400000_NS6detail17trampoline_kernelINS0_14default_configENS1_29binary_search_config_selectorIyiEEZNS1_14transform_implILb0ES3_S5_N6thrust23THRUST_200600_302600_NS6detail15normal_iteratorINS8_10device_ptrIyEEEENSA_INSB_IiEEEEZNS1_13binary_searchIS3_S5_SD_SD_SF_NS1_16binary_search_opENS9_16wrapped_functionINS0_4lessIvEEbEEEE10hipError_tPvRmT1_T2_T3_mmT4_T5_P12ihipStream_tbEUlRKyE_EESM_SQ_SR_mSS_SV_bEUlT_E_NS1_11comp_targetILNS1_3genE10ELNS1_11target_archE1200ELNS1_3gpuE4ELNS1_3repE0EEENS1_30default_config_static_selectorELNS0_4arch9wavefront6targetE1EEEvSP_,comdat
.Lfunc_end453:
	.size	_ZN7rocprim17ROCPRIM_400000_NS6detail17trampoline_kernelINS0_14default_configENS1_29binary_search_config_selectorIyiEEZNS1_14transform_implILb0ES3_S5_N6thrust23THRUST_200600_302600_NS6detail15normal_iteratorINS8_10device_ptrIyEEEENSA_INSB_IiEEEEZNS1_13binary_searchIS3_S5_SD_SD_SF_NS1_16binary_search_opENS9_16wrapped_functionINS0_4lessIvEEbEEEE10hipError_tPvRmT1_T2_T3_mmT4_T5_P12ihipStream_tbEUlRKyE_EESM_SQ_SR_mSS_SV_bEUlT_E_NS1_11comp_targetILNS1_3genE10ELNS1_11target_archE1200ELNS1_3gpuE4ELNS1_3repE0EEENS1_30default_config_static_selectorELNS0_4arch9wavefront6targetE1EEEvSP_, .Lfunc_end453-_ZN7rocprim17ROCPRIM_400000_NS6detail17trampoline_kernelINS0_14default_configENS1_29binary_search_config_selectorIyiEEZNS1_14transform_implILb0ES3_S5_N6thrust23THRUST_200600_302600_NS6detail15normal_iteratorINS8_10device_ptrIyEEEENSA_INSB_IiEEEEZNS1_13binary_searchIS3_S5_SD_SD_SF_NS1_16binary_search_opENS9_16wrapped_functionINS0_4lessIvEEbEEEE10hipError_tPvRmT1_T2_T3_mmT4_T5_P12ihipStream_tbEUlRKyE_EESM_SQ_SR_mSS_SV_bEUlT_E_NS1_11comp_targetILNS1_3genE10ELNS1_11target_archE1200ELNS1_3gpuE4ELNS1_3repE0EEENS1_30default_config_static_selectorELNS0_4arch9wavefront6targetE1EEEvSP_
                                        ; -- End function
	.section	.AMDGPU.csdata,"",@progbits
; Kernel info:
; codeLenInByte = 0
; NumSgprs: 4
; NumVgprs: 0
; NumAgprs: 0
; TotalNumVgprs: 0
; ScratchSize: 0
; MemoryBound: 0
; FloatMode: 240
; IeeeMode: 1
; LDSByteSize: 0 bytes/workgroup (compile time only)
; SGPRBlocks: 0
; VGPRBlocks: 0
; NumSGPRsForWavesPerEU: 4
; NumVGPRsForWavesPerEU: 1
; AccumOffset: 4
; Occupancy: 8
; WaveLimiterHint : 0
; COMPUTE_PGM_RSRC2:SCRATCH_EN: 0
; COMPUTE_PGM_RSRC2:USER_SGPR: 6
; COMPUTE_PGM_RSRC2:TRAP_HANDLER: 0
; COMPUTE_PGM_RSRC2:TGID_X_EN: 1
; COMPUTE_PGM_RSRC2:TGID_Y_EN: 0
; COMPUTE_PGM_RSRC2:TGID_Z_EN: 0
; COMPUTE_PGM_RSRC2:TIDIG_COMP_CNT: 0
; COMPUTE_PGM_RSRC3_GFX90A:ACCUM_OFFSET: 0
; COMPUTE_PGM_RSRC3_GFX90A:TG_SPLIT: 0
	.section	.text._ZN7rocprim17ROCPRIM_400000_NS6detail17trampoline_kernelINS0_14default_configENS1_29binary_search_config_selectorIyiEEZNS1_14transform_implILb0ES3_S5_N6thrust23THRUST_200600_302600_NS6detail15normal_iteratorINS8_10device_ptrIyEEEENSA_INSB_IiEEEEZNS1_13binary_searchIS3_S5_SD_SD_SF_NS1_16binary_search_opENS9_16wrapped_functionINS0_4lessIvEEbEEEE10hipError_tPvRmT1_T2_T3_mmT4_T5_P12ihipStream_tbEUlRKyE_EESM_SQ_SR_mSS_SV_bEUlT_E_NS1_11comp_targetILNS1_3genE9ELNS1_11target_archE1100ELNS1_3gpuE3ELNS1_3repE0EEENS1_30default_config_static_selectorELNS0_4arch9wavefront6targetE1EEEvSP_,"axG",@progbits,_ZN7rocprim17ROCPRIM_400000_NS6detail17trampoline_kernelINS0_14default_configENS1_29binary_search_config_selectorIyiEEZNS1_14transform_implILb0ES3_S5_N6thrust23THRUST_200600_302600_NS6detail15normal_iteratorINS8_10device_ptrIyEEEENSA_INSB_IiEEEEZNS1_13binary_searchIS3_S5_SD_SD_SF_NS1_16binary_search_opENS9_16wrapped_functionINS0_4lessIvEEbEEEE10hipError_tPvRmT1_T2_T3_mmT4_T5_P12ihipStream_tbEUlRKyE_EESM_SQ_SR_mSS_SV_bEUlT_E_NS1_11comp_targetILNS1_3genE9ELNS1_11target_archE1100ELNS1_3gpuE3ELNS1_3repE0EEENS1_30default_config_static_selectorELNS0_4arch9wavefront6targetE1EEEvSP_,comdat
	.protected	_ZN7rocprim17ROCPRIM_400000_NS6detail17trampoline_kernelINS0_14default_configENS1_29binary_search_config_selectorIyiEEZNS1_14transform_implILb0ES3_S5_N6thrust23THRUST_200600_302600_NS6detail15normal_iteratorINS8_10device_ptrIyEEEENSA_INSB_IiEEEEZNS1_13binary_searchIS3_S5_SD_SD_SF_NS1_16binary_search_opENS9_16wrapped_functionINS0_4lessIvEEbEEEE10hipError_tPvRmT1_T2_T3_mmT4_T5_P12ihipStream_tbEUlRKyE_EESM_SQ_SR_mSS_SV_bEUlT_E_NS1_11comp_targetILNS1_3genE9ELNS1_11target_archE1100ELNS1_3gpuE3ELNS1_3repE0EEENS1_30default_config_static_selectorELNS0_4arch9wavefront6targetE1EEEvSP_ ; -- Begin function _ZN7rocprim17ROCPRIM_400000_NS6detail17trampoline_kernelINS0_14default_configENS1_29binary_search_config_selectorIyiEEZNS1_14transform_implILb0ES3_S5_N6thrust23THRUST_200600_302600_NS6detail15normal_iteratorINS8_10device_ptrIyEEEENSA_INSB_IiEEEEZNS1_13binary_searchIS3_S5_SD_SD_SF_NS1_16binary_search_opENS9_16wrapped_functionINS0_4lessIvEEbEEEE10hipError_tPvRmT1_T2_T3_mmT4_T5_P12ihipStream_tbEUlRKyE_EESM_SQ_SR_mSS_SV_bEUlT_E_NS1_11comp_targetILNS1_3genE9ELNS1_11target_archE1100ELNS1_3gpuE3ELNS1_3repE0EEENS1_30default_config_static_selectorELNS0_4arch9wavefront6targetE1EEEvSP_
	.globl	_ZN7rocprim17ROCPRIM_400000_NS6detail17trampoline_kernelINS0_14default_configENS1_29binary_search_config_selectorIyiEEZNS1_14transform_implILb0ES3_S5_N6thrust23THRUST_200600_302600_NS6detail15normal_iteratorINS8_10device_ptrIyEEEENSA_INSB_IiEEEEZNS1_13binary_searchIS3_S5_SD_SD_SF_NS1_16binary_search_opENS9_16wrapped_functionINS0_4lessIvEEbEEEE10hipError_tPvRmT1_T2_T3_mmT4_T5_P12ihipStream_tbEUlRKyE_EESM_SQ_SR_mSS_SV_bEUlT_E_NS1_11comp_targetILNS1_3genE9ELNS1_11target_archE1100ELNS1_3gpuE3ELNS1_3repE0EEENS1_30default_config_static_selectorELNS0_4arch9wavefront6targetE1EEEvSP_
	.p2align	8
	.type	_ZN7rocprim17ROCPRIM_400000_NS6detail17trampoline_kernelINS0_14default_configENS1_29binary_search_config_selectorIyiEEZNS1_14transform_implILb0ES3_S5_N6thrust23THRUST_200600_302600_NS6detail15normal_iteratorINS8_10device_ptrIyEEEENSA_INSB_IiEEEEZNS1_13binary_searchIS3_S5_SD_SD_SF_NS1_16binary_search_opENS9_16wrapped_functionINS0_4lessIvEEbEEEE10hipError_tPvRmT1_T2_T3_mmT4_T5_P12ihipStream_tbEUlRKyE_EESM_SQ_SR_mSS_SV_bEUlT_E_NS1_11comp_targetILNS1_3genE9ELNS1_11target_archE1100ELNS1_3gpuE3ELNS1_3repE0EEENS1_30default_config_static_selectorELNS0_4arch9wavefront6targetE1EEEvSP_,@function
_ZN7rocprim17ROCPRIM_400000_NS6detail17trampoline_kernelINS0_14default_configENS1_29binary_search_config_selectorIyiEEZNS1_14transform_implILb0ES3_S5_N6thrust23THRUST_200600_302600_NS6detail15normal_iteratorINS8_10device_ptrIyEEEENSA_INSB_IiEEEEZNS1_13binary_searchIS3_S5_SD_SD_SF_NS1_16binary_search_opENS9_16wrapped_functionINS0_4lessIvEEbEEEE10hipError_tPvRmT1_T2_T3_mmT4_T5_P12ihipStream_tbEUlRKyE_EESM_SQ_SR_mSS_SV_bEUlT_E_NS1_11comp_targetILNS1_3genE9ELNS1_11target_archE1100ELNS1_3gpuE3ELNS1_3repE0EEENS1_30default_config_static_selectorELNS0_4arch9wavefront6targetE1EEEvSP_: ; @_ZN7rocprim17ROCPRIM_400000_NS6detail17trampoline_kernelINS0_14default_configENS1_29binary_search_config_selectorIyiEEZNS1_14transform_implILb0ES3_S5_N6thrust23THRUST_200600_302600_NS6detail15normal_iteratorINS8_10device_ptrIyEEEENSA_INSB_IiEEEEZNS1_13binary_searchIS3_S5_SD_SD_SF_NS1_16binary_search_opENS9_16wrapped_functionINS0_4lessIvEEbEEEE10hipError_tPvRmT1_T2_T3_mmT4_T5_P12ihipStream_tbEUlRKyE_EESM_SQ_SR_mSS_SV_bEUlT_E_NS1_11comp_targetILNS1_3genE9ELNS1_11target_archE1100ELNS1_3gpuE3ELNS1_3repE0EEENS1_30default_config_static_selectorELNS0_4arch9wavefront6targetE1EEEvSP_
; %bb.0:
	.section	.rodata,"a",@progbits
	.p2align	6, 0x0
	.amdhsa_kernel _ZN7rocprim17ROCPRIM_400000_NS6detail17trampoline_kernelINS0_14default_configENS1_29binary_search_config_selectorIyiEEZNS1_14transform_implILb0ES3_S5_N6thrust23THRUST_200600_302600_NS6detail15normal_iteratorINS8_10device_ptrIyEEEENSA_INSB_IiEEEEZNS1_13binary_searchIS3_S5_SD_SD_SF_NS1_16binary_search_opENS9_16wrapped_functionINS0_4lessIvEEbEEEE10hipError_tPvRmT1_T2_T3_mmT4_T5_P12ihipStream_tbEUlRKyE_EESM_SQ_SR_mSS_SV_bEUlT_E_NS1_11comp_targetILNS1_3genE9ELNS1_11target_archE1100ELNS1_3gpuE3ELNS1_3repE0EEENS1_30default_config_static_selectorELNS0_4arch9wavefront6targetE1EEEvSP_
		.amdhsa_group_segment_fixed_size 0
		.amdhsa_private_segment_fixed_size 0
		.amdhsa_kernarg_size 56
		.amdhsa_user_sgpr_count 6
		.amdhsa_user_sgpr_private_segment_buffer 1
		.amdhsa_user_sgpr_dispatch_ptr 0
		.amdhsa_user_sgpr_queue_ptr 0
		.amdhsa_user_sgpr_kernarg_segment_ptr 1
		.amdhsa_user_sgpr_dispatch_id 0
		.amdhsa_user_sgpr_flat_scratch_init 0
		.amdhsa_user_sgpr_kernarg_preload_length 0
		.amdhsa_user_sgpr_kernarg_preload_offset 0
		.amdhsa_user_sgpr_private_segment_size 0
		.amdhsa_uses_dynamic_stack 0
		.amdhsa_system_sgpr_private_segment_wavefront_offset 0
		.amdhsa_system_sgpr_workgroup_id_x 1
		.amdhsa_system_sgpr_workgroup_id_y 0
		.amdhsa_system_sgpr_workgroup_id_z 0
		.amdhsa_system_sgpr_workgroup_info 0
		.amdhsa_system_vgpr_workitem_id 0
		.amdhsa_next_free_vgpr 1
		.amdhsa_next_free_sgpr 0
		.amdhsa_accum_offset 4
		.amdhsa_reserve_vcc 0
		.amdhsa_reserve_flat_scratch 0
		.amdhsa_float_round_mode_32 0
		.amdhsa_float_round_mode_16_64 0
		.amdhsa_float_denorm_mode_32 3
		.amdhsa_float_denorm_mode_16_64 3
		.amdhsa_dx10_clamp 1
		.amdhsa_ieee_mode 1
		.amdhsa_fp16_overflow 0
		.amdhsa_tg_split 0
		.amdhsa_exception_fp_ieee_invalid_op 0
		.amdhsa_exception_fp_denorm_src 0
		.amdhsa_exception_fp_ieee_div_zero 0
		.amdhsa_exception_fp_ieee_overflow 0
		.amdhsa_exception_fp_ieee_underflow 0
		.amdhsa_exception_fp_ieee_inexact 0
		.amdhsa_exception_int_div_zero 0
	.end_amdhsa_kernel
	.section	.text._ZN7rocprim17ROCPRIM_400000_NS6detail17trampoline_kernelINS0_14default_configENS1_29binary_search_config_selectorIyiEEZNS1_14transform_implILb0ES3_S5_N6thrust23THRUST_200600_302600_NS6detail15normal_iteratorINS8_10device_ptrIyEEEENSA_INSB_IiEEEEZNS1_13binary_searchIS3_S5_SD_SD_SF_NS1_16binary_search_opENS9_16wrapped_functionINS0_4lessIvEEbEEEE10hipError_tPvRmT1_T2_T3_mmT4_T5_P12ihipStream_tbEUlRKyE_EESM_SQ_SR_mSS_SV_bEUlT_E_NS1_11comp_targetILNS1_3genE9ELNS1_11target_archE1100ELNS1_3gpuE3ELNS1_3repE0EEENS1_30default_config_static_selectorELNS0_4arch9wavefront6targetE1EEEvSP_,"axG",@progbits,_ZN7rocprim17ROCPRIM_400000_NS6detail17trampoline_kernelINS0_14default_configENS1_29binary_search_config_selectorIyiEEZNS1_14transform_implILb0ES3_S5_N6thrust23THRUST_200600_302600_NS6detail15normal_iteratorINS8_10device_ptrIyEEEENSA_INSB_IiEEEEZNS1_13binary_searchIS3_S5_SD_SD_SF_NS1_16binary_search_opENS9_16wrapped_functionINS0_4lessIvEEbEEEE10hipError_tPvRmT1_T2_T3_mmT4_T5_P12ihipStream_tbEUlRKyE_EESM_SQ_SR_mSS_SV_bEUlT_E_NS1_11comp_targetILNS1_3genE9ELNS1_11target_archE1100ELNS1_3gpuE3ELNS1_3repE0EEENS1_30default_config_static_selectorELNS0_4arch9wavefront6targetE1EEEvSP_,comdat
.Lfunc_end454:
	.size	_ZN7rocprim17ROCPRIM_400000_NS6detail17trampoline_kernelINS0_14default_configENS1_29binary_search_config_selectorIyiEEZNS1_14transform_implILb0ES3_S5_N6thrust23THRUST_200600_302600_NS6detail15normal_iteratorINS8_10device_ptrIyEEEENSA_INSB_IiEEEEZNS1_13binary_searchIS3_S5_SD_SD_SF_NS1_16binary_search_opENS9_16wrapped_functionINS0_4lessIvEEbEEEE10hipError_tPvRmT1_T2_T3_mmT4_T5_P12ihipStream_tbEUlRKyE_EESM_SQ_SR_mSS_SV_bEUlT_E_NS1_11comp_targetILNS1_3genE9ELNS1_11target_archE1100ELNS1_3gpuE3ELNS1_3repE0EEENS1_30default_config_static_selectorELNS0_4arch9wavefront6targetE1EEEvSP_, .Lfunc_end454-_ZN7rocprim17ROCPRIM_400000_NS6detail17trampoline_kernelINS0_14default_configENS1_29binary_search_config_selectorIyiEEZNS1_14transform_implILb0ES3_S5_N6thrust23THRUST_200600_302600_NS6detail15normal_iteratorINS8_10device_ptrIyEEEENSA_INSB_IiEEEEZNS1_13binary_searchIS3_S5_SD_SD_SF_NS1_16binary_search_opENS9_16wrapped_functionINS0_4lessIvEEbEEEE10hipError_tPvRmT1_T2_T3_mmT4_T5_P12ihipStream_tbEUlRKyE_EESM_SQ_SR_mSS_SV_bEUlT_E_NS1_11comp_targetILNS1_3genE9ELNS1_11target_archE1100ELNS1_3gpuE3ELNS1_3repE0EEENS1_30default_config_static_selectorELNS0_4arch9wavefront6targetE1EEEvSP_
                                        ; -- End function
	.section	.AMDGPU.csdata,"",@progbits
; Kernel info:
; codeLenInByte = 0
; NumSgprs: 4
; NumVgprs: 0
; NumAgprs: 0
; TotalNumVgprs: 0
; ScratchSize: 0
; MemoryBound: 0
; FloatMode: 240
; IeeeMode: 1
; LDSByteSize: 0 bytes/workgroup (compile time only)
; SGPRBlocks: 0
; VGPRBlocks: 0
; NumSGPRsForWavesPerEU: 4
; NumVGPRsForWavesPerEU: 1
; AccumOffset: 4
; Occupancy: 8
; WaveLimiterHint : 0
; COMPUTE_PGM_RSRC2:SCRATCH_EN: 0
; COMPUTE_PGM_RSRC2:USER_SGPR: 6
; COMPUTE_PGM_RSRC2:TRAP_HANDLER: 0
; COMPUTE_PGM_RSRC2:TGID_X_EN: 1
; COMPUTE_PGM_RSRC2:TGID_Y_EN: 0
; COMPUTE_PGM_RSRC2:TGID_Z_EN: 0
; COMPUTE_PGM_RSRC2:TIDIG_COMP_CNT: 0
; COMPUTE_PGM_RSRC3_GFX90A:ACCUM_OFFSET: 0
; COMPUTE_PGM_RSRC3_GFX90A:TG_SPLIT: 0
	.section	.text._ZN7rocprim17ROCPRIM_400000_NS6detail17trampoline_kernelINS0_14default_configENS1_29binary_search_config_selectorIyiEEZNS1_14transform_implILb0ES3_S5_N6thrust23THRUST_200600_302600_NS6detail15normal_iteratorINS8_10device_ptrIyEEEENSA_INSB_IiEEEEZNS1_13binary_searchIS3_S5_SD_SD_SF_NS1_16binary_search_opENS9_16wrapped_functionINS0_4lessIvEEbEEEE10hipError_tPvRmT1_T2_T3_mmT4_T5_P12ihipStream_tbEUlRKyE_EESM_SQ_SR_mSS_SV_bEUlT_E_NS1_11comp_targetILNS1_3genE8ELNS1_11target_archE1030ELNS1_3gpuE2ELNS1_3repE0EEENS1_30default_config_static_selectorELNS0_4arch9wavefront6targetE1EEEvSP_,"axG",@progbits,_ZN7rocprim17ROCPRIM_400000_NS6detail17trampoline_kernelINS0_14default_configENS1_29binary_search_config_selectorIyiEEZNS1_14transform_implILb0ES3_S5_N6thrust23THRUST_200600_302600_NS6detail15normal_iteratorINS8_10device_ptrIyEEEENSA_INSB_IiEEEEZNS1_13binary_searchIS3_S5_SD_SD_SF_NS1_16binary_search_opENS9_16wrapped_functionINS0_4lessIvEEbEEEE10hipError_tPvRmT1_T2_T3_mmT4_T5_P12ihipStream_tbEUlRKyE_EESM_SQ_SR_mSS_SV_bEUlT_E_NS1_11comp_targetILNS1_3genE8ELNS1_11target_archE1030ELNS1_3gpuE2ELNS1_3repE0EEENS1_30default_config_static_selectorELNS0_4arch9wavefront6targetE1EEEvSP_,comdat
	.protected	_ZN7rocprim17ROCPRIM_400000_NS6detail17trampoline_kernelINS0_14default_configENS1_29binary_search_config_selectorIyiEEZNS1_14transform_implILb0ES3_S5_N6thrust23THRUST_200600_302600_NS6detail15normal_iteratorINS8_10device_ptrIyEEEENSA_INSB_IiEEEEZNS1_13binary_searchIS3_S5_SD_SD_SF_NS1_16binary_search_opENS9_16wrapped_functionINS0_4lessIvEEbEEEE10hipError_tPvRmT1_T2_T3_mmT4_T5_P12ihipStream_tbEUlRKyE_EESM_SQ_SR_mSS_SV_bEUlT_E_NS1_11comp_targetILNS1_3genE8ELNS1_11target_archE1030ELNS1_3gpuE2ELNS1_3repE0EEENS1_30default_config_static_selectorELNS0_4arch9wavefront6targetE1EEEvSP_ ; -- Begin function _ZN7rocprim17ROCPRIM_400000_NS6detail17trampoline_kernelINS0_14default_configENS1_29binary_search_config_selectorIyiEEZNS1_14transform_implILb0ES3_S5_N6thrust23THRUST_200600_302600_NS6detail15normal_iteratorINS8_10device_ptrIyEEEENSA_INSB_IiEEEEZNS1_13binary_searchIS3_S5_SD_SD_SF_NS1_16binary_search_opENS9_16wrapped_functionINS0_4lessIvEEbEEEE10hipError_tPvRmT1_T2_T3_mmT4_T5_P12ihipStream_tbEUlRKyE_EESM_SQ_SR_mSS_SV_bEUlT_E_NS1_11comp_targetILNS1_3genE8ELNS1_11target_archE1030ELNS1_3gpuE2ELNS1_3repE0EEENS1_30default_config_static_selectorELNS0_4arch9wavefront6targetE1EEEvSP_
	.globl	_ZN7rocprim17ROCPRIM_400000_NS6detail17trampoline_kernelINS0_14default_configENS1_29binary_search_config_selectorIyiEEZNS1_14transform_implILb0ES3_S5_N6thrust23THRUST_200600_302600_NS6detail15normal_iteratorINS8_10device_ptrIyEEEENSA_INSB_IiEEEEZNS1_13binary_searchIS3_S5_SD_SD_SF_NS1_16binary_search_opENS9_16wrapped_functionINS0_4lessIvEEbEEEE10hipError_tPvRmT1_T2_T3_mmT4_T5_P12ihipStream_tbEUlRKyE_EESM_SQ_SR_mSS_SV_bEUlT_E_NS1_11comp_targetILNS1_3genE8ELNS1_11target_archE1030ELNS1_3gpuE2ELNS1_3repE0EEENS1_30default_config_static_selectorELNS0_4arch9wavefront6targetE1EEEvSP_
	.p2align	8
	.type	_ZN7rocprim17ROCPRIM_400000_NS6detail17trampoline_kernelINS0_14default_configENS1_29binary_search_config_selectorIyiEEZNS1_14transform_implILb0ES3_S5_N6thrust23THRUST_200600_302600_NS6detail15normal_iteratorINS8_10device_ptrIyEEEENSA_INSB_IiEEEEZNS1_13binary_searchIS3_S5_SD_SD_SF_NS1_16binary_search_opENS9_16wrapped_functionINS0_4lessIvEEbEEEE10hipError_tPvRmT1_T2_T3_mmT4_T5_P12ihipStream_tbEUlRKyE_EESM_SQ_SR_mSS_SV_bEUlT_E_NS1_11comp_targetILNS1_3genE8ELNS1_11target_archE1030ELNS1_3gpuE2ELNS1_3repE0EEENS1_30default_config_static_selectorELNS0_4arch9wavefront6targetE1EEEvSP_,@function
_ZN7rocprim17ROCPRIM_400000_NS6detail17trampoline_kernelINS0_14default_configENS1_29binary_search_config_selectorIyiEEZNS1_14transform_implILb0ES3_S5_N6thrust23THRUST_200600_302600_NS6detail15normal_iteratorINS8_10device_ptrIyEEEENSA_INSB_IiEEEEZNS1_13binary_searchIS3_S5_SD_SD_SF_NS1_16binary_search_opENS9_16wrapped_functionINS0_4lessIvEEbEEEE10hipError_tPvRmT1_T2_T3_mmT4_T5_P12ihipStream_tbEUlRKyE_EESM_SQ_SR_mSS_SV_bEUlT_E_NS1_11comp_targetILNS1_3genE8ELNS1_11target_archE1030ELNS1_3gpuE2ELNS1_3repE0EEENS1_30default_config_static_selectorELNS0_4arch9wavefront6targetE1EEEvSP_: ; @_ZN7rocprim17ROCPRIM_400000_NS6detail17trampoline_kernelINS0_14default_configENS1_29binary_search_config_selectorIyiEEZNS1_14transform_implILb0ES3_S5_N6thrust23THRUST_200600_302600_NS6detail15normal_iteratorINS8_10device_ptrIyEEEENSA_INSB_IiEEEEZNS1_13binary_searchIS3_S5_SD_SD_SF_NS1_16binary_search_opENS9_16wrapped_functionINS0_4lessIvEEbEEEE10hipError_tPvRmT1_T2_T3_mmT4_T5_P12ihipStream_tbEUlRKyE_EESM_SQ_SR_mSS_SV_bEUlT_E_NS1_11comp_targetILNS1_3genE8ELNS1_11target_archE1030ELNS1_3gpuE2ELNS1_3repE0EEENS1_30default_config_static_selectorELNS0_4arch9wavefront6targetE1EEEvSP_
; %bb.0:
	.section	.rodata,"a",@progbits
	.p2align	6, 0x0
	.amdhsa_kernel _ZN7rocprim17ROCPRIM_400000_NS6detail17trampoline_kernelINS0_14default_configENS1_29binary_search_config_selectorIyiEEZNS1_14transform_implILb0ES3_S5_N6thrust23THRUST_200600_302600_NS6detail15normal_iteratorINS8_10device_ptrIyEEEENSA_INSB_IiEEEEZNS1_13binary_searchIS3_S5_SD_SD_SF_NS1_16binary_search_opENS9_16wrapped_functionINS0_4lessIvEEbEEEE10hipError_tPvRmT1_T2_T3_mmT4_T5_P12ihipStream_tbEUlRKyE_EESM_SQ_SR_mSS_SV_bEUlT_E_NS1_11comp_targetILNS1_3genE8ELNS1_11target_archE1030ELNS1_3gpuE2ELNS1_3repE0EEENS1_30default_config_static_selectorELNS0_4arch9wavefront6targetE1EEEvSP_
		.amdhsa_group_segment_fixed_size 0
		.amdhsa_private_segment_fixed_size 0
		.amdhsa_kernarg_size 56
		.amdhsa_user_sgpr_count 6
		.amdhsa_user_sgpr_private_segment_buffer 1
		.amdhsa_user_sgpr_dispatch_ptr 0
		.amdhsa_user_sgpr_queue_ptr 0
		.amdhsa_user_sgpr_kernarg_segment_ptr 1
		.amdhsa_user_sgpr_dispatch_id 0
		.amdhsa_user_sgpr_flat_scratch_init 0
		.amdhsa_user_sgpr_kernarg_preload_length 0
		.amdhsa_user_sgpr_kernarg_preload_offset 0
		.amdhsa_user_sgpr_private_segment_size 0
		.amdhsa_uses_dynamic_stack 0
		.amdhsa_system_sgpr_private_segment_wavefront_offset 0
		.amdhsa_system_sgpr_workgroup_id_x 1
		.amdhsa_system_sgpr_workgroup_id_y 0
		.amdhsa_system_sgpr_workgroup_id_z 0
		.amdhsa_system_sgpr_workgroup_info 0
		.amdhsa_system_vgpr_workitem_id 0
		.amdhsa_next_free_vgpr 1
		.amdhsa_next_free_sgpr 0
		.amdhsa_accum_offset 4
		.amdhsa_reserve_vcc 0
		.amdhsa_reserve_flat_scratch 0
		.amdhsa_float_round_mode_32 0
		.amdhsa_float_round_mode_16_64 0
		.amdhsa_float_denorm_mode_32 3
		.amdhsa_float_denorm_mode_16_64 3
		.amdhsa_dx10_clamp 1
		.amdhsa_ieee_mode 1
		.amdhsa_fp16_overflow 0
		.amdhsa_tg_split 0
		.amdhsa_exception_fp_ieee_invalid_op 0
		.amdhsa_exception_fp_denorm_src 0
		.amdhsa_exception_fp_ieee_div_zero 0
		.amdhsa_exception_fp_ieee_overflow 0
		.amdhsa_exception_fp_ieee_underflow 0
		.amdhsa_exception_fp_ieee_inexact 0
		.amdhsa_exception_int_div_zero 0
	.end_amdhsa_kernel
	.section	.text._ZN7rocprim17ROCPRIM_400000_NS6detail17trampoline_kernelINS0_14default_configENS1_29binary_search_config_selectorIyiEEZNS1_14transform_implILb0ES3_S5_N6thrust23THRUST_200600_302600_NS6detail15normal_iteratorINS8_10device_ptrIyEEEENSA_INSB_IiEEEEZNS1_13binary_searchIS3_S5_SD_SD_SF_NS1_16binary_search_opENS9_16wrapped_functionINS0_4lessIvEEbEEEE10hipError_tPvRmT1_T2_T3_mmT4_T5_P12ihipStream_tbEUlRKyE_EESM_SQ_SR_mSS_SV_bEUlT_E_NS1_11comp_targetILNS1_3genE8ELNS1_11target_archE1030ELNS1_3gpuE2ELNS1_3repE0EEENS1_30default_config_static_selectorELNS0_4arch9wavefront6targetE1EEEvSP_,"axG",@progbits,_ZN7rocprim17ROCPRIM_400000_NS6detail17trampoline_kernelINS0_14default_configENS1_29binary_search_config_selectorIyiEEZNS1_14transform_implILb0ES3_S5_N6thrust23THRUST_200600_302600_NS6detail15normal_iteratorINS8_10device_ptrIyEEEENSA_INSB_IiEEEEZNS1_13binary_searchIS3_S5_SD_SD_SF_NS1_16binary_search_opENS9_16wrapped_functionINS0_4lessIvEEbEEEE10hipError_tPvRmT1_T2_T3_mmT4_T5_P12ihipStream_tbEUlRKyE_EESM_SQ_SR_mSS_SV_bEUlT_E_NS1_11comp_targetILNS1_3genE8ELNS1_11target_archE1030ELNS1_3gpuE2ELNS1_3repE0EEENS1_30default_config_static_selectorELNS0_4arch9wavefront6targetE1EEEvSP_,comdat
.Lfunc_end455:
	.size	_ZN7rocprim17ROCPRIM_400000_NS6detail17trampoline_kernelINS0_14default_configENS1_29binary_search_config_selectorIyiEEZNS1_14transform_implILb0ES3_S5_N6thrust23THRUST_200600_302600_NS6detail15normal_iteratorINS8_10device_ptrIyEEEENSA_INSB_IiEEEEZNS1_13binary_searchIS3_S5_SD_SD_SF_NS1_16binary_search_opENS9_16wrapped_functionINS0_4lessIvEEbEEEE10hipError_tPvRmT1_T2_T3_mmT4_T5_P12ihipStream_tbEUlRKyE_EESM_SQ_SR_mSS_SV_bEUlT_E_NS1_11comp_targetILNS1_3genE8ELNS1_11target_archE1030ELNS1_3gpuE2ELNS1_3repE0EEENS1_30default_config_static_selectorELNS0_4arch9wavefront6targetE1EEEvSP_, .Lfunc_end455-_ZN7rocprim17ROCPRIM_400000_NS6detail17trampoline_kernelINS0_14default_configENS1_29binary_search_config_selectorIyiEEZNS1_14transform_implILb0ES3_S5_N6thrust23THRUST_200600_302600_NS6detail15normal_iteratorINS8_10device_ptrIyEEEENSA_INSB_IiEEEEZNS1_13binary_searchIS3_S5_SD_SD_SF_NS1_16binary_search_opENS9_16wrapped_functionINS0_4lessIvEEbEEEE10hipError_tPvRmT1_T2_T3_mmT4_T5_P12ihipStream_tbEUlRKyE_EESM_SQ_SR_mSS_SV_bEUlT_E_NS1_11comp_targetILNS1_3genE8ELNS1_11target_archE1030ELNS1_3gpuE2ELNS1_3repE0EEENS1_30default_config_static_selectorELNS0_4arch9wavefront6targetE1EEEvSP_
                                        ; -- End function
	.section	.AMDGPU.csdata,"",@progbits
; Kernel info:
; codeLenInByte = 0
; NumSgprs: 4
; NumVgprs: 0
; NumAgprs: 0
; TotalNumVgprs: 0
; ScratchSize: 0
; MemoryBound: 0
; FloatMode: 240
; IeeeMode: 1
; LDSByteSize: 0 bytes/workgroup (compile time only)
; SGPRBlocks: 0
; VGPRBlocks: 0
; NumSGPRsForWavesPerEU: 4
; NumVGPRsForWavesPerEU: 1
; AccumOffset: 4
; Occupancy: 8
; WaveLimiterHint : 0
; COMPUTE_PGM_RSRC2:SCRATCH_EN: 0
; COMPUTE_PGM_RSRC2:USER_SGPR: 6
; COMPUTE_PGM_RSRC2:TRAP_HANDLER: 0
; COMPUTE_PGM_RSRC2:TGID_X_EN: 1
; COMPUTE_PGM_RSRC2:TGID_Y_EN: 0
; COMPUTE_PGM_RSRC2:TGID_Z_EN: 0
; COMPUTE_PGM_RSRC2:TIDIG_COMP_CNT: 0
; COMPUTE_PGM_RSRC3_GFX90A:ACCUM_OFFSET: 0
; COMPUTE_PGM_RSRC3_GFX90A:TG_SPLIT: 0
	.section	.text._ZN7rocprim17ROCPRIM_400000_NS6detail17trampoline_kernelINS0_14default_configENS1_29binary_search_config_selectorIjbEEZNS1_14transform_implILb0ES3_S5_N6thrust23THRUST_200600_302600_NS6detail15normal_iteratorINS8_10device_ptrIjEEEENSA_INSB_IbEEEEZNS1_13binary_searchIS3_S5_SD_SD_SF_NS1_16binary_search_opENS9_16wrapped_functionINS0_4lessIvEEbEEEE10hipError_tPvRmT1_T2_T3_mmT4_T5_P12ihipStream_tbEUlRKjE_EESM_SQ_SR_mSS_SV_bEUlT_E_NS1_11comp_targetILNS1_3genE0ELNS1_11target_archE4294967295ELNS1_3gpuE0ELNS1_3repE0EEENS1_30default_config_static_selectorELNS0_4arch9wavefront6targetE1EEEvSP_,"axG",@progbits,_ZN7rocprim17ROCPRIM_400000_NS6detail17trampoline_kernelINS0_14default_configENS1_29binary_search_config_selectorIjbEEZNS1_14transform_implILb0ES3_S5_N6thrust23THRUST_200600_302600_NS6detail15normal_iteratorINS8_10device_ptrIjEEEENSA_INSB_IbEEEEZNS1_13binary_searchIS3_S5_SD_SD_SF_NS1_16binary_search_opENS9_16wrapped_functionINS0_4lessIvEEbEEEE10hipError_tPvRmT1_T2_T3_mmT4_T5_P12ihipStream_tbEUlRKjE_EESM_SQ_SR_mSS_SV_bEUlT_E_NS1_11comp_targetILNS1_3genE0ELNS1_11target_archE4294967295ELNS1_3gpuE0ELNS1_3repE0EEENS1_30default_config_static_selectorELNS0_4arch9wavefront6targetE1EEEvSP_,comdat
	.protected	_ZN7rocprim17ROCPRIM_400000_NS6detail17trampoline_kernelINS0_14default_configENS1_29binary_search_config_selectorIjbEEZNS1_14transform_implILb0ES3_S5_N6thrust23THRUST_200600_302600_NS6detail15normal_iteratorINS8_10device_ptrIjEEEENSA_INSB_IbEEEEZNS1_13binary_searchIS3_S5_SD_SD_SF_NS1_16binary_search_opENS9_16wrapped_functionINS0_4lessIvEEbEEEE10hipError_tPvRmT1_T2_T3_mmT4_T5_P12ihipStream_tbEUlRKjE_EESM_SQ_SR_mSS_SV_bEUlT_E_NS1_11comp_targetILNS1_3genE0ELNS1_11target_archE4294967295ELNS1_3gpuE0ELNS1_3repE0EEENS1_30default_config_static_selectorELNS0_4arch9wavefront6targetE1EEEvSP_ ; -- Begin function _ZN7rocprim17ROCPRIM_400000_NS6detail17trampoline_kernelINS0_14default_configENS1_29binary_search_config_selectorIjbEEZNS1_14transform_implILb0ES3_S5_N6thrust23THRUST_200600_302600_NS6detail15normal_iteratorINS8_10device_ptrIjEEEENSA_INSB_IbEEEEZNS1_13binary_searchIS3_S5_SD_SD_SF_NS1_16binary_search_opENS9_16wrapped_functionINS0_4lessIvEEbEEEE10hipError_tPvRmT1_T2_T3_mmT4_T5_P12ihipStream_tbEUlRKjE_EESM_SQ_SR_mSS_SV_bEUlT_E_NS1_11comp_targetILNS1_3genE0ELNS1_11target_archE4294967295ELNS1_3gpuE0ELNS1_3repE0EEENS1_30default_config_static_selectorELNS0_4arch9wavefront6targetE1EEEvSP_
	.globl	_ZN7rocprim17ROCPRIM_400000_NS6detail17trampoline_kernelINS0_14default_configENS1_29binary_search_config_selectorIjbEEZNS1_14transform_implILb0ES3_S5_N6thrust23THRUST_200600_302600_NS6detail15normal_iteratorINS8_10device_ptrIjEEEENSA_INSB_IbEEEEZNS1_13binary_searchIS3_S5_SD_SD_SF_NS1_16binary_search_opENS9_16wrapped_functionINS0_4lessIvEEbEEEE10hipError_tPvRmT1_T2_T3_mmT4_T5_P12ihipStream_tbEUlRKjE_EESM_SQ_SR_mSS_SV_bEUlT_E_NS1_11comp_targetILNS1_3genE0ELNS1_11target_archE4294967295ELNS1_3gpuE0ELNS1_3repE0EEENS1_30default_config_static_selectorELNS0_4arch9wavefront6targetE1EEEvSP_
	.p2align	8
	.type	_ZN7rocprim17ROCPRIM_400000_NS6detail17trampoline_kernelINS0_14default_configENS1_29binary_search_config_selectorIjbEEZNS1_14transform_implILb0ES3_S5_N6thrust23THRUST_200600_302600_NS6detail15normal_iteratorINS8_10device_ptrIjEEEENSA_INSB_IbEEEEZNS1_13binary_searchIS3_S5_SD_SD_SF_NS1_16binary_search_opENS9_16wrapped_functionINS0_4lessIvEEbEEEE10hipError_tPvRmT1_T2_T3_mmT4_T5_P12ihipStream_tbEUlRKjE_EESM_SQ_SR_mSS_SV_bEUlT_E_NS1_11comp_targetILNS1_3genE0ELNS1_11target_archE4294967295ELNS1_3gpuE0ELNS1_3repE0EEENS1_30default_config_static_selectorELNS0_4arch9wavefront6targetE1EEEvSP_,@function
_ZN7rocprim17ROCPRIM_400000_NS6detail17trampoline_kernelINS0_14default_configENS1_29binary_search_config_selectorIjbEEZNS1_14transform_implILb0ES3_S5_N6thrust23THRUST_200600_302600_NS6detail15normal_iteratorINS8_10device_ptrIjEEEENSA_INSB_IbEEEEZNS1_13binary_searchIS3_S5_SD_SD_SF_NS1_16binary_search_opENS9_16wrapped_functionINS0_4lessIvEEbEEEE10hipError_tPvRmT1_T2_T3_mmT4_T5_P12ihipStream_tbEUlRKjE_EESM_SQ_SR_mSS_SV_bEUlT_E_NS1_11comp_targetILNS1_3genE0ELNS1_11target_archE4294967295ELNS1_3gpuE0ELNS1_3repE0EEENS1_30default_config_static_selectorELNS0_4arch9wavefront6targetE1EEEvSP_: ; @_ZN7rocprim17ROCPRIM_400000_NS6detail17trampoline_kernelINS0_14default_configENS1_29binary_search_config_selectorIjbEEZNS1_14transform_implILb0ES3_S5_N6thrust23THRUST_200600_302600_NS6detail15normal_iteratorINS8_10device_ptrIjEEEENSA_INSB_IbEEEEZNS1_13binary_searchIS3_S5_SD_SD_SF_NS1_16binary_search_opENS9_16wrapped_functionINS0_4lessIvEEbEEEE10hipError_tPvRmT1_T2_T3_mmT4_T5_P12ihipStream_tbEUlRKjE_EESM_SQ_SR_mSS_SV_bEUlT_E_NS1_11comp_targetILNS1_3genE0ELNS1_11target_archE4294967295ELNS1_3gpuE0ELNS1_3repE0EEENS1_30default_config_static_selectorELNS0_4arch9wavefront6targetE1EEEvSP_
; %bb.0:
	.section	.rodata,"a",@progbits
	.p2align	6, 0x0
	.amdhsa_kernel _ZN7rocprim17ROCPRIM_400000_NS6detail17trampoline_kernelINS0_14default_configENS1_29binary_search_config_selectorIjbEEZNS1_14transform_implILb0ES3_S5_N6thrust23THRUST_200600_302600_NS6detail15normal_iteratorINS8_10device_ptrIjEEEENSA_INSB_IbEEEEZNS1_13binary_searchIS3_S5_SD_SD_SF_NS1_16binary_search_opENS9_16wrapped_functionINS0_4lessIvEEbEEEE10hipError_tPvRmT1_T2_T3_mmT4_T5_P12ihipStream_tbEUlRKjE_EESM_SQ_SR_mSS_SV_bEUlT_E_NS1_11comp_targetILNS1_3genE0ELNS1_11target_archE4294967295ELNS1_3gpuE0ELNS1_3repE0EEENS1_30default_config_static_selectorELNS0_4arch9wavefront6targetE1EEEvSP_
		.amdhsa_group_segment_fixed_size 0
		.amdhsa_private_segment_fixed_size 0
		.amdhsa_kernarg_size 56
		.amdhsa_user_sgpr_count 6
		.amdhsa_user_sgpr_private_segment_buffer 1
		.amdhsa_user_sgpr_dispatch_ptr 0
		.amdhsa_user_sgpr_queue_ptr 0
		.amdhsa_user_sgpr_kernarg_segment_ptr 1
		.amdhsa_user_sgpr_dispatch_id 0
		.amdhsa_user_sgpr_flat_scratch_init 0
		.amdhsa_user_sgpr_kernarg_preload_length 0
		.amdhsa_user_sgpr_kernarg_preload_offset 0
		.amdhsa_user_sgpr_private_segment_size 0
		.amdhsa_uses_dynamic_stack 0
		.amdhsa_system_sgpr_private_segment_wavefront_offset 0
		.amdhsa_system_sgpr_workgroup_id_x 1
		.amdhsa_system_sgpr_workgroup_id_y 0
		.amdhsa_system_sgpr_workgroup_id_z 0
		.amdhsa_system_sgpr_workgroup_info 0
		.amdhsa_system_vgpr_workitem_id 0
		.amdhsa_next_free_vgpr 1
		.amdhsa_next_free_sgpr 0
		.amdhsa_accum_offset 4
		.amdhsa_reserve_vcc 0
		.amdhsa_reserve_flat_scratch 0
		.amdhsa_float_round_mode_32 0
		.amdhsa_float_round_mode_16_64 0
		.amdhsa_float_denorm_mode_32 3
		.amdhsa_float_denorm_mode_16_64 3
		.amdhsa_dx10_clamp 1
		.amdhsa_ieee_mode 1
		.amdhsa_fp16_overflow 0
		.amdhsa_tg_split 0
		.amdhsa_exception_fp_ieee_invalid_op 0
		.amdhsa_exception_fp_denorm_src 0
		.amdhsa_exception_fp_ieee_div_zero 0
		.amdhsa_exception_fp_ieee_overflow 0
		.amdhsa_exception_fp_ieee_underflow 0
		.amdhsa_exception_fp_ieee_inexact 0
		.amdhsa_exception_int_div_zero 0
	.end_amdhsa_kernel
	.section	.text._ZN7rocprim17ROCPRIM_400000_NS6detail17trampoline_kernelINS0_14default_configENS1_29binary_search_config_selectorIjbEEZNS1_14transform_implILb0ES3_S5_N6thrust23THRUST_200600_302600_NS6detail15normal_iteratorINS8_10device_ptrIjEEEENSA_INSB_IbEEEEZNS1_13binary_searchIS3_S5_SD_SD_SF_NS1_16binary_search_opENS9_16wrapped_functionINS0_4lessIvEEbEEEE10hipError_tPvRmT1_T2_T3_mmT4_T5_P12ihipStream_tbEUlRKjE_EESM_SQ_SR_mSS_SV_bEUlT_E_NS1_11comp_targetILNS1_3genE0ELNS1_11target_archE4294967295ELNS1_3gpuE0ELNS1_3repE0EEENS1_30default_config_static_selectorELNS0_4arch9wavefront6targetE1EEEvSP_,"axG",@progbits,_ZN7rocprim17ROCPRIM_400000_NS6detail17trampoline_kernelINS0_14default_configENS1_29binary_search_config_selectorIjbEEZNS1_14transform_implILb0ES3_S5_N6thrust23THRUST_200600_302600_NS6detail15normal_iteratorINS8_10device_ptrIjEEEENSA_INSB_IbEEEEZNS1_13binary_searchIS3_S5_SD_SD_SF_NS1_16binary_search_opENS9_16wrapped_functionINS0_4lessIvEEbEEEE10hipError_tPvRmT1_T2_T3_mmT4_T5_P12ihipStream_tbEUlRKjE_EESM_SQ_SR_mSS_SV_bEUlT_E_NS1_11comp_targetILNS1_3genE0ELNS1_11target_archE4294967295ELNS1_3gpuE0ELNS1_3repE0EEENS1_30default_config_static_selectorELNS0_4arch9wavefront6targetE1EEEvSP_,comdat
.Lfunc_end456:
	.size	_ZN7rocprim17ROCPRIM_400000_NS6detail17trampoline_kernelINS0_14default_configENS1_29binary_search_config_selectorIjbEEZNS1_14transform_implILb0ES3_S5_N6thrust23THRUST_200600_302600_NS6detail15normal_iteratorINS8_10device_ptrIjEEEENSA_INSB_IbEEEEZNS1_13binary_searchIS3_S5_SD_SD_SF_NS1_16binary_search_opENS9_16wrapped_functionINS0_4lessIvEEbEEEE10hipError_tPvRmT1_T2_T3_mmT4_T5_P12ihipStream_tbEUlRKjE_EESM_SQ_SR_mSS_SV_bEUlT_E_NS1_11comp_targetILNS1_3genE0ELNS1_11target_archE4294967295ELNS1_3gpuE0ELNS1_3repE0EEENS1_30default_config_static_selectorELNS0_4arch9wavefront6targetE1EEEvSP_, .Lfunc_end456-_ZN7rocprim17ROCPRIM_400000_NS6detail17trampoline_kernelINS0_14default_configENS1_29binary_search_config_selectorIjbEEZNS1_14transform_implILb0ES3_S5_N6thrust23THRUST_200600_302600_NS6detail15normal_iteratorINS8_10device_ptrIjEEEENSA_INSB_IbEEEEZNS1_13binary_searchIS3_S5_SD_SD_SF_NS1_16binary_search_opENS9_16wrapped_functionINS0_4lessIvEEbEEEE10hipError_tPvRmT1_T2_T3_mmT4_T5_P12ihipStream_tbEUlRKjE_EESM_SQ_SR_mSS_SV_bEUlT_E_NS1_11comp_targetILNS1_3genE0ELNS1_11target_archE4294967295ELNS1_3gpuE0ELNS1_3repE0EEENS1_30default_config_static_selectorELNS0_4arch9wavefront6targetE1EEEvSP_
                                        ; -- End function
	.section	.AMDGPU.csdata,"",@progbits
; Kernel info:
; codeLenInByte = 0
; NumSgprs: 4
; NumVgprs: 0
; NumAgprs: 0
; TotalNumVgprs: 0
; ScratchSize: 0
; MemoryBound: 0
; FloatMode: 240
; IeeeMode: 1
; LDSByteSize: 0 bytes/workgroup (compile time only)
; SGPRBlocks: 0
; VGPRBlocks: 0
; NumSGPRsForWavesPerEU: 4
; NumVGPRsForWavesPerEU: 1
; AccumOffset: 4
; Occupancy: 8
; WaveLimiterHint : 0
; COMPUTE_PGM_RSRC2:SCRATCH_EN: 0
; COMPUTE_PGM_RSRC2:USER_SGPR: 6
; COMPUTE_PGM_RSRC2:TRAP_HANDLER: 0
; COMPUTE_PGM_RSRC2:TGID_X_EN: 1
; COMPUTE_PGM_RSRC2:TGID_Y_EN: 0
; COMPUTE_PGM_RSRC2:TGID_Z_EN: 0
; COMPUTE_PGM_RSRC2:TIDIG_COMP_CNT: 0
; COMPUTE_PGM_RSRC3_GFX90A:ACCUM_OFFSET: 0
; COMPUTE_PGM_RSRC3_GFX90A:TG_SPLIT: 0
	.section	.text._ZN7rocprim17ROCPRIM_400000_NS6detail17trampoline_kernelINS0_14default_configENS1_29binary_search_config_selectorIjbEEZNS1_14transform_implILb0ES3_S5_N6thrust23THRUST_200600_302600_NS6detail15normal_iteratorINS8_10device_ptrIjEEEENSA_INSB_IbEEEEZNS1_13binary_searchIS3_S5_SD_SD_SF_NS1_16binary_search_opENS9_16wrapped_functionINS0_4lessIvEEbEEEE10hipError_tPvRmT1_T2_T3_mmT4_T5_P12ihipStream_tbEUlRKjE_EESM_SQ_SR_mSS_SV_bEUlT_E_NS1_11comp_targetILNS1_3genE5ELNS1_11target_archE942ELNS1_3gpuE9ELNS1_3repE0EEENS1_30default_config_static_selectorELNS0_4arch9wavefront6targetE1EEEvSP_,"axG",@progbits,_ZN7rocprim17ROCPRIM_400000_NS6detail17trampoline_kernelINS0_14default_configENS1_29binary_search_config_selectorIjbEEZNS1_14transform_implILb0ES3_S5_N6thrust23THRUST_200600_302600_NS6detail15normal_iteratorINS8_10device_ptrIjEEEENSA_INSB_IbEEEEZNS1_13binary_searchIS3_S5_SD_SD_SF_NS1_16binary_search_opENS9_16wrapped_functionINS0_4lessIvEEbEEEE10hipError_tPvRmT1_T2_T3_mmT4_T5_P12ihipStream_tbEUlRKjE_EESM_SQ_SR_mSS_SV_bEUlT_E_NS1_11comp_targetILNS1_3genE5ELNS1_11target_archE942ELNS1_3gpuE9ELNS1_3repE0EEENS1_30default_config_static_selectorELNS0_4arch9wavefront6targetE1EEEvSP_,comdat
	.protected	_ZN7rocprim17ROCPRIM_400000_NS6detail17trampoline_kernelINS0_14default_configENS1_29binary_search_config_selectorIjbEEZNS1_14transform_implILb0ES3_S5_N6thrust23THRUST_200600_302600_NS6detail15normal_iteratorINS8_10device_ptrIjEEEENSA_INSB_IbEEEEZNS1_13binary_searchIS3_S5_SD_SD_SF_NS1_16binary_search_opENS9_16wrapped_functionINS0_4lessIvEEbEEEE10hipError_tPvRmT1_T2_T3_mmT4_T5_P12ihipStream_tbEUlRKjE_EESM_SQ_SR_mSS_SV_bEUlT_E_NS1_11comp_targetILNS1_3genE5ELNS1_11target_archE942ELNS1_3gpuE9ELNS1_3repE0EEENS1_30default_config_static_selectorELNS0_4arch9wavefront6targetE1EEEvSP_ ; -- Begin function _ZN7rocprim17ROCPRIM_400000_NS6detail17trampoline_kernelINS0_14default_configENS1_29binary_search_config_selectorIjbEEZNS1_14transform_implILb0ES3_S5_N6thrust23THRUST_200600_302600_NS6detail15normal_iteratorINS8_10device_ptrIjEEEENSA_INSB_IbEEEEZNS1_13binary_searchIS3_S5_SD_SD_SF_NS1_16binary_search_opENS9_16wrapped_functionINS0_4lessIvEEbEEEE10hipError_tPvRmT1_T2_T3_mmT4_T5_P12ihipStream_tbEUlRKjE_EESM_SQ_SR_mSS_SV_bEUlT_E_NS1_11comp_targetILNS1_3genE5ELNS1_11target_archE942ELNS1_3gpuE9ELNS1_3repE0EEENS1_30default_config_static_selectorELNS0_4arch9wavefront6targetE1EEEvSP_
	.globl	_ZN7rocprim17ROCPRIM_400000_NS6detail17trampoline_kernelINS0_14default_configENS1_29binary_search_config_selectorIjbEEZNS1_14transform_implILb0ES3_S5_N6thrust23THRUST_200600_302600_NS6detail15normal_iteratorINS8_10device_ptrIjEEEENSA_INSB_IbEEEEZNS1_13binary_searchIS3_S5_SD_SD_SF_NS1_16binary_search_opENS9_16wrapped_functionINS0_4lessIvEEbEEEE10hipError_tPvRmT1_T2_T3_mmT4_T5_P12ihipStream_tbEUlRKjE_EESM_SQ_SR_mSS_SV_bEUlT_E_NS1_11comp_targetILNS1_3genE5ELNS1_11target_archE942ELNS1_3gpuE9ELNS1_3repE0EEENS1_30default_config_static_selectorELNS0_4arch9wavefront6targetE1EEEvSP_
	.p2align	8
	.type	_ZN7rocprim17ROCPRIM_400000_NS6detail17trampoline_kernelINS0_14default_configENS1_29binary_search_config_selectorIjbEEZNS1_14transform_implILb0ES3_S5_N6thrust23THRUST_200600_302600_NS6detail15normal_iteratorINS8_10device_ptrIjEEEENSA_INSB_IbEEEEZNS1_13binary_searchIS3_S5_SD_SD_SF_NS1_16binary_search_opENS9_16wrapped_functionINS0_4lessIvEEbEEEE10hipError_tPvRmT1_T2_T3_mmT4_T5_P12ihipStream_tbEUlRKjE_EESM_SQ_SR_mSS_SV_bEUlT_E_NS1_11comp_targetILNS1_3genE5ELNS1_11target_archE942ELNS1_3gpuE9ELNS1_3repE0EEENS1_30default_config_static_selectorELNS0_4arch9wavefront6targetE1EEEvSP_,@function
_ZN7rocprim17ROCPRIM_400000_NS6detail17trampoline_kernelINS0_14default_configENS1_29binary_search_config_selectorIjbEEZNS1_14transform_implILb0ES3_S5_N6thrust23THRUST_200600_302600_NS6detail15normal_iteratorINS8_10device_ptrIjEEEENSA_INSB_IbEEEEZNS1_13binary_searchIS3_S5_SD_SD_SF_NS1_16binary_search_opENS9_16wrapped_functionINS0_4lessIvEEbEEEE10hipError_tPvRmT1_T2_T3_mmT4_T5_P12ihipStream_tbEUlRKjE_EESM_SQ_SR_mSS_SV_bEUlT_E_NS1_11comp_targetILNS1_3genE5ELNS1_11target_archE942ELNS1_3gpuE9ELNS1_3repE0EEENS1_30default_config_static_selectorELNS0_4arch9wavefront6targetE1EEEvSP_: ; @_ZN7rocprim17ROCPRIM_400000_NS6detail17trampoline_kernelINS0_14default_configENS1_29binary_search_config_selectorIjbEEZNS1_14transform_implILb0ES3_S5_N6thrust23THRUST_200600_302600_NS6detail15normal_iteratorINS8_10device_ptrIjEEEENSA_INSB_IbEEEEZNS1_13binary_searchIS3_S5_SD_SD_SF_NS1_16binary_search_opENS9_16wrapped_functionINS0_4lessIvEEbEEEE10hipError_tPvRmT1_T2_T3_mmT4_T5_P12ihipStream_tbEUlRKjE_EESM_SQ_SR_mSS_SV_bEUlT_E_NS1_11comp_targetILNS1_3genE5ELNS1_11target_archE942ELNS1_3gpuE9ELNS1_3repE0EEENS1_30default_config_static_selectorELNS0_4arch9wavefront6targetE1EEEvSP_
; %bb.0:
	.section	.rodata,"a",@progbits
	.p2align	6, 0x0
	.amdhsa_kernel _ZN7rocprim17ROCPRIM_400000_NS6detail17trampoline_kernelINS0_14default_configENS1_29binary_search_config_selectorIjbEEZNS1_14transform_implILb0ES3_S5_N6thrust23THRUST_200600_302600_NS6detail15normal_iteratorINS8_10device_ptrIjEEEENSA_INSB_IbEEEEZNS1_13binary_searchIS3_S5_SD_SD_SF_NS1_16binary_search_opENS9_16wrapped_functionINS0_4lessIvEEbEEEE10hipError_tPvRmT1_T2_T3_mmT4_T5_P12ihipStream_tbEUlRKjE_EESM_SQ_SR_mSS_SV_bEUlT_E_NS1_11comp_targetILNS1_3genE5ELNS1_11target_archE942ELNS1_3gpuE9ELNS1_3repE0EEENS1_30default_config_static_selectorELNS0_4arch9wavefront6targetE1EEEvSP_
		.amdhsa_group_segment_fixed_size 0
		.amdhsa_private_segment_fixed_size 0
		.amdhsa_kernarg_size 56
		.amdhsa_user_sgpr_count 6
		.amdhsa_user_sgpr_private_segment_buffer 1
		.amdhsa_user_sgpr_dispatch_ptr 0
		.amdhsa_user_sgpr_queue_ptr 0
		.amdhsa_user_sgpr_kernarg_segment_ptr 1
		.amdhsa_user_sgpr_dispatch_id 0
		.amdhsa_user_sgpr_flat_scratch_init 0
		.amdhsa_user_sgpr_kernarg_preload_length 0
		.amdhsa_user_sgpr_kernarg_preload_offset 0
		.amdhsa_user_sgpr_private_segment_size 0
		.amdhsa_uses_dynamic_stack 0
		.amdhsa_system_sgpr_private_segment_wavefront_offset 0
		.amdhsa_system_sgpr_workgroup_id_x 1
		.amdhsa_system_sgpr_workgroup_id_y 0
		.amdhsa_system_sgpr_workgroup_id_z 0
		.amdhsa_system_sgpr_workgroup_info 0
		.amdhsa_system_vgpr_workitem_id 0
		.amdhsa_next_free_vgpr 1
		.amdhsa_next_free_sgpr 0
		.amdhsa_accum_offset 4
		.amdhsa_reserve_vcc 0
		.amdhsa_reserve_flat_scratch 0
		.amdhsa_float_round_mode_32 0
		.amdhsa_float_round_mode_16_64 0
		.amdhsa_float_denorm_mode_32 3
		.amdhsa_float_denorm_mode_16_64 3
		.amdhsa_dx10_clamp 1
		.amdhsa_ieee_mode 1
		.amdhsa_fp16_overflow 0
		.amdhsa_tg_split 0
		.amdhsa_exception_fp_ieee_invalid_op 0
		.amdhsa_exception_fp_denorm_src 0
		.amdhsa_exception_fp_ieee_div_zero 0
		.amdhsa_exception_fp_ieee_overflow 0
		.amdhsa_exception_fp_ieee_underflow 0
		.amdhsa_exception_fp_ieee_inexact 0
		.amdhsa_exception_int_div_zero 0
	.end_amdhsa_kernel
	.section	.text._ZN7rocprim17ROCPRIM_400000_NS6detail17trampoline_kernelINS0_14default_configENS1_29binary_search_config_selectorIjbEEZNS1_14transform_implILb0ES3_S5_N6thrust23THRUST_200600_302600_NS6detail15normal_iteratorINS8_10device_ptrIjEEEENSA_INSB_IbEEEEZNS1_13binary_searchIS3_S5_SD_SD_SF_NS1_16binary_search_opENS9_16wrapped_functionINS0_4lessIvEEbEEEE10hipError_tPvRmT1_T2_T3_mmT4_T5_P12ihipStream_tbEUlRKjE_EESM_SQ_SR_mSS_SV_bEUlT_E_NS1_11comp_targetILNS1_3genE5ELNS1_11target_archE942ELNS1_3gpuE9ELNS1_3repE0EEENS1_30default_config_static_selectorELNS0_4arch9wavefront6targetE1EEEvSP_,"axG",@progbits,_ZN7rocprim17ROCPRIM_400000_NS6detail17trampoline_kernelINS0_14default_configENS1_29binary_search_config_selectorIjbEEZNS1_14transform_implILb0ES3_S5_N6thrust23THRUST_200600_302600_NS6detail15normal_iteratorINS8_10device_ptrIjEEEENSA_INSB_IbEEEEZNS1_13binary_searchIS3_S5_SD_SD_SF_NS1_16binary_search_opENS9_16wrapped_functionINS0_4lessIvEEbEEEE10hipError_tPvRmT1_T2_T3_mmT4_T5_P12ihipStream_tbEUlRKjE_EESM_SQ_SR_mSS_SV_bEUlT_E_NS1_11comp_targetILNS1_3genE5ELNS1_11target_archE942ELNS1_3gpuE9ELNS1_3repE0EEENS1_30default_config_static_selectorELNS0_4arch9wavefront6targetE1EEEvSP_,comdat
.Lfunc_end457:
	.size	_ZN7rocprim17ROCPRIM_400000_NS6detail17trampoline_kernelINS0_14default_configENS1_29binary_search_config_selectorIjbEEZNS1_14transform_implILb0ES3_S5_N6thrust23THRUST_200600_302600_NS6detail15normal_iteratorINS8_10device_ptrIjEEEENSA_INSB_IbEEEEZNS1_13binary_searchIS3_S5_SD_SD_SF_NS1_16binary_search_opENS9_16wrapped_functionINS0_4lessIvEEbEEEE10hipError_tPvRmT1_T2_T3_mmT4_T5_P12ihipStream_tbEUlRKjE_EESM_SQ_SR_mSS_SV_bEUlT_E_NS1_11comp_targetILNS1_3genE5ELNS1_11target_archE942ELNS1_3gpuE9ELNS1_3repE0EEENS1_30default_config_static_selectorELNS0_4arch9wavefront6targetE1EEEvSP_, .Lfunc_end457-_ZN7rocprim17ROCPRIM_400000_NS6detail17trampoline_kernelINS0_14default_configENS1_29binary_search_config_selectorIjbEEZNS1_14transform_implILb0ES3_S5_N6thrust23THRUST_200600_302600_NS6detail15normal_iteratorINS8_10device_ptrIjEEEENSA_INSB_IbEEEEZNS1_13binary_searchIS3_S5_SD_SD_SF_NS1_16binary_search_opENS9_16wrapped_functionINS0_4lessIvEEbEEEE10hipError_tPvRmT1_T2_T3_mmT4_T5_P12ihipStream_tbEUlRKjE_EESM_SQ_SR_mSS_SV_bEUlT_E_NS1_11comp_targetILNS1_3genE5ELNS1_11target_archE942ELNS1_3gpuE9ELNS1_3repE0EEENS1_30default_config_static_selectorELNS0_4arch9wavefront6targetE1EEEvSP_
                                        ; -- End function
	.section	.AMDGPU.csdata,"",@progbits
; Kernel info:
; codeLenInByte = 0
; NumSgprs: 4
; NumVgprs: 0
; NumAgprs: 0
; TotalNumVgprs: 0
; ScratchSize: 0
; MemoryBound: 0
; FloatMode: 240
; IeeeMode: 1
; LDSByteSize: 0 bytes/workgroup (compile time only)
; SGPRBlocks: 0
; VGPRBlocks: 0
; NumSGPRsForWavesPerEU: 4
; NumVGPRsForWavesPerEU: 1
; AccumOffset: 4
; Occupancy: 8
; WaveLimiterHint : 0
; COMPUTE_PGM_RSRC2:SCRATCH_EN: 0
; COMPUTE_PGM_RSRC2:USER_SGPR: 6
; COMPUTE_PGM_RSRC2:TRAP_HANDLER: 0
; COMPUTE_PGM_RSRC2:TGID_X_EN: 1
; COMPUTE_PGM_RSRC2:TGID_Y_EN: 0
; COMPUTE_PGM_RSRC2:TGID_Z_EN: 0
; COMPUTE_PGM_RSRC2:TIDIG_COMP_CNT: 0
; COMPUTE_PGM_RSRC3_GFX90A:ACCUM_OFFSET: 0
; COMPUTE_PGM_RSRC3_GFX90A:TG_SPLIT: 0
	.section	.text._ZN7rocprim17ROCPRIM_400000_NS6detail17trampoline_kernelINS0_14default_configENS1_29binary_search_config_selectorIjbEEZNS1_14transform_implILb0ES3_S5_N6thrust23THRUST_200600_302600_NS6detail15normal_iteratorINS8_10device_ptrIjEEEENSA_INSB_IbEEEEZNS1_13binary_searchIS3_S5_SD_SD_SF_NS1_16binary_search_opENS9_16wrapped_functionINS0_4lessIvEEbEEEE10hipError_tPvRmT1_T2_T3_mmT4_T5_P12ihipStream_tbEUlRKjE_EESM_SQ_SR_mSS_SV_bEUlT_E_NS1_11comp_targetILNS1_3genE4ELNS1_11target_archE910ELNS1_3gpuE8ELNS1_3repE0EEENS1_30default_config_static_selectorELNS0_4arch9wavefront6targetE1EEEvSP_,"axG",@progbits,_ZN7rocprim17ROCPRIM_400000_NS6detail17trampoline_kernelINS0_14default_configENS1_29binary_search_config_selectorIjbEEZNS1_14transform_implILb0ES3_S5_N6thrust23THRUST_200600_302600_NS6detail15normal_iteratorINS8_10device_ptrIjEEEENSA_INSB_IbEEEEZNS1_13binary_searchIS3_S5_SD_SD_SF_NS1_16binary_search_opENS9_16wrapped_functionINS0_4lessIvEEbEEEE10hipError_tPvRmT1_T2_T3_mmT4_T5_P12ihipStream_tbEUlRKjE_EESM_SQ_SR_mSS_SV_bEUlT_E_NS1_11comp_targetILNS1_3genE4ELNS1_11target_archE910ELNS1_3gpuE8ELNS1_3repE0EEENS1_30default_config_static_selectorELNS0_4arch9wavefront6targetE1EEEvSP_,comdat
	.protected	_ZN7rocprim17ROCPRIM_400000_NS6detail17trampoline_kernelINS0_14default_configENS1_29binary_search_config_selectorIjbEEZNS1_14transform_implILb0ES3_S5_N6thrust23THRUST_200600_302600_NS6detail15normal_iteratorINS8_10device_ptrIjEEEENSA_INSB_IbEEEEZNS1_13binary_searchIS3_S5_SD_SD_SF_NS1_16binary_search_opENS9_16wrapped_functionINS0_4lessIvEEbEEEE10hipError_tPvRmT1_T2_T3_mmT4_T5_P12ihipStream_tbEUlRKjE_EESM_SQ_SR_mSS_SV_bEUlT_E_NS1_11comp_targetILNS1_3genE4ELNS1_11target_archE910ELNS1_3gpuE8ELNS1_3repE0EEENS1_30default_config_static_selectorELNS0_4arch9wavefront6targetE1EEEvSP_ ; -- Begin function _ZN7rocprim17ROCPRIM_400000_NS6detail17trampoline_kernelINS0_14default_configENS1_29binary_search_config_selectorIjbEEZNS1_14transform_implILb0ES3_S5_N6thrust23THRUST_200600_302600_NS6detail15normal_iteratorINS8_10device_ptrIjEEEENSA_INSB_IbEEEEZNS1_13binary_searchIS3_S5_SD_SD_SF_NS1_16binary_search_opENS9_16wrapped_functionINS0_4lessIvEEbEEEE10hipError_tPvRmT1_T2_T3_mmT4_T5_P12ihipStream_tbEUlRKjE_EESM_SQ_SR_mSS_SV_bEUlT_E_NS1_11comp_targetILNS1_3genE4ELNS1_11target_archE910ELNS1_3gpuE8ELNS1_3repE0EEENS1_30default_config_static_selectorELNS0_4arch9wavefront6targetE1EEEvSP_
	.globl	_ZN7rocprim17ROCPRIM_400000_NS6detail17trampoline_kernelINS0_14default_configENS1_29binary_search_config_selectorIjbEEZNS1_14transform_implILb0ES3_S5_N6thrust23THRUST_200600_302600_NS6detail15normal_iteratorINS8_10device_ptrIjEEEENSA_INSB_IbEEEEZNS1_13binary_searchIS3_S5_SD_SD_SF_NS1_16binary_search_opENS9_16wrapped_functionINS0_4lessIvEEbEEEE10hipError_tPvRmT1_T2_T3_mmT4_T5_P12ihipStream_tbEUlRKjE_EESM_SQ_SR_mSS_SV_bEUlT_E_NS1_11comp_targetILNS1_3genE4ELNS1_11target_archE910ELNS1_3gpuE8ELNS1_3repE0EEENS1_30default_config_static_selectorELNS0_4arch9wavefront6targetE1EEEvSP_
	.p2align	8
	.type	_ZN7rocprim17ROCPRIM_400000_NS6detail17trampoline_kernelINS0_14default_configENS1_29binary_search_config_selectorIjbEEZNS1_14transform_implILb0ES3_S5_N6thrust23THRUST_200600_302600_NS6detail15normal_iteratorINS8_10device_ptrIjEEEENSA_INSB_IbEEEEZNS1_13binary_searchIS3_S5_SD_SD_SF_NS1_16binary_search_opENS9_16wrapped_functionINS0_4lessIvEEbEEEE10hipError_tPvRmT1_T2_T3_mmT4_T5_P12ihipStream_tbEUlRKjE_EESM_SQ_SR_mSS_SV_bEUlT_E_NS1_11comp_targetILNS1_3genE4ELNS1_11target_archE910ELNS1_3gpuE8ELNS1_3repE0EEENS1_30default_config_static_selectorELNS0_4arch9wavefront6targetE1EEEvSP_,@function
_ZN7rocprim17ROCPRIM_400000_NS6detail17trampoline_kernelINS0_14default_configENS1_29binary_search_config_selectorIjbEEZNS1_14transform_implILb0ES3_S5_N6thrust23THRUST_200600_302600_NS6detail15normal_iteratorINS8_10device_ptrIjEEEENSA_INSB_IbEEEEZNS1_13binary_searchIS3_S5_SD_SD_SF_NS1_16binary_search_opENS9_16wrapped_functionINS0_4lessIvEEbEEEE10hipError_tPvRmT1_T2_T3_mmT4_T5_P12ihipStream_tbEUlRKjE_EESM_SQ_SR_mSS_SV_bEUlT_E_NS1_11comp_targetILNS1_3genE4ELNS1_11target_archE910ELNS1_3gpuE8ELNS1_3repE0EEENS1_30default_config_static_selectorELNS0_4arch9wavefront6targetE1EEEvSP_: ; @_ZN7rocprim17ROCPRIM_400000_NS6detail17trampoline_kernelINS0_14default_configENS1_29binary_search_config_selectorIjbEEZNS1_14transform_implILb0ES3_S5_N6thrust23THRUST_200600_302600_NS6detail15normal_iteratorINS8_10device_ptrIjEEEENSA_INSB_IbEEEEZNS1_13binary_searchIS3_S5_SD_SD_SF_NS1_16binary_search_opENS9_16wrapped_functionINS0_4lessIvEEbEEEE10hipError_tPvRmT1_T2_T3_mmT4_T5_P12ihipStream_tbEUlRKjE_EESM_SQ_SR_mSS_SV_bEUlT_E_NS1_11comp_targetILNS1_3genE4ELNS1_11target_archE910ELNS1_3gpuE8ELNS1_3repE0EEENS1_30default_config_static_selectorELNS0_4arch9wavefront6targetE1EEEvSP_
; %bb.0:
	s_load_dwordx4 s[12:15], s[4:5], 0x0
	s_load_dwordx4 s[0:3], s[4:5], 0x18
	s_load_dwordx2 s[10:11], s[4:5], 0x28
	s_load_dword s7, s[4:5], 0x38
	s_waitcnt lgkmcnt(0)
	s_lshl_b64 s[8:9], s[14:15], 2
	s_add_u32 s16, s12, s8
	s_addc_u32 s17, s13, s9
	s_add_u32 s14, s0, s14
	s_addc_u32 s15, s1, s15
	s_lshl_b32 s8, s6, 8
	s_add_i32 s7, s7, -1
	s_mov_b32 s9, 0
	s_cmp_lg_u32 s6, s7
	s_mov_b64 s[0:1], -1
	s_cbranch_scc0 .LBB458_8
; %bb.1:
	s_lshl_b64 s[0:1], s[8:9], 2
	s_add_u32 s0, s16, s0
	s_addc_u32 s1, s17, s1
	v_lshlrev_b32_e32 v1, 2, v0
	v_mov_b32_e32 v3, s1
	v_add_co_u32_e32 v2, vcc, s0, v1
	v_addc_co_u32_e32 v3, vcc, 0, v3, vcc
	flat_load_dword v1, v[2:3]
	s_mov_b64 s[0:1], 0
	s_cmp_eq_u64 s[10:11], 0
	v_pk_mov_b32 v[2:3], 0, 0
	s_cbranch_scc1 .LBB458_5
; %bb.2:
	v_pk_mov_b32 v[2:3], 0, 0
	v_pk_mov_b32 v[4:5], s[10:11], s[10:11] op_sel:[0,1]
	v_mov_b32_e32 v6, s3
.LBB458_3:                              ; =>This Inner Loop Header: Depth=1
	v_sub_co_u32_e32 v8, vcc, v4, v2
	v_subb_co_u32_e32 v9, vcc, v5, v3, vcc
	v_lshrrev_b64 v[10:11], 1, v[8:9]
	v_add_co_u32_e32 v7, vcc, v10, v2
	v_lshrrev_b64 v[8:9], 6, v[8:9]
	v_addc_co_u32_e32 v10, vcc, v11, v3, vcc
	v_add_co_u32_e32 v8, vcc, v7, v8
	v_addc_co_u32_e32 v9, vcc, v10, v9, vcc
	v_lshlrev_b64 v[10:11], 2, v[8:9]
	v_add_co_u32_e32 v10, vcc, s2, v10
	v_addc_co_u32_e32 v11, vcc, v6, v11, vcc
	global_load_dword v7, v[10:11], off
	v_add_co_u32_e32 v10, vcc, 1, v8
	v_addc_co_u32_e32 v11, vcc, 0, v9, vcc
	s_waitcnt vmcnt(0) lgkmcnt(0)
	v_cmp_lt_u32_e32 vcc, v7, v1
	v_cndmask_b32_e32 v5, v9, v5, vcc
	v_cndmask_b32_e32 v4, v8, v4, vcc
	;; [unrolled: 1-line block ×4, first 2 shown]
	v_cmp_ge_u64_e32 vcc, v[2:3], v[4:5]
	s_or_b64 s[0:1], vcc, s[0:1]
	s_andn2_b64 exec, exec, s[0:1]
	s_cbranch_execnz .LBB458_3
; %bb.4:
	s_or_b64 exec, exec, s[0:1]
.LBB458_5:
	v_cmp_ne_u64_e32 vcc, s[10:11], v[2:3]
	s_mov_b64 s[0:1], 0
	s_mov_b64 s[12:13], 0
	s_and_saveexec_b64 s[6:7], vcc
	s_cbranch_execz .LBB458_7
; %bb.6:
	v_lshlrev_b64 v[2:3], 2, v[2:3]
	v_mov_b32_e32 v4, s3
	v_add_co_u32_e32 v2, vcc, s2, v2
	v_addc_co_u32_e32 v3, vcc, v4, v3, vcc
	global_load_dword v2, v[2:3], off
	s_waitcnt vmcnt(0) lgkmcnt(0)
	v_cmp_le_u32_e32 vcc, v2, v1
	s_and_b64 s[12:13], vcc, exec
.LBB458_7:
	s_or_b64 exec, exec, s[6:7]
	s_add_u32 s6, s14, s8
	s_addc_u32 s7, s15, 0
	v_mov_b32_e32 v3, s7
	v_add_co_u32_e32 v2, vcc, s6, v0
	s_waitcnt vmcnt(0) lgkmcnt(0)
	v_cndmask_b32_e64 v1, 0, 1, s[12:13]
	v_addc_co_u32_e32 v3, vcc, 0, v3, vcc
	flat_store_byte v[2:3], v1
.LBB458_8:
	s_and_b64 vcc, exec, s[0:1]
	s_cbranch_vccz .LBB458_13
; %bb.9:
	s_load_dword s0, s[4:5], 0x10
                                        ; implicit-def: $vgpr1
	s_waitcnt lgkmcnt(0)
	s_sub_i32 s0, s0, s8
	v_cmp_gt_u32_e32 vcc, s0, v0
	s_and_saveexec_b64 s[4:5], vcc
	s_cbranch_execnz .LBB458_14
; %bb.10:
	s_or_b64 exec, exec, s[4:5]
                                        ; implicit-def: $vgpr2
	s_and_saveexec_b64 s[4:5], vcc
	s_cbranch_execnz .LBB458_15
.LBB458_11:
	s_or_b64 exec, exec, s[4:5]
	s_and_saveexec_b64 s[0:1], vcc
	s_cbranch_execz .LBB458_13
.LBB458_12:
	s_add_u32 s0, s14, s8
	s_addc_u32 s1, s15, 0
	s_waitcnt vmcnt(0) lgkmcnt(0)
	v_mov_b32_e32 v1, s1
	v_add_co_u32_e32 v0, vcc, s0, v0
	v_addc_co_u32_e32 v1, vcc, 0, v1, vcc
	flat_store_byte v[0:1], v2
.LBB458_13:
	s_endpgm
.LBB458_14:
	s_lshl_b64 s[0:1], s[8:9], 2
	s_add_u32 s0, s16, s0
	s_addc_u32 s1, s17, s1
	v_lshlrev_b32_e32 v1, 2, v0
	v_mov_b32_e32 v3, s1
	v_add_co_u32_e64 v2, s[0:1], s0, v1
	v_addc_co_u32_e64 v3, s[0:1], 0, v3, s[0:1]
	flat_load_dword v1, v[2:3]
	s_or_b64 exec, exec, s[4:5]
                                        ; implicit-def: $vgpr2
	s_and_saveexec_b64 s[4:5], vcc
	s_cbranch_execz .LBB458_11
.LBB458_15:
	s_mov_b64 s[6:7], 0
	s_cmp_eq_u64 s[10:11], 0
	v_pk_mov_b32 v[2:3], 0, 0
	s_cbranch_scc1 .LBB458_19
; %bb.16:
	v_pk_mov_b32 v[2:3], 0, 0
	v_pk_mov_b32 v[4:5], s[10:11], s[10:11] op_sel:[0,1]
	v_mov_b32_e32 v6, s3
.LBB458_17:                             ; =>This Inner Loop Header: Depth=1
	v_sub_co_u32_e64 v8, s[0:1], v4, v2
	v_subb_co_u32_e64 v9, s[0:1], v5, v3, s[0:1]
	v_lshrrev_b64 v[10:11], 1, v[8:9]
	v_add_co_u32_e64 v7, s[0:1], v10, v2
	v_lshrrev_b64 v[8:9], 6, v[8:9]
	v_addc_co_u32_e64 v10, s[0:1], v11, v3, s[0:1]
	v_add_co_u32_e64 v8, s[0:1], v7, v8
	v_addc_co_u32_e64 v9, s[0:1], v10, v9, s[0:1]
	v_lshlrev_b64 v[10:11], 2, v[8:9]
	v_add_co_u32_e64 v10, s[0:1], s2, v10
	v_addc_co_u32_e64 v11, s[0:1], v6, v11, s[0:1]
	global_load_dword v7, v[10:11], off
	v_add_co_u32_e64 v10, s[0:1], 1, v8
	v_addc_co_u32_e64 v11, s[0:1], 0, v9, s[0:1]
	s_waitcnt vmcnt(0) lgkmcnt(0)
	v_cmp_lt_u32_e64 s[0:1], v7, v1
	v_cndmask_b32_e64 v5, v9, v5, s[0:1]
	v_cndmask_b32_e64 v4, v8, v4, s[0:1]
	;; [unrolled: 1-line block ×4, first 2 shown]
	v_cmp_ge_u64_e64 s[0:1], v[2:3], v[4:5]
	s_or_b64 s[6:7], s[0:1], s[6:7]
	s_andn2_b64 exec, exec, s[6:7]
	s_cbranch_execnz .LBB458_17
; %bb.18:
	s_or_b64 exec, exec, s[6:7]
.LBB458_19:
	v_cmp_ne_u64_e64 s[0:1], s[10:11], v[2:3]
	s_mov_b64 s[10:11], 0
	s_and_saveexec_b64 s[6:7], s[0:1]
	s_cbranch_execz .LBB458_21
; %bb.20:
	v_lshlrev_b64 v[2:3], 2, v[2:3]
	v_mov_b32_e32 v4, s3
	v_add_co_u32_e64 v2, s[0:1], s2, v2
	v_addc_co_u32_e64 v3, s[0:1], v4, v3, s[0:1]
	global_load_dword v2, v[2:3], off
	s_waitcnt vmcnt(0) lgkmcnt(0)
	v_cmp_le_u32_e64 s[0:1], v2, v1
	s_and_b64 s[10:11], s[0:1], exec
.LBB458_21:
	s_or_b64 exec, exec, s[6:7]
	v_cndmask_b32_e64 v2, 0, 1, s[10:11]
	s_or_b64 exec, exec, s[4:5]
	s_and_saveexec_b64 s[0:1], vcc
	s_cbranch_execnz .LBB458_12
	s_branch .LBB458_13
	.section	.rodata,"a",@progbits
	.p2align	6, 0x0
	.amdhsa_kernel _ZN7rocprim17ROCPRIM_400000_NS6detail17trampoline_kernelINS0_14default_configENS1_29binary_search_config_selectorIjbEEZNS1_14transform_implILb0ES3_S5_N6thrust23THRUST_200600_302600_NS6detail15normal_iteratorINS8_10device_ptrIjEEEENSA_INSB_IbEEEEZNS1_13binary_searchIS3_S5_SD_SD_SF_NS1_16binary_search_opENS9_16wrapped_functionINS0_4lessIvEEbEEEE10hipError_tPvRmT1_T2_T3_mmT4_T5_P12ihipStream_tbEUlRKjE_EESM_SQ_SR_mSS_SV_bEUlT_E_NS1_11comp_targetILNS1_3genE4ELNS1_11target_archE910ELNS1_3gpuE8ELNS1_3repE0EEENS1_30default_config_static_selectorELNS0_4arch9wavefront6targetE1EEEvSP_
		.amdhsa_group_segment_fixed_size 0
		.amdhsa_private_segment_fixed_size 0
		.amdhsa_kernarg_size 312
		.amdhsa_user_sgpr_count 6
		.amdhsa_user_sgpr_private_segment_buffer 1
		.amdhsa_user_sgpr_dispatch_ptr 0
		.amdhsa_user_sgpr_queue_ptr 0
		.amdhsa_user_sgpr_kernarg_segment_ptr 1
		.amdhsa_user_sgpr_dispatch_id 0
		.amdhsa_user_sgpr_flat_scratch_init 0
		.amdhsa_user_sgpr_kernarg_preload_length 0
		.amdhsa_user_sgpr_kernarg_preload_offset 0
		.amdhsa_user_sgpr_private_segment_size 0
		.amdhsa_uses_dynamic_stack 0
		.amdhsa_system_sgpr_private_segment_wavefront_offset 0
		.amdhsa_system_sgpr_workgroup_id_x 1
		.amdhsa_system_sgpr_workgroup_id_y 0
		.amdhsa_system_sgpr_workgroup_id_z 0
		.amdhsa_system_sgpr_workgroup_info 0
		.amdhsa_system_vgpr_workitem_id 0
		.amdhsa_next_free_vgpr 12
		.amdhsa_next_free_sgpr 18
		.amdhsa_accum_offset 12
		.amdhsa_reserve_vcc 1
		.amdhsa_reserve_flat_scratch 0
		.amdhsa_float_round_mode_32 0
		.amdhsa_float_round_mode_16_64 0
		.amdhsa_float_denorm_mode_32 3
		.amdhsa_float_denorm_mode_16_64 3
		.amdhsa_dx10_clamp 1
		.amdhsa_ieee_mode 1
		.amdhsa_fp16_overflow 0
		.amdhsa_tg_split 0
		.amdhsa_exception_fp_ieee_invalid_op 0
		.amdhsa_exception_fp_denorm_src 0
		.amdhsa_exception_fp_ieee_div_zero 0
		.amdhsa_exception_fp_ieee_overflow 0
		.amdhsa_exception_fp_ieee_underflow 0
		.amdhsa_exception_fp_ieee_inexact 0
		.amdhsa_exception_int_div_zero 0
	.end_amdhsa_kernel
	.section	.text._ZN7rocprim17ROCPRIM_400000_NS6detail17trampoline_kernelINS0_14default_configENS1_29binary_search_config_selectorIjbEEZNS1_14transform_implILb0ES3_S5_N6thrust23THRUST_200600_302600_NS6detail15normal_iteratorINS8_10device_ptrIjEEEENSA_INSB_IbEEEEZNS1_13binary_searchIS3_S5_SD_SD_SF_NS1_16binary_search_opENS9_16wrapped_functionINS0_4lessIvEEbEEEE10hipError_tPvRmT1_T2_T3_mmT4_T5_P12ihipStream_tbEUlRKjE_EESM_SQ_SR_mSS_SV_bEUlT_E_NS1_11comp_targetILNS1_3genE4ELNS1_11target_archE910ELNS1_3gpuE8ELNS1_3repE0EEENS1_30default_config_static_selectorELNS0_4arch9wavefront6targetE1EEEvSP_,"axG",@progbits,_ZN7rocprim17ROCPRIM_400000_NS6detail17trampoline_kernelINS0_14default_configENS1_29binary_search_config_selectorIjbEEZNS1_14transform_implILb0ES3_S5_N6thrust23THRUST_200600_302600_NS6detail15normal_iteratorINS8_10device_ptrIjEEEENSA_INSB_IbEEEEZNS1_13binary_searchIS3_S5_SD_SD_SF_NS1_16binary_search_opENS9_16wrapped_functionINS0_4lessIvEEbEEEE10hipError_tPvRmT1_T2_T3_mmT4_T5_P12ihipStream_tbEUlRKjE_EESM_SQ_SR_mSS_SV_bEUlT_E_NS1_11comp_targetILNS1_3genE4ELNS1_11target_archE910ELNS1_3gpuE8ELNS1_3repE0EEENS1_30default_config_static_selectorELNS0_4arch9wavefront6targetE1EEEvSP_,comdat
.Lfunc_end458:
	.size	_ZN7rocprim17ROCPRIM_400000_NS6detail17trampoline_kernelINS0_14default_configENS1_29binary_search_config_selectorIjbEEZNS1_14transform_implILb0ES3_S5_N6thrust23THRUST_200600_302600_NS6detail15normal_iteratorINS8_10device_ptrIjEEEENSA_INSB_IbEEEEZNS1_13binary_searchIS3_S5_SD_SD_SF_NS1_16binary_search_opENS9_16wrapped_functionINS0_4lessIvEEbEEEE10hipError_tPvRmT1_T2_T3_mmT4_T5_P12ihipStream_tbEUlRKjE_EESM_SQ_SR_mSS_SV_bEUlT_E_NS1_11comp_targetILNS1_3genE4ELNS1_11target_archE910ELNS1_3gpuE8ELNS1_3repE0EEENS1_30default_config_static_selectorELNS0_4arch9wavefront6targetE1EEEvSP_, .Lfunc_end458-_ZN7rocprim17ROCPRIM_400000_NS6detail17trampoline_kernelINS0_14default_configENS1_29binary_search_config_selectorIjbEEZNS1_14transform_implILb0ES3_S5_N6thrust23THRUST_200600_302600_NS6detail15normal_iteratorINS8_10device_ptrIjEEEENSA_INSB_IbEEEEZNS1_13binary_searchIS3_S5_SD_SD_SF_NS1_16binary_search_opENS9_16wrapped_functionINS0_4lessIvEEbEEEE10hipError_tPvRmT1_T2_T3_mmT4_T5_P12ihipStream_tbEUlRKjE_EESM_SQ_SR_mSS_SV_bEUlT_E_NS1_11comp_targetILNS1_3genE4ELNS1_11target_archE910ELNS1_3gpuE8ELNS1_3repE0EEENS1_30default_config_static_selectorELNS0_4arch9wavefront6targetE1EEEvSP_
                                        ; -- End function
	.section	.AMDGPU.csdata,"",@progbits
; Kernel info:
; codeLenInByte = 848
; NumSgprs: 22
; NumVgprs: 12
; NumAgprs: 0
; TotalNumVgprs: 12
; ScratchSize: 0
; MemoryBound: 0
; FloatMode: 240
; IeeeMode: 1
; LDSByteSize: 0 bytes/workgroup (compile time only)
; SGPRBlocks: 2
; VGPRBlocks: 1
; NumSGPRsForWavesPerEU: 22
; NumVGPRsForWavesPerEU: 12
; AccumOffset: 12
; Occupancy: 8
; WaveLimiterHint : 0
; COMPUTE_PGM_RSRC2:SCRATCH_EN: 0
; COMPUTE_PGM_RSRC2:USER_SGPR: 6
; COMPUTE_PGM_RSRC2:TRAP_HANDLER: 0
; COMPUTE_PGM_RSRC2:TGID_X_EN: 1
; COMPUTE_PGM_RSRC2:TGID_Y_EN: 0
; COMPUTE_PGM_RSRC2:TGID_Z_EN: 0
; COMPUTE_PGM_RSRC2:TIDIG_COMP_CNT: 0
; COMPUTE_PGM_RSRC3_GFX90A:ACCUM_OFFSET: 2
; COMPUTE_PGM_RSRC3_GFX90A:TG_SPLIT: 0
	.section	.text._ZN7rocprim17ROCPRIM_400000_NS6detail17trampoline_kernelINS0_14default_configENS1_29binary_search_config_selectorIjbEEZNS1_14transform_implILb0ES3_S5_N6thrust23THRUST_200600_302600_NS6detail15normal_iteratorINS8_10device_ptrIjEEEENSA_INSB_IbEEEEZNS1_13binary_searchIS3_S5_SD_SD_SF_NS1_16binary_search_opENS9_16wrapped_functionINS0_4lessIvEEbEEEE10hipError_tPvRmT1_T2_T3_mmT4_T5_P12ihipStream_tbEUlRKjE_EESM_SQ_SR_mSS_SV_bEUlT_E_NS1_11comp_targetILNS1_3genE3ELNS1_11target_archE908ELNS1_3gpuE7ELNS1_3repE0EEENS1_30default_config_static_selectorELNS0_4arch9wavefront6targetE1EEEvSP_,"axG",@progbits,_ZN7rocprim17ROCPRIM_400000_NS6detail17trampoline_kernelINS0_14default_configENS1_29binary_search_config_selectorIjbEEZNS1_14transform_implILb0ES3_S5_N6thrust23THRUST_200600_302600_NS6detail15normal_iteratorINS8_10device_ptrIjEEEENSA_INSB_IbEEEEZNS1_13binary_searchIS3_S5_SD_SD_SF_NS1_16binary_search_opENS9_16wrapped_functionINS0_4lessIvEEbEEEE10hipError_tPvRmT1_T2_T3_mmT4_T5_P12ihipStream_tbEUlRKjE_EESM_SQ_SR_mSS_SV_bEUlT_E_NS1_11comp_targetILNS1_3genE3ELNS1_11target_archE908ELNS1_3gpuE7ELNS1_3repE0EEENS1_30default_config_static_selectorELNS0_4arch9wavefront6targetE1EEEvSP_,comdat
	.protected	_ZN7rocprim17ROCPRIM_400000_NS6detail17trampoline_kernelINS0_14default_configENS1_29binary_search_config_selectorIjbEEZNS1_14transform_implILb0ES3_S5_N6thrust23THRUST_200600_302600_NS6detail15normal_iteratorINS8_10device_ptrIjEEEENSA_INSB_IbEEEEZNS1_13binary_searchIS3_S5_SD_SD_SF_NS1_16binary_search_opENS9_16wrapped_functionINS0_4lessIvEEbEEEE10hipError_tPvRmT1_T2_T3_mmT4_T5_P12ihipStream_tbEUlRKjE_EESM_SQ_SR_mSS_SV_bEUlT_E_NS1_11comp_targetILNS1_3genE3ELNS1_11target_archE908ELNS1_3gpuE7ELNS1_3repE0EEENS1_30default_config_static_selectorELNS0_4arch9wavefront6targetE1EEEvSP_ ; -- Begin function _ZN7rocprim17ROCPRIM_400000_NS6detail17trampoline_kernelINS0_14default_configENS1_29binary_search_config_selectorIjbEEZNS1_14transform_implILb0ES3_S5_N6thrust23THRUST_200600_302600_NS6detail15normal_iteratorINS8_10device_ptrIjEEEENSA_INSB_IbEEEEZNS1_13binary_searchIS3_S5_SD_SD_SF_NS1_16binary_search_opENS9_16wrapped_functionINS0_4lessIvEEbEEEE10hipError_tPvRmT1_T2_T3_mmT4_T5_P12ihipStream_tbEUlRKjE_EESM_SQ_SR_mSS_SV_bEUlT_E_NS1_11comp_targetILNS1_3genE3ELNS1_11target_archE908ELNS1_3gpuE7ELNS1_3repE0EEENS1_30default_config_static_selectorELNS0_4arch9wavefront6targetE1EEEvSP_
	.globl	_ZN7rocprim17ROCPRIM_400000_NS6detail17trampoline_kernelINS0_14default_configENS1_29binary_search_config_selectorIjbEEZNS1_14transform_implILb0ES3_S5_N6thrust23THRUST_200600_302600_NS6detail15normal_iteratorINS8_10device_ptrIjEEEENSA_INSB_IbEEEEZNS1_13binary_searchIS3_S5_SD_SD_SF_NS1_16binary_search_opENS9_16wrapped_functionINS0_4lessIvEEbEEEE10hipError_tPvRmT1_T2_T3_mmT4_T5_P12ihipStream_tbEUlRKjE_EESM_SQ_SR_mSS_SV_bEUlT_E_NS1_11comp_targetILNS1_3genE3ELNS1_11target_archE908ELNS1_3gpuE7ELNS1_3repE0EEENS1_30default_config_static_selectorELNS0_4arch9wavefront6targetE1EEEvSP_
	.p2align	8
	.type	_ZN7rocprim17ROCPRIM_400000_NS6detail17trampoline_kernelINS0_14default_configENS1_29binary_search_config_selectorIjbEEZNS1_14transform_implILb0ES3_S5_N6thrust23THRUST_200600_302600_NS6detail15normal_iteratorINS8_10device_ptrIjEEEENSA_INSB_IbEEEEZNS1_13binary_searchIS3_S5_SD_SD_SF_NS1_16binary_search_opENS9_16wrapped_functionINS0_4lessIvEEbEEEE10hipError_tPvRmT1_T2_T3_mmT4_T5_P12ihipStream_tbEUlRKjE_EESM_SQ_SR_mSS_SV_bEUlT_E_NS1_11comp_targetILNS1_3genE3ELNS1_11target_archE908ELNS1_3gpuE7ELNS1_3repE0EEENS1_30default_config_static_selectorELNS0_4arch9wavefront6targetE1EEEvSP_,@function
_ZN7rocprim17ROCPRIM_400000_NS6detail17trampoline_kernelINS0_14default_configENS1_29binary_search_config_selectorIjbEEZNS1_14transform_implILb0ES3_S5_N6thrust23THRUST_200600_302600_NS6detail15normal_iteratorINS8_10device_ptrIjEEEENSA_INSB_IbEEEEZNS1_13binary_searchIS3_S5_SD_SD_SF_NS1_16binary_search_opENS9_16wrapped_functionINS0_4lessIvEEbEEEE10hipError_tPvRmT1_T2_T3_mmT4_T5_P12ihipStream_tbEUlRKjE_EESM_SQ_SR_mSS_SV_bEUlT_E_NS1_11comp_targetILNS1_3genE3ELNS1_11target_archE908ELNS1_3gpuE7ELNS1_3repE0EEENS1_30default_config_static_selectorELNS0_4arch9wavefront6targetE1EEEvSP_: ; @_ZN7rocprim17ROCPRIM_400000_NS6detail17trampoline_kernelINS0_14default_configENS1_29binary_search_config_selectorIjbEEZNS1_14transform_implILb0ES3_S5_N6thrust23THRUST_200600_302600_NS6detail15normal_iteratorINS8_10device_ptrIjEEEENSA_INSB_IbEEEEZNS1_13binary_searchIS3_S5_SD_SD_SF_NS1_16binary_search_opENS9_16wrapped_functionINS0_4lessIvEEbEEEE10hipError_tPvRmT1_T2_T3_mmT4_T5_P12ihipStream_tbEUlRKjE_EESM_SQ_SR_mSS_SV_bEUlT_E_NS1_11comp_targetILNS1_3genE3ELNS1_11target_archE908ELNS1_3gpuE7ELNS1_3repE0EEENS1_30default_config_static_selectorELNS0_4arch9wavefront6targetE1EEEvSP_
; %bb.0:
	.section	.rodata,"a",@progbits
	.p2align	6, 0x0
	.amdhsa_kernel _ZN7rocprim17ROCPRIM_400000_NS6detail17trampoline_kernelINS0_14default_configENS1_29binary_search_config_selectorIjbEEZNS1_14transform_implILb0ES3_S5_N6thrust23THRUST_200600_302600_NS6detail15normal_iteratorINS8_10device_ptrIjEEEENSA_INSB_IbEEEEZNS1_13binary_searchIS3_S5_SD_SD_SF_NS1_16binary_search_opENS9_16wrapped_functionINS0_4lessIvEEbEEEE10hipError_tPvRmT1_T2_T3_mmT4_T5_P12ihipStream_tbEUlRKjE_EESM_SQ_SR_mSS_SV_bEUlT_E_NS1_11comp_targetILNS1_3genE3ELNS1_11target_archE908ELNS1_3gpuE7ELNS1_3repE0EEENS1_30default_config_static_selectorELNS0_4arch9wavefront6targetE1EEEvSP_
		.amdhsa_group_segment_fixed_size 0
		.amdhsa_private_segment_fixed_size 0
		.amdhsa_kernarg_size 56
		.amdhsa_user_sgpr_count 6
		.amdhsa_user_sgpr_private_segment_buffer 1
		.amdhsa_user_sgpr_dispatch_ptr 0
		.amdhsa_user_sgpr_queue_ptr 0
		.amdhsa_user_sgpr_kernarg_segment_ptr 1
		.amdhsa_user_sgpr_dispatch_id 0
		.amdhsa_user_sgpr_flat_scratch_init 0
		.amdhsa_user_sgpr_kernarg_preload_length 0
		.amdhsa_user_sgpr_kernarg_preload_offset 0
		.amdhsa_user_sgpr_private_segment_size 0
		.amdhsa_uses_dynamic_stack 0
		.amdhsa_system_sgpr_private_segment_wavefront_offset 0
		.amdhsa_system_sgpr_workgroup_id_x 1
		.amdhsa_system_sgpr_workgroup_id_y 0
		.amdhsa_system_sgpr_workgroup_id_z 0
		.amdhsa_system_sgpr_workgroup_info 0
		.amdhsa_system_vgpr_workitem_id 0
		.amdhsa_next_free_vgpr 1
		.amdhsa_next_free_sgpr 0
		.amdhsa_accum_offset 4
		.amdhsa_reserve_vcc 0
		.amdhsa_reserve_flat_scratch 0
		.amdhsa_float_round_mode_32 0
		.amdhsa_float_round_mode_16_64 0
		.amdhsa_float_denorm_mode_32 3
		.amdhsa_float_denorm_mode_16_64 3
		.amdhsa_dx10_clamp 1
		.amdhsa_ieee_mode 1
		.amdhsa_fp16_overflow 0
		.amdhsa_tg_split 0
		.amdhsa_exception_fp_ieee_invalid_op 0
		.amdhsa_exception_fp_denorm_src 0
		.amdhsa_exception_fp_ieee_div_zero 0
		.amdhsa_exception_fp_ieee_overflow 0
		.amdhsa_exception_fp_ieee_underflow 0
		.amdhsa_exception_fp_ieee_inexact 0
		.amdhsa_exception_int_div_zero 0
	.end_amdhsa_kernel
	.section	.text._ZN7rocprim17ROCPRIM_400000_NS6detail17trampoline_kernelINS0_14default_configENS1_29binary_search_config_selectorIjbEEZNS1_14transform_implILb0ES3_S5_N6thrust23THRUST_200600_302600_NS6detail15normal_iteratorINS8_10device_ptrIjEEEENSA_INSB_IbEEEEZNS1_13binary_searchIS3_S5_SD_SD_SF_NS1_16binary_search_opENS9_16wrapped_functionINS0_4lessIvEEbEEEE10hipError_tPvRmT1_T2_T3_mmT4_T5_P12ihipStream_tbEUlRKjE_EESM_SQ_SR_mSS_SV_bEUlT_E_NS1_11comp_targetILNS1_3genE3ELNS1_11target_archE908ELNS1_3gpuE7ELNS1_3repE0EEENS1_30default_config_static_selectorELNS0_4arch9wavefront6targetE1EEEvSP_,"axG",@progbits,_ZN7rocprim17ROCPRIM_400000_NS6detail17trampoline_kernelINS0_14default_configENS1_29binary_search_config_selectorIjbEEZNS1_14transform_implILb0ES3_S5_N6thrust23THRUST_200600_302600_NS6detail15normal_iteratorINS8_10device_ptrIjEEEENSA_INSB_IbEEEEZNS1_13binary_searchIS3_S5_SD_SD_SF_NS1_16binary_search_opENS9_16wrapped_functionINS0_4lessIvEEbEEEE10hipError_tPvRmT1_T2_T3_mmT4_T5_P12ihipStream_tbEUlRKjE_EESM_SQ_SR_mSS_SV_bEUlT_E_NS1_11comp_targetILNS1_3genE3ELNS1_11target_archE908ELNS1_3gpuE7ELNS1_3repE0EEENS1_30default_config_static_selectorELNS0_4arch9wavefront6targetE1EEEvSP_,comdat
.Lfunc_end459:
	.size	_ZN7rocprim17ROCPRIM_400000_NS6detail17trampoline_kernelINS0_14default_configENS1_29binary_search_config_selectorIjbEEZNS1_14transform_implILb0ES3_S5_N6thrust23THRUST_200600_302600_NS6detail15normal_iteratorINS8_10device_ptrIjEEEENSA_INSB_IbEEEEZNS1_13binary_searchIS3_S5_SD_SD_SF_NS1_16binary_search_opENS9_16wrapped_functionINS0_4lessIvEEbEEEE10hipError_tPvRmT1_T2_T3_mmT4_T5_P12ihipStream_tbEUlRKjE_EESM_SQ_SR_mSS_SV_bEUlT_E_NS1_11comp_targetILNS1_3genE3ELNS1_11target_archE908ELNS1_3gpuE7ELNS1_3repE0EEENS1_30default_config_static_selectorELNS0_4arch9wavefront6targetE1EEEvSP_, .Lfunc_end459-_ZN7rocprim17ROCPRIM_400000_NS6detail17trampoline_kernelINS0_14default_configENS1_29binary_search_config_selectorIjbEEZNS1_14transform_implILb0ES3_S5_N6thrust23THRUST_200600_302600_NS6detail15normal_iteratorINS8_10device_ptrIjEEEENSA_INSB_IbEEEEZNS1_13binary_searchIS3_S5_SD_SD_SF_NS1_16binary_search_opENS9_16wrapped_functionINS0_4lessIvEEbEEEE10hipError_tPvRmT1_T2_T3_mmT4_T5_P12ihipStream_tbEUlRKjE_EESM_SQ_SR_mSS_SV_bEUlT_E_NS1_11comp_targetILNS1_3genE3ELNS1_11target_archE908ELNS1_3gpuE7ELNS1_3repE0EEENS1_30default_config_static_selectorELNS0_4arch9wavefront6targetE1EEEvSP_
                                        ; -- End function
	.section	.AMDGPU.csdata,"",@progbits
; Kernel info:
; codeLenInByte = 0
; NumSgprs: 4
; NumVgprs: 0
; NumAgprs: 0
; TotalNumVgprs: 0
; ScratchSize: 0
; MemoryBound: 0
; FloatMode: 240
; IeeeMode: 1
; LDSByteSize: 0 bytes/workgroup (compile time only)
; SGPRBlocks: 0
; VGPRBlocks: 0
; NumSGPRsForWavesPerEU: 4
; NumVGPRsForWavesPerEU: 1
; AccumOffset: 4
; Occupancy: 8
; WaveLimiterHint : 0
; COMPUTE_PGM_RSRC2:SCRATCH_EN: 0
; COMPUTE_PGM_RSRC2:USER_SGPR: 6
; COMPUTE_PGM_RSRC2:TRAP_HANDLER: 0
; COMPUTE_PGM_RSRC2:TGID_X_EN: 1
; COMPUTE_PGM_RSRC2:TGID_Y_EN: 0
; COMPUTE_PGM_RSRC2:TGID_Z_EN: 0
; COMPUTE_PGM_RSRC2:TIDIG_COMP_CNT: 0
; COMPUTE_PGM_RSRC3_GFX90A:ACCUM_OFFSET: 0
; COMPUTE_PGM_RSRC3_GFX90A:TG_SPLIT: 0
	.section	.text._ZN7rocprim17ROCPRIM_400000_NS6detail17trampoline_kernelINS0_14default_configENS1_29binary_search_config_selectorIjbEEZNS1_14transform_implILb0ES3_S5_N6thrust23THRUST_200600_302600_NS6detail15normal_iteratorINS8_10device_ptrIjEEEENSA_INSB_IbEEEEZNS1_13binary_searchIS3_S5_SD_SD_SF_NS1_16binary_search_opENS9_16wrapped_functionINS0_4lessIvEEbEEEE10hipError_tPvRmT1_T2_T3_mmT4_T5_P12ihipStream_tbEUlRKjE_EESM_SQ_SR_mSS_SV_bEUlT_E_NS1_11comp_targetILNS1_3genE2ELNS1_11target_archE906ELNS1_3gpuE6ELNS1_3repE0EEENS1_30default_config_static_selectorELNS0_4arch9wavefront6targetE1EEEvSP_,"axG",@progbits,_ZN7rocprim17ROCPRIM_400000_NS6detail17trampoline_kernelINS0_14default_configENS1_29binary_search_config_selectorIjbEEZNS1_14transform_implILb0ES3_S5_N6thrust23THRUST_200600_302600_NS6detail15normal_iteratorINS8_10device_ptrIjEEEENSA_INSB_IbEEEEZNS1_13binary_searchIS3_S5_SD_SD_SF_NS1_16binary_search_opENS9_16wrapped_functionINS0_4lessIvEEbEEEE10hipError_tPvRmT1_T2_T3_mmT4_T5_P12ihipStream_tbEUlRKjE_EESM_SQ_SR_mSS_SV_bEUlT_E_NS1_11comp_targetILNS1_3genE2ELNS1_11target_archE906ELNS1_3gpuE6ELNS1_3repE0EEENS1_30default_config_static_selectorELNS0_4arch9wavefront6targetE1EEEvSP_,comdat
	.protected	_ZN7rocprim17ROCPRIM_400000_NS6detail17trampoline_kernelINS0_14default_configENS1_29binary_search_config_selectorIjbEEZNS1_14transform_implILb0ES3_S5_N6thrust23THRUST_200600_302600_NS6detail15normal_iteratorINS8_10device_ptrIjEEEENSA_INSB_IbEEEEZNS1_13binary_searchIS3_S5_SD_SD_SF_NS1_16binary_search_opENS9_16wrapped_functionINS0_4lessIvEEbEEEE10hipError_tPvRmT1_T2_T3_mmT4_T5_P12ihipStream_tbEUlRKjE_EESM_SQ_SR_mSS_SV_bEUlT_E_NS1_11comp_targetILNS1_3genE2ELNS1_11target_archE906ELNS1_3gpuE6ELNS1_3repE0EEENS1_30default_config_static_selectorELNS0_4arch9wavefront6targetE1EEEvSP_ ; -- Begin function _ZN7rocprim17ROCPRIM_400000_NS6detail17trampoline_kernelINS0_14default_configENS1_29binary_search_config_selectorIjbEEZNS1_14transform_implILb0ES3_S5_N6thrust23THRUST_200600_302600_NS6detail15normal_iteratorINS8_10device_ptrIjEEEENSA_INSB_IbEEEEZNS1_13binary_searchIS3_S5_SD_SD_SF_NS1_16binary_search_opENS9_16wrapped_functionINS0_4lessIvEEbEEEE10hipError_tPvRmT1_T2_T3_mmT4_T5_P12ihipStream_tbEUlRKjE_EESM_SQ_SR_mSS_SV_bEUlT_E_NS1_11comp_targetILNS1_3genE2ELNS1_11target_archE906ELNS1_3gpuE6ELNS1_3repE0EEENS1_30default_config_static_selectorELNS0_4arch9wavefront6targetE1EEEvSP_
	.globl	_ZN7rocprim17ROCPRIM_400000_NS6detail17trampoline_kernelINS0_14default_configENS1_29binary_search_config_selectorIjbEEZNS1_14transform_implILb0ES3_S5_N6thrust23THRUST_200600_302600_NS6detail15normal_iteratorINS8_10device_ptrIjEEEENSA_INSB_IbEEEEZNS1_13binary_searchIS3_S5_SD_SD_SF_NS1_16binary_search_opENS9_16wrapped_functionINS0_4lessIvEEbEEEE10hipError_tPvRmT1_T2_T3_mmT4_T5_P12ihipStream_tbEUlRKjE_EESM_SQ_SR_mSS_SV_bEUlT_E_NS1_11comp_targetILNS1_3genE2ELNS1_11target_archE906ELNS1_3gpuE6ELNS1_3repE0EEENS1_30default_config_static_selectorELNS0_4arch9wavefront6targetE1EEEvSP_
	.p2align	8
	.type	_ZN7rocprim17ROCPRIM_400000_NS6detail17trampoline_kernelINS0_14default_configENS1_29binary_search_config_selectorIjbEEZNS1_14transform_implILb0ES3_S5_N6thrust23THRUST_200600_302600_NS6detail15normal_iteratorINS8_10device_ptrIjEEEENSA_INSB_IbEEEEZNS1_13binary_searchIS3_S5_SD_SD_SF_NS1_16binary_search_opENS9_16wrapped_functionINS0_4lessIvEEbEEEE10hipError_tPvRmT1_T2_T3_mmT4_T5_P12ihipStream_tbEUlRKjE_EESM_SQ_SR_mSS_SV_bEUlT_E_NS1_11comp_targetILNS1_3genE2ELNS1_11target_archE906ELNS1_3gpuE6ELNS1_3repE0EEENS1_30default_config_static_selectorELNS0_4arch9wavefront6targetE1EEEvSP_,@function
_ZN7rocprim17ROCPRIM_400000_NS6detail17trampoline_kernelINS0_14default_configENS1_29binary_search_config_selectorIjbEEZNS1_14transform_implILb0ES3_S5_N6thrust23THRUST_200600_302600_NS6detail15normal_iteratorINS8_10device_ptrIjEEEENSA_INSB_IbEEEEZNS1_13binary_searchIS3_S5_SD_SD_SF_NS1_16binary_search_opENS9_16wrapped_functionINS0_4lessIvEEbEEEE10hipError_tPvRmT1_T2_T3_mmT4_T5_P12ihipStream_tbEUlRKjE_EESM_SQ_SR_mSS_SV_bEUlT_E_NS1_11comp_targetILNS1_3genE2ELNS1_11target_archE906ELNS1_3gpuE6ELNS1_3repE0EEENS1_30default_config_static_selectorELNS0_4arch9wavefront6targetE1EEEvSP_: ; @_ZN7rocprim17ROCPRIM_400000_NS6detail17trampoline_kernelINS0_14default_configENS1_29binary_search_config_selectorIjbEEZNS1_14transform_implILb0ES3_S5_N6thrust23THRUST_200600_302600_NS6detail15normal_iteratorINS8_10device_ptrIjEEEENSA_INSB_IbEEEEZNS1_13binary_searchIS3_S5_SD_SD_SF_NS1_16binary_search_opENS9_16wrapped_functionINS0_4lessIvEEbEEEE10hipError_tPvRmT1_T2_T3_mmT4_T5_P12ihipStream_tbEUlRKjE_EESM_SQ_SR_mSS_SV_bEUlT_E_NS1_11comp_targetILNS1_3genE2ELNS1_11target_archE906ELNS1_3gpuE6ELNS1_3repE0EEENS1_30default_config_static_selectorELNS0_4arch9wavefront6targetE1EEEvSP_
; %bb.0:
	.section	.rodata,"a",@progbits
	.p2align	6, 0x0
	.amdhsa_kernel _ZN7rocprim17ROCPRIM_400000_NS6detail17trampoline_kernelINS0_14default_configENS1_29binary_search_config_selectorIjbEEZNS1_14transform_implILb0ES3_S5_N6thrust23THRUST_200600_302600_NS6detail15normal_iteratorINS8_10device_ptrIjEEEENSA_INSB_IbEEEEZNS1_13binary_searchIS3_S5_SD_SD_SF_NS1_16binary_search_opENS9_16wrapped_functionINS0_4lessIvEEbEEEE10hipError_tPvRmT1_T2_T3_mmT4_T5_P12ihipStream_tbEUlRKjE_EESM_SQ_SR_mSS_SV_bEUlT_E_NS1_11comp_targetILNS1_3genE2ELNS1_11target_archE906ELNS1_3gpuE6ELNS1_3repE0EEENS1_30default_config_static_selectorELNS0_4arch9wavefront6targetE1EEEvSP_
		.amdhsa_group_segment_fixed_size 0
		.amdhsa_private_segment_fixed_size 0
		.amdhsa_kernarg_size 56
		.amdhsa_user_sgpr_count 6
		.amdhsa_user_sgpr_private_segment_buffer 1
		.amdhsa_user_sgpr_dispatch_ptr 0
		.amdhsa_user_sgpr_queue_ptr 0
		.amdhsa_user_sgpr_kernarg_segment_ptr 1
		.amdhsa_user_sgpr_dispatch_id 0
		.amdhsa_user_sgpr_flat_scratch_init 0
		.amdhsa_user_sgpr_kernarg_preload_length 0
		.amdhsa_user_sgpr_kernarg_preload_offset 0
		.amdhsa_user_sgpr_private_segment_size 0
		.amdhsa_uses_dynamic_stack 0
		.amdhsa_system_sgpr_private_segment_wavefront_offset 0
		.amdhsa_system_sgpr_workgroup_id_x 1
		.amdhsa_system_sgpr_workgroup_id_y 0
		.amdhsa_system_sgpr_workgroup_id_z 0
		.amdhsa_system_sgpr_workgroup_info 0
		.amdhsa_system_vgpr_workitem_id 0
		.amdhsa_next_free_vgpr 1
		.amdhsa_next_free_sgpr 0
		.amdhsa_accum_offset 4
		.amdhsa_reserve_vcc 0
		.amdhsa_reserve_flat_scratch 0
		.amdhsa_float_round_mode_32 0
		.amdhsa_float_round_mode_16_64 0
		.amdhsa_float_denorm_mode_32 3
		.amdhsa_float_denorm_mode_16_64 3
		.amdhsa_dx10_clamp 1
		.amdhsa_ieee_mode 1
		.amdhsa_fp16_overflow 0
		.amdhsa_tg_split 0
		.amdhsa_exception_fp_ieee_invalid_op 0
		.amdhsa_exception_fp_denorm_src 0
		.amdhsa_exception_fp_ieee_div_zero 0
		.amdhsa_exception_fp_ieee_overflow 0
		.amdhsa_exception_fp_ieee_underflow 0
		.amdhsa_exception_fp_ieee_inexact 0
		.amdhsa_exception_int_div_zero 0
	.end_amdhsa_kernel
	.section	.text._ZN7rocprim17ROCPRIM_400000_NS6detail17trampoline_kernelINS0_14default_configENS1_29binary_search_config_selectorIjbEEZNS1_14transform_implILb0ES3_S5_N6thrust23THRUST_200600_302600_NS6detail15normal_iteratorINS8_10device_ptrIjEEEENSA_INSB_IbEEEEZNS1_13binary_searchIS3_S5_SD_SD_SF_NS1_16binary_search_opENS9_16wrapped_functionINS0_4lessIvEEbEEEE10hipError_tPvRmT1_T2_T3_mmT4_T5_P12ihipStream_tbEUlRKjE_EESM_SQ_SR_mSS_SV_bEUlT_E_NS1_11comp_targetILNS1_3genE2ELNS1_11target_archE906ELNS1_3gpuE6ELNS1_3repE0EEENS1_30default_config_static_selectorELNS0_4arch9wavefront6targetE1EEEvSP_,"axG",@progbits,_ZN7rocprim17ROCPRIM_400000_NS6detail17trampoline_kernelINS0_14default_configENS1_29binary_search_config_selectorIjbEEZNS1_14transform_implILb0ES3_S5_N6thrust23THRUST_200600_302600_NS6detail15normal_iteratorINS8_10device_ptrIjEEEENSA_INSB_IbEEEEZNS1_13binary_searchIS3_S5_SD_SD_SF_NS1_16binary_search_opENS9_16wrapped_functionINS0_4lessIvEEbEEEE10hipError_tPvRmT1_T2_T3_mmT4_T5_P12ihipStream_tbEUlRKjE_EESM_SQ_SR_mSS_SV_bEUlT_E_NS1_11comp_targetILNS1_3genE2ELNS1_11target_archE906ELNS1_3gpuE6ELNS1_3repE0EEENS1_30default_config_static_selectorELNS0_4arch9wavefront6targetE1EEEvSP_,comdat
.Lfunc_end460:
	.size	_ZN7rocprim17ROCPRIM_400000_NS6detail17trampoline_kernelINS0_14default_configENS1_29binary_search_config_selectorIjbEEZNS1_14transform_implILb0ES3_S5_N6thrust23THRUST_200600_302600_NS6detail15normal_iteratorINS8_10device_ptrIjEEEENSA_INSB_IbEEEEZNS1_13binary_searchIS3_S5_SD_SD_SF_NS1_16binary_search_opENS9_16wrapped_functionINS0_4lessIvEEbEEEE10hipError_tPvRmT1_T2_T3_mmT4_T5_P12ihipStream_tbEUlRKjE_EESM_SQ_SR_mSS_SV_bEUlT_E_NS1_11comp_targetILNS1_3genE2ELNS1_11target_archE906ELNS1_3gpuE6ELNS1_3repE0EEENS1_30default_config_static_selectorELNS0_4arch9wavefront6targetE1EEEvSP_, .Lfunc_end460-_ZN7rocprim17ROCPRIM_400000_NS6detail17trampoline_kernelINS0_14default_configENS1_29binary_search_config_selectorIjbEEZNS1_14transform_implILb0ES3_S5_N6thrust23THRUST_200600_302600_NS6detail15normal_iteratorINS8_10device_ptrIjEEEENSA_INSB_IbEEEEZNS1_13binary_searchIS3_S5_SD_SD_SF_NS1_16binary_search_opENS9_16wrapped_functionINS0_4lessIvEEbEEEE10hipError_tPvRmT1_T2_T3_mmT4_T5_P12ihipStream_tbEUlRKjE_EESM_SQ_SR_mSS_SV_bEUlT_E_NS1_11comp_targetILNS1_3genE2ELNS1_11target_archE906ELNS1_3gpuE6ELNS1_3repE0EEENS1_30default_config_static_selectorELNS0_4arch9wavefront6targetE1EEEvSP_
                                        ; -- End function
	.section	.AMDGPU.csdata,"",@progbits
; Kernel info:
; codeLenInByte = 0
; NumSgprs: 4
; NumVgprs: 0
; NumAgprs: 0
; TotalNumVgprs: 0
; ScratchSize: 0
; MemoryBound: 0
; FloatMode: 240
; IeeeMode: 1
; LDSByteSize: 0 bytes/workgroup (compile time only)
; SGPRBlocks: 0
; VGPRBlocks: 0
; NumSGPRsForWavesPerEU: 4
; NumVGPRsForWavesPerEU: 1
; AccumOffset: 4
; Occupancy: 8
; WaveLimiterHint : 0
; COMPUTE_PGM_RSRC2:SCRATCH_EN: 0
; COMPUTE_PGM_RSRC2:USER_SGPR: 6
; COMPUTE_PGM_RSRC2:TRAP_HANDLER: 0
; COMPUTE_PGM_RSRC2:TGID_X_EN: 1
; COMPUTE_PGM_RSRC2:TGID_Y_EN: 0
; COMPUTE_PGM_RSRC2:TGID_Z_EN: 0
; COMPUTE_PGM_RSRC2:TIDIG_COMP_CNT: 0
; COMPUTE_PGM_RSRC3_GFX90A:ACCUM_OFFSET: 0
; COMPUTE_PGM_RSRC3_GFX90A:TG_SPLIT: 0
	.section	.text._ZN7rocprim17ROCPRIM_400000_NS6detail17trampoline_kernelINS0_14default_configENS1_29binary_search_config_selectorIjbEEZNS1_14transform_implILb0ES3_S5_N6thrust23THRUST_200600_302600_NS6detail15normal_iteratorINS8_10device_ptrIjEEEENSA_INSB_IbEEEEZNS1_13binary_searchIS3_S5_SD_SD_SF_NS1_16binary_search_opENS9_16wrapped_functionINS0_4lessIvEEbEEEE10hipError_tPvRmT1_T2_T3_mmT4_T5_P12ihipStream_tbEUlRKjE_EESM_SQ_SR_mSS_SV_bEUlT_E_NS1_11comp_targetILNS1_3genE10ELNS1_11target_archE1201ELNS1_3gpuE5ELNS1_3repE0EEENS1_30default_config_static_selectorELNS0_4arch9wavefront6targetE1EEEvSP_,"axG",@progbits,_ZN7rocprim17ROCPRIM_400000_NS6detail17trampoline_kernelINS0_14default_configENS1_29binary_search_config_selectorIjbEEZNS1_14transform_implILb0ES3_S5_N6thrust23THRUST_200600_302600_NS6detail15normal_iteratorINS8_10device_ptrIjEEEENSA_INSB_IbEEEEZNS1_13binary_searchIS3_S5_SD_SD_SF_NS1_16binary_search_opENS9_16wrapped_functionINS0_4lessIvEEbEEEE10hipError_tPvRmT1_T2_T3_mmT4_T5_P12ihipStream_tbEUlRKjE_EESM_SQ_SR_mSS_SV_bEUlT_E_NS1_11comp_targetILNS1_3genE10ELNS1_11target_archE1201ELNS1_3gpuE5ELNS1_3repE0EEENS1_30default_config_static_selectorELNS0_4arch9wavefront6targetE1EEEvSP_,comdat
	.protected	_ZN7rocprim17ROCPRIM_400000_NS6detail17trampoline_kernelINS0_14default_configENS1_29binary_search_config_selectorIjbEEZNS1_14transform_implILb0ES3_S5_N6thrust23THRUST_200600_302600_NS6detail15normal_iteratorINS8_10device_ptrIjEEEENSA_INSB_IbEEEEZNS1_13binary_searchIS3_S5_SD_SD_SF_NS1_16binary_search_opENS9_16wrapped_functionINS0_4lessIvEEbEEEE10hipError_tPvRmT1_T2_T3_mmT4_T5_P12ihipStream_tbEUlRKjE_EESM_SQ_SR_mSS_SV_bEUlT_E_NS1_11comp_targetILNS1_3genE10ELNS1_11target_archE1201ELNS1_3gpuE5ELNS1_3repE0EEENS1_30default_config_static_selectorELNS0_4arch9wavefront6targetE1EEEvSP_ ; -- Begin function _ZN7rocprim17ROCPRIM_400000_NS6detail17trampoline_kernelINS0_14default_configENS1_29binary_search_config_selectorIjbEEZNS1_14transform_implILb0ES3_S5_N6thrust23THRUST_200600_302600_NS6detail15normal_iteratorINS8_10device_ptrIjEEEENSA_INSB_IbEEEEZNS1_13binary_searchIS3_S5_SD_SD_SF_NS1_16binary_search_opENS9_16wrapped_functionINS0_4lessIvEEbEEEE10hipError_tPvRmT1_T2_T3_mmT4_T5_P12ihipStream_tbEUlRKjE_EESM_SQ_SR_mSS_SV_bEUlT_E_NS1_11comp_targetILNS1_3genE10ELNS1_11target_archE1201ELNS1_3gpuE5ELNS1_3repE0EEENS1_30default_config_static_selectorELNS0_4arch9wavefront6targetE1EEEvSP_
	.globl	_ZN7rocprim17ROCPRIM_400000_NS6detail17trampoline_kernelINS0_14default_configENS1_29binary_search_config_selectorIjbEEZNS1_14transform_implILb0ES3_S5_N6thrust23THRUST_200600_302600_NS6detail15normal_iteratorINS8_10device_ptrIjEEEENSA_INSB_IbEEEEZNS1_13binary_searchIS3_S5_SD_SD_SF_NS1_16binary_search_opENS9_16wrapped_functionINS0_4lessIvEEbEEEE10hipError_tPvRmT1_T2_T3_mmT4_T5_P12ihipStream_tbEUlRKjE_EESM_SQ_SR_mSS_SV_bEUlT_E_NS1_11comp_targetILNS1_3genE10ELNS1_11target_archE1201ELNS1_3gpuE5ELNS1_3repE0EEENS1_30default_config_static_selectorELNS0_4arch9wavefront6targetE1EEEvSP_
	.p2align	8
	.type	_ZN7rocprim17ROCPRIM_400000_NS6detail17trampoline_kernelINS0_14default_configENS1_29binary_search_config_selectorIjbEEZNS1_14transform_implILb0ES3_S5_N6thrust23THRUST_200600_302600_NS6detail15normal_iteratorINS8_10device_ptrIjEEEENSA_INSB_IbEEEEZNS1_13binary_searchIS3_S5_SD_SD_SF_NS1_16binary_search_opENS9_16wrapped_functionINS0_4lessIvEEbEEEE10hipError_tPvRmT1_T2_T3_mmT4_T5_P12ihipStream_tbEUlRKjE_EESM_SQ_SR_mSS_SV_bEUlT_E_NS1_11comp_targetILNS1_3genE10ELNS1_11target_archE1201ELNS1_3gpuE5ELNS1_3repE0EEENS1_30default_config_static_selectorELNS0_4arch9wavefront6targetE1EEEvSP_,@function
_ZN7rocprim17ROCPRIM_400000_NS6detail17trampoline_kernelINS0_14default_configENS1_29binary_search_config_selectorIjbEEZNS1_14transform_implILb0ES3_S5_N6thrust23THRUST_200600_302600_NS6detail15normal_iteratorINS8_10device_ptrIjEEEENSA_INSB_IbEEEEZNS1_13binary_searchIS3_S5_SD_SD_SF_NS1_16binary_search_opENS9_16wrapped_functionINS0_4lessIvEEbEEEE10hipError_tPvRmT1_T2_T3_mmT4_T5_P12ihipStream_tbEUlRKjE_EESM_SQ_SR_mSS_SV_bEUlT_E_NS1_11comp_targetILNS1_3genE10ELNS1_11target_archE1201ELNS1_3gpuE5ELNS1_3repE0EEENS1_30default_config_static_selectorELNS0_4arch9wavefront6targetE1EEEvSP_: ; @_ZN7rocprim17ROCPRIM_400000_NS6detail17trampoline_kernelINS0_14default_configENS1_29binary_search_config_selectorIjbEEZNS1_14transform_implILb0ES3_S5_N6thrust23THRUST_200600_302600_NS6detail15normal_iteratorINS8_10device_ptrIjEEEENSA_INSB_IbEEEEZNS1_13binary_searchIS3_S5_SD_SD_SF_NS1_16binary_search_opENS9_16wrapped_functionINS0_4lessIvEEbEEEE10hipError_tPvRmT1_T2_T3_mmT4_T5_P12ihipStream_tbEUlRKjE_EESM_SQ_SR_mSS_SV_bEUlT_E_NS1_11comp_targetILNS1_3genE10ELNS1_11target_archE1201ELNS1_3gpuE5ELNS1_3repE0EEENS1_30default_config_static_selectorELNS0_4arch9wavefront6targetE1EEEvSP_
; %bb.0:
	.section	.rodata,"a",@progbits
	.p2align	6, 0x0
	.amdhsa_kernel _ZN7rocprim17ROCPRIM_400000_NS6detail17trampoline_kernelINS0_14default_configENS1_29binary_search_config_selectorIjbEEZNS1_14transform_implILb0ES3_S5_N6thrust23THRUST_200600_302600_NS6detail15normal_iteratorINS8_10device_ptrIjEEEENSA_INSB_IbEEEEZNS1_13binary_searchIS3_S5_SD_SD_SF_NS1_16binary_search_opENS9_16wrapped_functionINS0_4lessIvEEbEEEE10hipError_tPvRmT1_T2_T3_mmT4_T5_P12ihipStream_tbEUlRKjE_EESM_SQ_SR_mSS_SV_bEUlT_E_NS1_11comp_targetILNS1_3genE10ELNS1_11target_archE1201ELNS1_3gpuE5ELNS1_3repE0EEENS1_30default_config_static_selectorELNS0_4arch9wavefront6targetE1EEEvSP_
		.amdhsa_group_segment_fixed_size 0
		.amdhsa_private_segment_fixed_size 0
		.amdhsa_kernarg_size 56
		.amdhsa_user_sgpr_count 6
		.amdhsa_user_sgpr_private_segment_buffer 1
		.amdhsa_user_sgpr_dispatch_ptr 0
		.amdhsa_user_sgpr_queue_ptr 0
		.amdhsa_user_sgpr_kernarg_segment_ptr 1
		.amdhsa_user_sgpr_dispatch_id 0
		.amdhsa_user_sgpr_flat_scratch_init 0
		.amdhsa_user_sgpr_kernarg_preload_length 0
		.amdhsa_user_sgpr_kernarg_preload_offset 0
		.amdhsa_user_sgpr_private_segment_size 0
		.amdhsa_uses_dynamic_stack 0
		.amdhsa_system_sgpr_private_segment_wavefront_offset 0
		.amdhsa_system_sgpr_workgroup_id_x 1
		.amdhsa_system_sgpr_workgroup_id_y 0
		.amdhsa_system_sgpr_workgroup_id_z 0
		.amdhsa_system_sgpr_workgroup_info 0
		.amdhsa_system_vgpr_workitem_id 0
		.amdhsa_next_free_vgpr 1
		.amdhsa_next_free_sgpr 0
		.amdhsa_accum_offset 4
		.amdhsa_reserve_vcc 0
		.amdhsa_reserve_flat_scratch 0
		.amdhsa_float_round_mode_32 0
		.amdhsa_float_round_mode_16_64 0
		.amdhsa_float_denorm_mode_32 3
		.amdhsa_float_denorm_mode_16_64 3
		.amdhsa_dx10_clamp 1
		.amdhsa_ieee_mode 1
		.amdhsa_fp16_overflow 0
		.amdhsa_tg_split 0
		.amdhsa_exception_fp_ieee_invalid_op 0
		.amdhsa_exception_fp_denorm_src 0
		.amdhsa_exception_fp_ieee_div_zero 0
		.amdhsa_exception_fp_ieee_overflow 0
		.amdhsa_exception_fp_ieee_underflow 0
		.amdhsa_exception_fp_ieee_inexact 0
		.amdhsa_exception_int_div_zero 0
	.end_amdhsa_kernel
	.section	.text._ZN7rocprim17ROCPRIM_400000_NS6detail17trampoline_kernelINS0_14default_configENS1_29binary_search_config_selectorIjbEEZNS1_14transform_implILb0ES3_S5_N6thrust23THRUST_200600_302600_NS6detail15normal_iteratorINS8_10device_ptrIjEEEENSA_INSB_IbEEEEZNS1_13binary_searchIS3_S5_SD_SD_SF_NS1_16binary_search_opENS9_16wrapped_functionINS0_4lessIvEEbEEEE10hipError_tPvRmT1_T2_T3_mmT4_T5_P12ihipStream_tbEUlRKjE_EESM_SQ_SR_mSS_SV_bEUlT_E_NS1_11comp_targetILNS1_3genE10ELNS1_11target_archE1201ELNS1_3gpuE5ELNS1_3repE0EEENS1_30default_config_static_selectorELNS0_4arch9wavefront6targetE1EEEvSP_,"axG",@progbits,_ZN7rocprim17ROCPRIM_400000_NS6detail17trampoline_kernelINS0_14default_configENS1_29binary_search_config_selectorIjbEEZNS1_14transform_implILb0ES3_S5_N6thrust23THRUST_200600_302600_NS6detail15normal_iteratorINS8_10device_ptrIjEEEENSA_INSB_IbEEEEZNS1_13binary_searchIS3_S5_SD_SD_SF_NS1_16binary_search_opENS9_16wrapped_functionINS0_4lessIvEEbEEEE10hipError_tPvRmT1_T2_T3_mmT4_T5_P12ihipStream_tbEUlRKjE_EESM_SQ_SR_mSS_SV_bEUlT_E_NS1_11comp_targetILNS1_3genE10ELNS1_11target_archE1201ELNS1_3gpuE5ELNS1_3repE0EEENS1_30default_config_static_selectorELNS0_4arch9wavefront6targetE1EEEvSP_,comdat
.Lfunc_end461:
	.size	_ZN7rocprim17ROCPRIM_400000_NS6detail17trampoline_kernelINS0_14default_configENS1_29binary_search_config_selectorIjbEEZNS1_14transform_implILb0ES3_S5_N6thrust23THRUST_200600_302600_NS6detail15normal_iteratorINS8_10device_ptrIjEEEENSA_INSB_IbEEEEZNS1_13binary_searchIS3_S5_SD_SD_SF_NS1_16binary_search_opENS9_16wrapped_functionINS0_4lessIvEEbEEEE10hipError_tPvRmT1_T2_T3_mmT4_T5_P12ihipStream_tbEUlRKjE_EESM_SQ_SR_mSS_SV_bEUlT_E_NS1_11comp_targetILNS1_3genE10ELNS1_11target_archE1201ELNS1_3gpuE5ELNS1_3repE0EEENS1_30default_config_static_selectorELNS0_4arch9wavefront6targetE1EEEvSP_, .Lfunc_end461-_ZN7rocprim17ROCPRIM_400000_NS6detail17trampoline_kernelINS0_14default_configENS1_29binary_search_config_selectorIjbEEZNS1_14transform_implILb0ES3_S5_N6thrust23THRUST_200600_302600_NS6detail15normal_iteratorINS8_10device_ptrIjEEEENSA_INSB_IbEEEEZNS1_13binary_searchIS3_S5_SD_SD_SF_NS1_16binary_search_opENS9_16wrapped_functionINS0_4lessIvEEbEEEE10hipError_tPvRmT1_T2_T3_mmT4_T5_P12ihipStream_tbEUlRKjE_EESM_SQ_SR_mSS_SV_bEUlT_E_NS1_11comp_targetILNS1_3genE10ELNS1_11target_archE1201ELNS1_3gpuE5ELNS1_3repE0EEENS1_30default_config_static_selectorELNS0_4arch9wavefront6targetE1EEEvSP_
                                        ; -- End function
	.section	.AMDGPU.csdata,"",@progbits
; Kernel info:
; codeLenInByte = 0
; NumSgprs: 4
; NumVgprs: 0
; NumAgprs: 0
; TotalNumVgprs: 0
; ScratchSize: 0
; MemoryBound: 0
; FloatMode: 240
; IeeeMode: 1
; LDSByteSize: 0 bytes/workgroup (compile time only)
; SGPRBlocks: 0
; VGPRBlocks: 0
; NumSGPRsForWavesPerEU: 4
; NumVGPRsForWavesPerEU: 1
; AccumOffset: 4
; Occupancy: 8
; WaveLimiterHint : 0
; COMPUTE_PGM_RSRC2:SCRATCH_EN: 0
; COMPUTE_PGM_RSRC2:USER_SGPR: 6
; COMPUTE_PGM_RSRC2:TRAP_HANDLER: 0
; COMPUTE_PGM_RSRC2:TGID_X_EN: 1
; COMPUTE_PGM_RSRC2:TGID_Y_EN: 0
; COMPUTE_PGM_RSRC2:TGID_Z_EN: 0
; COMPUTE_PGM_RSRC2:TIDIG_COMP_CNT: 0
; COMPUTE_PGM_RSRC3_GFX90A:ACCUM_OFFSET: 0
; COMPUTE_PGM_RSRC3_GFX90A:TG_SPLIT: 0
	.section	.text._ZN7rocprim17ROCPRIM_400000_NS6detail17trampoline_kernelINS0_14default_configENS1_29binary_search_config_selectorIjbEEZNS1_14transform_implILb0ES3_S5_N6thrust23THRUST_200600_302600_NS6detail15normal_iteratorINS8_10device_ptrIjEEEENSA_INSB_IbEEEEZNS1_13binary_searchIS3_S5_SD_SD_SF_NS1_16binary_search_opENS9_16wrapped_functionINS0_4lessIvEEbEEEE10hipError_tPvRmT1_T2_T3_mmT4_T5_P12ihipStream_tbEUlRKjE_EESM_SQ_SR_mSS_SV_bEUlT_E_NS1_11comp_targetILNS1_3genE10ELNS1_11target_archE1200ELNS1_3gpuE4ELNS1_3repE0EEENS1_30default_config_static_selectorELNS0_4arch9wavefront6targetE1EEEvSP_,"axG",@progbits,_ZN7rocprim17ROCPRIM_400000_NS6detail17trampoline_kernelINS0_14default_configENS1_29binary_search_config_selectorIjbEEZNS1_14transform_implILb0ES3_S5_N6thrust23THRUST_200600_302600_NS6detail15normal_iteratorINS8_10device_ptrIjEEEENSA_INSB_IbEEEEZNS1_13binary_searchIS3_S5_SD_SD_SF_NS1_16binary_search_opENS9_16wrapped_functionINS0_4lessIvEEbEEEE10hipError_tPvRmT1_T2_T3_mmT4_T5_P12ihipStream_tbEUlRKjE_EESM_SQ_SR_mSS_SV_bEUlT_E_NS1_11comp_targetILNS1_3genE10ELNS1_11target_archE1200ELNS1_3gpuE4ELNS1_3repE0EEENS1_30default_config_static_selectorELNS0_4arch9wavefront6targetE1EEEvSP_,comdat
	.protected	_ZN7rocprim17ROCPRIM_400000_NS6detail17trampoline_kernelINS0_14default_configENS1_29binary_search_config_selectorIjbEEZNS1_14transform_implILb0ES3_S5_N6thrust23THRUST_200600_302600_NS6detail15normal_iteratorINS8_10device_ptrIjEEEENSA_INSB_IbEEEEZNS1_13binary_searchIS3_S5_SD_SD_SF_NS1_16binary_search_opENS9_16wrapped_functionINS0_4lessIvEEbEEEE10hipError_tPvRmT1_T2_T3_mmT4_T5_P12ihipStream_tbEUlRKjE_EESM_SQ_SR_mSS_SV_bEUlT_E_NS1_11comp_targetILNS1_3genE10ELNS1_11target_archE1200ELNS1_3gpuE4ELNS1_3repE0EEENS1_30default_config_static_selectorELNS0_4arch9wavefront6targetE1EEEvSP_ ; -- Begin function _ZN7rocprim17ROCPRIM_400000_NS6detail17trampoline_kernelINS0_14default_configENS1_29binary_search_config_selectorIjbEEZNS1_14transform_implILb0ES3_S5_N6thrust23THRUST_200600_302600_NS6detail15normal_iteratorINS8_10device_ptrIjEEEENSA_INSB_IbEEEEZNS1_13binary_searchIS3_S5_SD_SD_SF_NS1_16binary_search_opENS9_16wrapped_functionINS0_4lessIvEEbEEEE10hipError_tPvRmT1_T2_T3_mmT4_T5_P12ihipStream_tbEUlRKjE_EESM_SQ_SR_mSS_SV_bEUlT_E_NS1_11comp_targetILNS1_3genE10ELNS1_11target_archE1200ELNS1_3gpuE4ELNS1_3repE0EEENS1_30default_config_static_selectorELNS0_4arch9wavefront6targetE1EEEvSP_
	.globl	_ZN7rocprim17ROCPRIM_400000_NS6detail17trampoline_kernelINS0_14default_configENS1_29binary_search_config_selectorIjbEEZNS1_14transform_implILb0ES3_S5_N6thrust23THRUST_200600_302600_NS6detail15normal_iteratorINS8_10device_ptrIjEEEENSA_INSB_IbEEEEZNS1_13binary_searchIS3_S5_SD_SD_SF_NS1_16binary_search_opENS9_16wrapped_functionINS0_4lessIvEEbEEEE10hipError_tPvRmT1_T2_T3_mmT4_T5_P12ihipStream_tbEUlRKjE_EESM_SQ_SR_mSS_SV_bEUlT_E_NS1_11comp_targetILNS1_3genE10ELNS1_11target_archE1200ELNS1_3gpuE4ELNS1_3repE0EEENS1_30default_config_static_selectorELNS0_4arch9wavefront6targetE1EEEvSP_
	.p2align	8
	.type	_ZN7rocprim17ROCPRIM_400000_NS6detail17trampoline_kernelINS0_14default_configENS1_29binary_search_config_selectorIjbEEZNS1_14transform_implILb0ES3_S5_N6thrust23THRUST_200600_302600_NS6detail15normal_iteratorINS8_10device_ptrIjEEEENSA_INSB_IbEEEEZNS1_13binary_searchIS3_S5_SD_SD_SF_NS1_16binary_search_opENS9_16wrapped_functionINS0_4lessIvEEbEEEE10hipError_tPvRmT1_T2_T3_mmT4_T5_P12ihipStream_tbEUlRKjE_EESM_SQ_SR_mSS_SV_bEUlT_E_NS1_11comp_targetILNS1_3genE10ELNS1_11target_archE1200ELNS1_3gpuE4ELNS1_3repE0EEENS1_30default_config_static_selectorELNS0_4arch9wavefront6targetE1EEEvSP_,@function
_ZN7rocprim17ROCPRIM_400000_NS6detail17trampoline_kernelINS0_14default_configENS1_29binary_search_config_selectorIjbEEZNS1_14transform_implILb0ES3_S5_N6thrust23THRUST_200600_302600_NS6detail15normal_iteratorINS8_10device_ptrIjEEEENSA_INSB_IbEEEEZNS1_13binary_searchIS3_S5_SD_SD_SF_NS1_16binary_search_opENS9_16wrapped_functionINS0_4lessIvEEbEEEE10hipError_tPvRmT1_T2_T3_mmT4_T5_P12ihipStream_tbEUlRKjE_EESM_SQ_SR_mSS_SV_bEUlT_E_NS1_11comp_targetILNS1_3genE10ELNS1_11target_archE1200ELNS1_3gpuE4ELNS1_3repE0EEENS1_30default_config_static_selectorELNS0_4arch9wavefront6targetE1EEEvSP_: ; @_ZN7rocprim17ROCPRIM_400000_NS6detail17trampoline_kernelINS0_14default_configENS1_29binary_search_config_selectorIjbEEZNS1_14transform_implILb0ES3_S5_N6thrust23THRUST_200600_302600_NS6detail15normal_iteratorINS8_10device_ptrIjEEEENSA_INSB_IbEEEEZNS1_13binary_searchIS3_S5_SD_SD_SF_NS1_16binary_search_opENS9_16wrapped_functionINS0_4lessIvEEbEEEE10hipError_tPvRmT1_T2_T3_mmT4_T5_P12ihipStream_tbEUlRKjE_EESM_SQ_SR_mSS_SV_bEUlT_E_NS1_11comp_targetILNS1_3genE10ELNS1_11target_archE1200ELNS1_3gpuE4ELNS1_3repE0EEENS1_30default_config_static_selectorELNS0_4arch9wavefront6targetE1EEEvSP_
; %bb.0:
	.section	.rodata,"a",@progbits
	.p2align	6, 0x0
	.amdhsa_kernel _ZN7rocprim17ROCPRIM_400000_NS6detail17trampoline_kernelINS0_14default_configENS1_29binary_search_config_selectorIjbEEZNS1_14transform_implILb0ES3_S5_N6thrust23THRUST_200600_302600_NS6detail15normal_iteratorINS8_10device_ptrIjEEEENSA_INSB_IbEEEEZNS1_13binary_searchIS3_S5_SD_SD_SF_NS1_16binary_search_opENS9_16wrapped_functionINS0_4lessIvEEbEEEE10hipError_tPvRmT1_T2_T3_mmT4_T5_P12ihipStream_tbEUlRKjE_EESM_SQ_SR_mSS_SV_bEUlT_E_NS1_11comp_targetILNS1_3genE10ELNS1_11target_archE1200ELNS1_3gpuE4ELNS1_3repE0EEENS1_30default_config_static_selectorELNS0_4arch9wavefront6targetE1EEEvSP_
		.amdhsa_group_segment_fixed_size 0
		.amdhsa_private_segment_fixed_size 0
		.amdhsa_kernarg_size 56
		.amdhsa_user_sgpr_count 6
		.amdhsa_user_sgpr_private_segment_buffer 1
		.amdhsa_user_sgpr_dispatch_ptr 0
		.amdhsa_user_sgpr_queue_ptr 0
		.amdhsa_user_sgpr_kernarg_segment_ptr 1
		.amdhsa_user_sgpr_dispatch_id 0
		.amdhsa_user_sgpr_flat_scratch_init 0
		.amdhsa_user_sgpr_kernarg_preload_length 0
		.amdhsa_user_sgpr_kernarg_preload_offset 0
		.amdhsa_user_sgpr_private_segment_size 0
		.amdhsa_uses_dynamic_stack 0
		.amdhsa_system_sgpr_private_segment_wavefront_offset 0
		.amdhsa_system_sgpr_workgroup_id_x 1
		.amdhsa_system_sgpr_workgroup_id_y 0
		.amdhsa_system_sgpr_workgroup_id_z 0
		.amdhsa_system_sgpr_workgroup_info 0
		.amdhsa_system_vgpr_workitem_id 0
		.amdhsa_next_free_vgpr 1
		.amdhsa_next_free_sgpr 0
		.amdhsa_accum_offset 4
		.amdhsa_reserve_vcc 0
		.amdhsa_reserve_flat_scratch 0
		.amdhsa_float_round_mode_32 0
		.amdhsa_float_round_mode_16_64 0
		.amdhsa_float_denorm_mode_32 3
		.amdhsa_float_denorm_mode_16_64 3
		.amdhsa_dx10_clamp 1
		.amdhsa_ieee_mode 1
		.amdhsa_fp16_overflow 0
		.amdhsa_tg_split 0
		.amdhsa_exception_fp_ieee_invalid_op 0
		.amdhsa_exception_fp_denorm_src 0
		.amdhsa_exception_fp_ieee_div_zero 0
		.amdhsa_exception_fp_ieee_overflow 0
		.amdhsa_exception_fp_ieee_underflow 0
		.amdhsa_exception_fp_ieee_inexact 0
		.amdhsa_exception_int_div_zero 0
	.end_amdhsa_kernel
	.section	.text._ZN7rocprim17ROCPRIM_400000_NS6detail17trampoline_kernelINS0_14default_configENS1_29binary_search_config_selectorIjbEEZNS1_14transform_implILb0ES3_S5_N6thrust23THRUST_200600_302600_NS6detail15normal_iteratorINS8_10device_ptrIjEEEENSA_INSB_IbEEEEZNS1_13binary_searchIS3_S5_SD_SD_SF_NS1_16binary_search_opENS9_16wrapped_functionINS0_4lessIvEEbEEEE10hipError_tPvRmT1_T2_T3_mmT4_T5_P12ihipStream_tbEUlRKjE_EESM_SQ_SR_mSS_SV_bEUlT_E_NS1_11comp_targetILNS1_3genE10ELNS1_11target_archE1200ELNS1_3gpuE4ELNS1_3repE0EEENS1_30default_config_static_selectorELNS0_4arch9wavefront6targetE1EEEvSP_,"axG",@progbits,_ZN7rocprim17ROCPRIM_400000_NS6detail17trampoline_kernelINS0_14default_configENS1_29binary_search_config_selectorIjbEEZNS1_14transform_implILb0ES3_S5_N6thrust23THRUST_200600_302600_NS6detail15normal_iteratorINS8_10device_ptrIjEEEENSA_INSB_IbEEEEZNS1_13binary_searchIS3_S5_SD_SD_SF_NS1_16binary_search_opENS9_16wrapped_functionINS0_4lessIvEEbEEEE10hipError_tPvRmT1_T2_T3_mmT4_T5_P12ihipStream_tbEUlRKjE_EESM_SQ_SR_mSS_SV_bEUlT_E_NS1_11comp_targetILNS1_3genE10ELNS1_11target_archE1200ELNS1_3gpuE4ELNS1_3repE0EEENS1_30default_config_static_selectorELNS0_4arch9wavefront6targetE1EEEvSP_,comdat
.Lfunc_end462:
	.size	_ZN7rocprim17ROCPRIM_400000_NS6detail17trampoline_kernelINS0_14default_configENS1_29binary_search_config_selectorIjbEEZNS1_14transform_implILb0ES3_S5_N6thrust23THRUST_200600_302600_NS6detail15normal_iteratorINS8_10device_ptrIjEEEENSA_INSB_IbEEEEZNS1_13binary_searchIS3_S5_SD_SD_SF_NS1_16binary_search_opENS9_16wrapped_functionINS0_4lessIvEEbEEEE10hipError_tPvRmT1_T2_T3_mmT4_T5_P12ihipStream_tbEUlRKjE_EESM_SQ_SR_mSS_SV_bEUlT_E_NS1_11comp_targetILNS1_3genE10ELNS1_11target_archE1200ELNS1_3gpuE4ELNS1_3repE0EEENS1_30default_config_static_selectorELNS0_4arch9wavefront6targetE1EEEvSP_, .Lfunc_end462-_ZN7rocprim17ROCPRIM_400000_NS6detail17trampoline_kernelINS0_14default_configENS1_29binary_search_config_selectorIjbEEZNS1_14transform_implILb0ES3_S5_N6thrust23THRUST_200600_302600_NS6detail15normal_iteratorINS8_10device_ptrIjEEEENSA_INSB_IbEEEEZNS1_13binary_searchIS3_S5_SD_SD_SF_NS1_16binary_search_opENS9_16wrapped_functionINS0_4lessIvEEbEEEE10hipError_tPvRmT1_T2_T3_mmT4_T5_P12ihipStream_tbEUlRKjE_EESM_SQ_SR_mSS_SV_bEUlT_E_NS1_11comp_targetILNS1_3genE10ELNS1_11target_archE1200ELNS1_3gpuE4ELNS1_3repE0EEENS1_30default_config_static_selectorELNS0_4arch9wavefront6targetE1EEEvSP_
                                        ; -- End function
	.section	.AMDGPU.csdata,"",@progbits
; Kernel info:
; codeLenInByte = 0
; NumSgprs: 4
; NumVgprs: 0
; NumAgprs: 0
; TotalNumVgprs: 0
; ScratchSize: 0
; MemoryBound: 0
; FloatMode: 240
; IeeeMode: 1
; LDSByteSize: 0 bytes/workgroup (compile time only)
; SGPRBlocks: 0
; VGPRBlocks: 0
; NumSGPRsForWavesPerEU: 4
; NumVGPRsForWavesPerEU: 1
; AccumOffset: 4
; Occupancy: 8
; WaveLimiterHint : 0
; COMPUTE_PGM_RSRC2:SCRATCH_EN: 0
; COMPUTE_PGM_RSRC2:USER_SGPR: 6
; COMPUTE_PGM_RSRC2:TRAP_HANDLER: 0
; COMPUTE_PGM_RSRC2:TGID_X_EN: 1
; COMPUTE_PGM_RSRC2:TGID_Y_EN: 0
; COMPUTE_PGM_RSRC2:TGID_Z_EN: 0
; COMPUTE_PGM_RSRC2:TIDIG_COMP_CNT: 0
; COMPUTE_PGM_RSRC3_GFX90A:ACCUM_OFFSET: 0
; COMPUTE_PGM_RSRC3_GFX90A:TG_SPLIT: 0
	.section	.text._ZN7rocprim17ROCPRIM_400000_NS6detail17trampoline_kernelINS0_14default_configENS1_29binary_search_config_selectorIjbEEZNS1_14transform_implILb0ES3_S5_N6thrust23THRUST_200600_302600_NS6detail15normal_iteratorINS8_10device_ptrIjEEEENSA_INSB_IbEEEEZNS1_13binary_searchIS3_S5_SD_SD_SF_NS1_16binary_search_opENS9_16wrapped_functionINS0_4lessIvEEbEEEE10hipError_tPvRmT1_T2_T3_mmT4_T5_P12ihipStream_tbEUlRKjE_EESM_SQ_SR_mSS_SV_bEUlT_E_NS1_11comp_targetILNS1_3genE9ELNS1_11target_archE1100ELNS1_3gpuE3ELNS1_3repE0EEENS1_30default_config_static_selectorELNS0_4arch9wavefront6targetE1EEEvSP_,"axG",@progbits,_ZN7rocprim17ROCPRIM_400000_NS6detail17trampoline_kernelINS0_14default_configENS1_29binary_search_config_selectorIjbEEZNS1_14transform_implILb0ES3_S5_N6thrust23THRUST_200600_302600_NS6detail15normal_iteratorINS8_10device_ptrIjEEEENSA_INSB_IbEEEEZNS1_13binary_searchIS3_S5_SD_SD_SF_NS1_16binary_search_opENS9_16wrapped_functionINS0_4lessIvEEbEEEE10hipError_tPvRmT1_T2_T3_mmT4_T5_P12ihipStream_tbEUlRKjE_EESM_SQ_SR_mSS_SV_bEUlT_E_NS1_11comp_targetILNS1_3genE9ELNS1_11target_archE1100ELNS1_3gpuE3ELNS1_3repE0EEENS1_30default_config_static_selectorELNS0_4arch9wavefront6targetE1EEEvSP_,comdat
	.protected	_ZN7rocprim17ROCPRIM_400000_NS6detail17trampoline_kernelINS0_14default_configENS1_29binary_search_config_selectorIjbEEZNS1_14transform_implILb0ES3_S5_N6thrust23THRUST_200600_302600_NS6detail15normal_iteratorINS8_10device_ptrIjEEEENSA_INSB_IbEEEEZNS1_13binary_searchIS3_S5_SD_SD_SF_NS1_16binary_search_opENS9_16wrapped_functionINS0_4lessIvEEbEEEE10hipError_tPvRmT1_T2_T3_mmT4_T5_P12ihipStream_tbEUlRKjE_EESM_SQ_SR_mSS_SV_bEUlT_E_NS1_11comp_targetILNS1_3genE9ELNS1_11target_archE1100ELNS1_3gpuE3ELNS1_3repE0EEENS1_30default_config_static_selectorELNS0_4arch9wavefront6targetE1EEEvSP_ ; -- Begin function _ZN7rocprim17ROCPRIM_400000_NS6detail17trampoline_kernelINS0_14default_configENS1_29binary_search_config_selectorIjbEEZNS1_14transform_implILb0ES3_S5_N6thrust23THRUST_200600_302600_NS6detail15normal_iteratorINS8_10device_ptrIjEEEENSA_INSB_IbEEEEZNS1_13binary_searchIS3_S5_SD_SD_SF_NS1_16binary_search_opENS9_16wrapped_functionINS0_4lessIvEEbEEEE10hipError_tPvRmT1_T2_T3_mmT4_T5_P12ihipStream_tbEUlRKjE_EESM_SQ_SR_mSS_SV_bEUlT_E_NS1_11comp_targetILNS1_3genE9ELNS1_11target_archE1100ELNS1_3gpuE3ELNS1_3repE0EEENS1_30default_config_static_selectorELNS0_4arch9wavefront6targetE1EEEvSP_
	.globl	_ZN7rocprim17ROCPRIM_400000_NS6detail17trampoline_kernelINS0_14default_configENS1_29binary_search_config_selectorIjbEEZNS1_14transform_implILb0ES3_S5_N6thrust23THRUST_200600_302600_NS6detail15normal_iteratorINS8_10device_ptrIjEEEENSA_INSB_IbEEEEZNS1_13binary_searchIS3_S5_SD_SD_SF_NS1_16binary_search_opENS9_16wrapped_functionINS0_4lessIvEEbEEEE10hipError_tPvRmT1_T2_T3_mmT4_T5_P12ihipStream_tbEUlRKjE_EESM_SQ_SR_mSS_SV_bEUlT_E_NS1_11comp_targetILNS1_3genE9ELNS1_11target_archE1100ELNS1_3gpuE3ELNS1_3repE0EEENS1_30default_config_static_selectorELNS0_4arch9wavefront6targetE1EEEvSP_
	.p2align	8
	.type	_ZN7rocprim17ROCPRIM_400000_NS6detail17trampoline_kernelINS0_14default_configENS1_29binary_search_config_selectorIjbEEZNS1_14transform_implILb0ES3_S5_N6thrust23THRUST_200600_302600_NS6detail15normal_iteratorINS8_10device_ptrIjEEEENSA_INSB_IbEEEEZNS1_13binary_searchIS3_S5_SD_SD_SF_NS1_16binary_search_opENS9_16wrapped_functionINS0_4lessIvEEbEEEE10hipError_tPvRmT1_T2_T3_mmT4_T5_P12ihipStream_tbEUlRKjE_EESM_SQ_SR_mSS_SV_bEUlT_E_NS1_11comp_targetILNS1_3genE9ELNS1_11target_archE1100ELNS1_3gpuE3ELNS1_3repE0EEENS1_30default_config_static_selectorELNS0_4arch9wavefront6targetE1EEEvSP_,@function
_ZN7rocprim17ROCPRIM_400000_NS6detail17trampoline_kernelINS0_14default_configENS1_29binary_search_config_selectorIjbEEZNS1_14transform_implILb0ES3_S5_N6thrust23THRUST_200600_302600_NS6detail15normal_iteratorINS8_10device_ptrIjEEEENSA_INSB_IbEEEEZNS1_13binary_searchIS3_S5_SD_SD_SF_NS1_16binary_search_opENS9_16wrapped_functionINS0_4lessIvEEbEEEE10hipError_tPvRmT1_T2_T3_mmT4_T5_P12ihipStream_tbEUlRKjE_EESM_SQ_SR_mSS_SV_bEUlT_E_NS1_11comp_targetILNS1_3genE9ELNS1_11target_archE1100ELNS1_3gpuE3ELNS1_3repE0EEENS1_30default_config_static_selectorELNS0_4arch9wavefront6targetE1EEEvSP_: ; @_ZN7rocprim17ROCPRIM_400000_NS6detail17trampoline_kernelINS0_14default_configENS1_29binary_search_config_selectorIjbEEZNS1_14transform_implILb0ES3_S5_N6thrust23THRUST_200600_302600_NS6detail15normal_iteratorINS8_10device_ptrIjEEEENSA_INSB_IbEEEEZNS1_13binary_searchIS3_S5_SD_SD_SF_NS1_16binary_search_opENS9_16wrapped_functionINS0_4lessIvEEbEEEE10hipError_tPvRmT1_T2_T3_mmT4_T5_P12ihipStream_tbEUlRKjE_EESM_SQ_SR_mSS_SV_bEUlT_E_NS1_11comp_targetILNS1_3genE9ELNS1_11target_archE1100ELNS1_3gpuE3ELNS1_3repE0EEENS1_30default_config_static_selectorELNS0_4arch9wavefront6targetE1EEEvSP_
; %bb.0:
	.section	.rodata,"a",@progbits
	.p2align	6, 0x0
	.amdhsa_kernel _ZN7rocprim17ROCPRIM_400000_NS6detail17trampoline_kernelINS0_14default_configENS1_29binary_search_config_selectorIjbEEZNS1_14transform_implILb0ES3_S5_N6thrust23THRUST_200600_302600_NS6detail15normal_iteratorINS8_10device_ptrIjEEEENSA_INSB_IbEEEEZNS1_13binary_searchIS3_S5_SD_SD_SF_NS1_16binary_search_opENS9_16wrapped_functionINS0_4lessIvEEbEEEE10hipError_tPvRmT1_T2_T3_mmT4_T5_P12ihipStream_tbEUlRKjE_EESM_SQ_SR_mSS_SV_bEUlT_E_NS1_11comp_targetILNS1_3genE9ELNS1_11target_archE1100ELNS1_3gpuE3ELNS1_3repE0EEENS1_30default_config_static_selectorELNS0_4arch9wavefront6targetE1EEEvSP_
		.amdhsa_group_segment_fixed_size 0
		.amdhsa_private_segment_fixed_size 0
		.amdhsa_kernarg_size 56
		.amdhsa_user_sgpr_count 6
		.amdhsa_user_sgpr_private_segment_buffer 1
		.amdhsa_user_sgpr_dispatch_ptr 0
		.amdhsa_user_sgpr_queue_ptr 0
		.amdhsa_user_sgpr_kernarg_segment_ptr 1
		.amdhsa_user_sgpr_dispatch_id 0
		.amdhsa_user_sgpr_flat_scratch_init 0
		.amdhsa_user_sgpr_kernarg_preload_length 0
		.amdhsa_user_sgpr_kernarg_preload_offset 0
		.amdhsa_user_sgpr_private_segment_size 0
		.amdhsa_uses_dynamic_stack 0
		.amdhsa_system_sgpr_private_segment_wavefront_offset 0
		.amdhsa_system_sgpr_workgroup_id_x 1
		.amdhsa_system_sgpr_workgroup_id_y 0
		.amdhsa_system_sgpr_workgroup_id_z 0
		.amdhsa_system_sgpr_workgroup_info 0
		.amdhsa_system_vgpr_workitem_id 0
		.amdhsa_next_free_vgpr 1
		.amdhsa_next_free_sgpr 0
		.amdhsa_accum_offset 4
		.amdhsa_reserve_vcc 0
		.amdhsa_reserve_flat_scratch 0
		.amdhsa_float_round_mode_32 0
		.amdhsa_float_round_mode_16_64 0
		.amdhsa_float_denorm_mode_32 3
		.amdhsa_float_denorm_mode_16_64 3
		.amdhsa_dx10_clamp 1
		.amdhsa_ieee_mode 1
		.amdhsa_fp16_overflow 0
		.amdhsa_tg_split 0
		.amdhsa_exception_fp_ieee_invalid_op 0
		.amdhsa_exception_fp_denorm_src 0
		.amdhsa_exception_fp_ieee_div_zero 0
		.amdhsa_exception_fp_ieee_overflow 0
		.amdhsa_exception_fp_ieee_underflow 0
		.amdhsa_exception_fp_ieee_inexact 0
		.amdhsa_exception_int_div_zero 0
	.end_amdhsa_kernel
	.section	.text._ZN7rocprim17ROCPRIM_400000_NS6detail17trampoline_kernelINS0_14default_configENS1_29binary_search_config_selectorIjbEEZNS1_14transform_implILb0ES3_S5_N6thrust23THRUST_200600_302600_NS6detail15normal_iteratorINS8_10device_ptrIjEEEENSA_INSB_IbEEEEZNS1_13binary_searchIS3_S5_SD_SD_SF_NS1_16binary_search_opENS9_16wrapped_functionINS0_4lessIvEEbEEEE10hipError_tPvRmT1_T2_T3_mmT4_T5_P12ihipStream_tbEUlRKjE_EESM_SQ_SR_mSS_SV_bEUlT_E_NS1_11comp_targetILNS1_3genE9ELNS1_11target_archE1100ELNS1_3gpuE3ELNS1_3repE0EEENS1_30default_config_static_selectorELNS0_4arch9wavefront6targetE1EEEvSP_,"axG",@progbits,_ZN7rocprim17ROCPRIM_400000_NS6detail17trampoline_kernelINS0_14default_configENS1_29binary_search_config_selectorIjbEEZNS1_14transform_implILb0ES3_S5_N6thrust23THRUST_200600_302600_NS6detail15normal_iteratorINS8_10device_ptrIjEEEENSA_INSB_IbEEEEZNS1_13binary_searchIS3_S5_SD_SD_SF_NS1_16binary_search_opENS9_16wrapped_functionINS0_4lessIvEEbEEEE10hipError_tPvRmT1_T2_T3_mmT4_T5_P12ihipStream_tbEUlRKjE_EESM_SQ_SR_mSS_SV_bEUlT_E_NS1_11comp_targetILNS1_3genE9ELNS1_11target_archE1100ELNS1_3gpuE3ELNS1_3repE0EEENS1_30default_config_static_selectorELNS0_4arch9wavefront6targetE1EEEvSP_,comdat
.Lfunc_end463:
	.size	_ZN7rocprim17ROCPRIM_400000_NS6detail17trampoline_kernelINS0_14default_configENS1_29binary_search_config_selectorIjbEEZNS1_14transform_implILb0ES3_S5_N6thrust23THRUST_200600_302600_NS6detail15normal_iteratorINS8_10device_ptrIjEEEENSA_INSB_IbEEEEZNS1_13binary_searchIS3_S5_SD_SD_SF_NS1_16binary_search_opENS9_16wrapped_functionINS0_4lessIvEEbEEEE10hipError_tPvRmT1_T2_T3_mmT4_T5_P12ihipStream_tbEUlRKjE_EESM_SQ_SR_mSS_SV_bEUlT_E_NS1_11comp_targetILNS1_3genE9ELNS1_11target_archE1100ELNS1_3gpuE3ELNS1_3repE0EEENS1_30default_config_static_selectorELNS0_4arch9wavefront6targetE1EEEvSP_, .Lfunc_end463-_ZN7rocprim17ROCPRIM_400000_NS6detail17trampoline_kernelINS0_14default_configENS1_29binary_search_config_selectorIjbEEZNS1_14transform_implILb0ES3_S5_N6thrust23THRUST_200600_302600_NS6detail15normal_iteratorINS8_10device_ptrIjEEEENSA_INSB_IbEEEEZNS1_13binary_searchIS3_S5_SD_SD_SF_NS1_16binary_search_opENS9_16wrapped_functionINS0_4lessIvEEbEEEE10hipError_tPvRmT1_T2_T3_mmT4_T5_P12ihipStream_tbEUlRKjE_EESM_SQ_SR_mSS_SV_bEUlT_E_NS1_11comp_targetILNS1_3genE9ELNS1_11target_archE1100ELNS1_3gpuE3ELNS1_3repE0EEENS1_30default_config_static_selectorELNS0_4arch9wavefront6targetE1EEEvSP_
                                        ; -- End function
	.section	.AMDGPU.csdata,"",@progbits
; Kernel info:
; codeLenInByte = 0
; NumSgprs: 4
; NumVgprs: 0
; NumAgprs: 0
; TotalNumVgprs: 0
; ScratchSize: 0
; MemoryBound: 0
; FloatMode: 240
; IeeeMode: 1
; LDSByteSize: 0 bytes/workgroup (compile time only)
; SGPRBlocks: 0
; VGPRBlocks: 0
; NumSGPRsForWavesPerEU: 4
; NumVGPRsForWavesPerEU: 1
; AccumOffset: 4
; Occupancy: 8
; WaveLimiterHint : 0
; COMPUTE_PGM_RSRC2:SCRATCH_EN: 0
; COMPUTE_PGM_RSRC2:USER_SGPR: 6
; COMPUTE_PGM_RSRC2:TRAP_HANDLER: 0
; COMPUTE_PGM_RSRC2:TGID_X_EN: 1
; COMPUTE_PGM_RSRC2:TGID_Y_EN: 0
; COMPUTE_PGM_RSRC2:TGID_Z_EN: 0
; COMPUTE_PGM_RSRC2:TIDIG_COMP_CNT: 0
; COMPUTE_PGM_RSRC3_GFX90A:ACCUM_OFFSET: 0
; COMPUTE_PGM_RSRC3_GFX90A:TG_SPLIT: 0
	.section	.text._ZN7rocprim17ROCPRIM_400000_NS6detail17trampoline_kernelINS0_14default_configENS1_29binary_search_config_selectorIjbEEZNS1_14transform_implILb0ES3_S5_N6thrust23THRUST_200600_302600_NS6detail15normal_iteratorINS8_10device_ptrIjEEEENSA_INSB_IbEEEEZNS1_13binary_searchIS3_S5_SD_SD_SF_NS1_16binary_search_opENS9_16wrapped_functionINS0_4lessIvEEbEEEE10hipError_tPvRmT1_T2_T3_mmT4_T5_P12ihipStream_tbEUlRKjE_EESM_SQ_SR_mSS_SV_bEUlT_E_NS1_11comp_targetILNS1_3genE8ELNS1_11target_archE1030ELNS1_3gpuE2ELNS1_3repE0EEENS1_30default_config_static_selectorELNS0_4arch9wavefront6targetE1EEEvSP_,"axG",@progbits,_ZN7rocprim17ROCPRIM_400000_NS6detail17trampoline_kernelINS0_14default_configENS1_29binary_search_config_selectorIjbEEZNS1_14transform_implILb0ES3_S5_N6thrust23THRUST_200600_302600_NS6detail15normal_iteratorINS8_10device_ptrIjEEEENSA_INSB_IbEEEEZNS1_13binary_searchIS3_S5_SD_SD_SF_NS1_16binary_search_opENS9_16wrapped_functionINS0_4lessIvEEbEEEE10hipError_tPvRmT1_T2_T3_mmT4_T5_P12ihipStream_tbEUlRKjE_EESM_SQ_SR_mSS_SV_bEUlT_E_NS1_11comp_targetILNS1_3genE8ELNS1_11target_archE1030ELNS1_3gpuE2ELNS1_3repE0EEENS1_30default_config_static_selectorELNS0_4arch9wavefront6targetE1EEEvSP_,comdat
	.protected	_ZN7rocprim17ROCPRIM_400000_NS6detail17trampoline_kernelINS0_14default_configENS1_29binary_search_config_selectorIjbEEZNS1_14transform_implILb0ES3_S5_N6thrust23THRUST_200600_302600_NS6detail15normal_iteratorINS8_10device_ptrIjEEEENSA_INSB_IbEEEEZNS1_13binary_searchIS3_S5_SD_SD_SF_NS1_16binary_search_opENS9_16wrapped_functionINS0_4lessIvEEbEEEE10hipError_tPvRmT1_T2_T3_mmT4_T5_P12ihipStream_tbEUlRKjE_EESM_SQ_SR_mSS_SV_bEUlT_E_NS1_11comp_targetILNS1_3genE8ELNS1_11target_archE1030ELNS1_3gpuE2ELNS1_3repE0EEENS1_30default_config_static_selectorELNS0_4arch9wavefront6targetE1EEEvSP_ ; -- Begin function _ZN7rocprim17ROCPRIM_400000_NS6detail17trampoline_kernelINS0_14default_configENS1_29binary_search_config_selectorIjbEEZNS1_14transform_implILb0ES3_S5_N6thrust23THRUST_200600_302600_NS6detail15normal_iteratorINS8_10device_ptrIjEEEENSA_INSB_IbEEEEZNS1_13binary_searchIS3_S5_SD_SD_SF_NS1_16binary_search_opENS9_16wrapped_functionINS0_4lessIvEEbEEEE10hipError_tPvRmT1_T2_T3_mmT4_T5_P12ihipStream_tbEUlRKjE_EESM_SQ_SR_mSS_SV_bEUlT_E_NS1_11comp_targetILNS1_3genE8ELNS1_11target_archE1030ELNS1_3gpuE2ELNS1_3repE0EEENS1_30default_config_static_selectorELNS0_4arch9wavefront6targetE1EEEvSP_
	.globl	_ZN7rocprim17ROCPRIM_400000_NS6detail17trampoline_kernelINS0_14default_configENS1_29binary_search_config_selectorIjbEEZNS1_14transform_implILb0ES3_S5_N6thrust23THRUST_200600_302600_NS6detail15normal_iteratorINS8_10device_ptrIjEEEENSA_INSB_IbEEEEZNS1_13binary_searchIS3_S5_SD_SD_SF_NS1_16binary_search_opENS9_16wrapped_functionINS0_4lessIvEEbEEEE10hipError_tPvRmT1_T2_T3_mmT4_T5_P12ihipStream_tbEUlRKjE_EESM_SQ_SR_mSS_SV_bEUlT_E_NS1_11comp_targetILNS1_3genE8ELNS1_11target_archE1030ELNS1_3gpuE2ELNS1_3repE0EEENS1_30default_config_static_selectorELNS0_4arch9wavefront6targetE1EEEvSP_
	.p2align	8
	.type	_ZN7rocprim17ROCPRIM_400000_NS6detail17trampoline_kernelINS0_14default_configENS1_29binary_search_config_selectorIjbEEZNS1_14transform_implILb0ES3_S5_N6thrust23THRUST_200600_302600_NS6detail15normal_iteratorINS8_10device_ptrIjEEEENSA_INSB_IbEEEEZNS1_13binary_searchIS3_S5_SD_SD_SF_NS1_16binary_search_opENS9_16wrapped_functionINS0_4lessIvEEbEEEE10hipError_tPvRmT1_T2_T3_mmT4_T5_P12ihipStream_tbEUlRKjE_EESM_SQ_SR_mSS_SV_bEUlT_E_NS1_11comp_targetILNS1_3genE8ELNS1_11target_archE1030ELNS1_3gpuE2ELNS1_3repE0EEENS1_30default_config_static_selectorELNS0_4arch9wavefront6targetE1EEEvSP_,@function
_ZN7rocprim17ROCPRIM_400000_NS6detail17trampoline_kernelINS0_14default_configENS1_29binary_search_config_selectorIjbEEZNS1_14transform_implILb0ES3_S5_N6thrust23THRUST_200600_302600_NS6detail15normal_iteratorINS8_10device_ptrIjEEEENSA_INSB_IbEEEEZNS1_13binary_searchIS3_S5_SD_SD_SF_NS1_16binary_search_opENS9_16wrapped_functionINS0_4lessIvEEbEEEE10hipError_tPvRmT1_T2_T3_mmT4_T5_P12ihipStream_tbEUlRKjE_EESM_SQ_SR_mSS_SV_bEUlT_E_NS1_11comp_targetILNS1_3genE8ELNS1_11target_archE1030ELNS1_3gpuE2ELNS1_3repE0EEENS1_30default_config_static_selectorELNS0_4arch9wavefront6targetE1EEEvSP_: ; @_ZN7rocprim17ROCPRIM_400000_NS6detail17trampoline_kernelINS0_14default_configENS1_29binary_search_config_selectorIjbEEZNS1_14transform_implILb0ES3_S5_N6thrust23THRUST_200600_302600_NS6detail15normal_iteratorINS8_10device_ptrIjEEEENSA_INSB_IbEEEEZNS1_13binary_searchIS3_S5_SD_SD_SF_NS1_16binary_search_opENS9_16wrapped_functionINS0_4lessIvEEbEEEE10hipError_tPvRmT1_T2_T3_mmT4_T5_P12ihipStream_tbEUlRKjE_EESM_SQ_SR_mSS_SV_bEUlT_E_NS1_11comp_targetILNS1_3genE8ELNS1_11target_archE1030ELNS1_3gpuE2ELNS1_3repE0EEENS1_30default_config_static_selectorELNS0_4arch9wavefront6targetE1EEEvSP_
; %bb.0:
	.section	.rodata,"a",@progbits
	.p2align	6, 0x0
	.amdhsa_kernel _ZN7rocprim17ROCPRIM_400000_NS6detail17trampoline_kernelINS0_14default_configENS1_29binary_search_config_selectorIjbEEZNS1_14transform_implILb0ES3_S5_N6thrust23THRUST_200600_302600_NS6detail15normal_iteratorINS8_10device_ptrIjEEEENSA_INSB_IbEEEEZNS1_13binary_searchIS3_S5_SD_SD_SF_NS1_16binary_search_opENS9_16wrapped_functionINS0_4lessIvEEbEEEE10hipError_tPvRmT1_T2_T3_mmT4_T5_P12ihipStream_tbEUlRKjE_EESM_SQ_SR_mSS_SV_bEUlT_E_NS1_11comp_targetILNS1_3genE8ELNS1_11target_archE1030ELNS1_3gpuE2ELNS1_3repE0EEENS1_30default_config_static_selectorELNS0_4arch9wavefront6targetE1EEEvSP_
		.amdhsa_group_segment_fixed_size 0
		.amdhsa_private_segment_fixed_size 0
		.amdhsa_kernarg_size 56
		.amdhsa_user_sgpr_count 6
		.amdhsa_user_sgpr_private_segment_buffer 1
		.amdhsa_user_sgpr_dispatch_ptr 0
		.amdhsa_user_sgpr_queue_ptr 0
		.amdhsa_user_sgpr_kernarg_segment_ptr 1
		.amdhsa_user_sgpr_dispatch_id 0
		.amdhsa_user_sgpr_flat_scratch_init 0
		.amdhsa_user_sgpr_kernarg_preload_length 0
		.amdhsa_user_sgpr_kernarg_preload_offset 0
		.amdhsa_user_sgpr_private_segment_size 0
		.amdhsa_uses_dynamic_stack 0
		.amdhsa_system_sgpr_private_segment_wavefront_offset 0
		.amdhsa_system_sgpr_workgroup_id_x 1
		.amdhsa_system_sgpr_workgroup_id_y 0
		.amdhsa_system_sgpr_workgroup_id_z 0
		.amdhsa_system_sgpr_workgroup_info 0
		.amdhsa_system_vgpr_workitem_id 0
		.amdhsa_next_free_vgpr 1
		.amdhsa_next_free_sgpr 0
		.amdhsa_accum_offset 4
		.amdhsa_reserve_vcc 0
		.amdhsa_reserve_flat_scratch 0
		.amdhsa_float_round_mode_32 0
		.amdhsa_float_round_mode_16_64 0
		.amdhsa_float_denorm_mode_32 3
		.amdhsa_float_denorm_mode_16_64 3
		.amdhsa_dx10_clamp 1
		.amdhsa_ieee_mode 1
		.amdhsa_fp16_overflow 0
		.amdhsa_tg_split 0
		.amdhsa_exception_fp_ieee_invalid_op 0
		.amdhsa_exception_fp_denorm_src 0
		.amdhsa_exception_fp_ieee_div_zero 0
		.amdhsa_exception_fp_ieee_overflow 0
		.amdhsa_exception_fp_ieee_underflow 0
		.amdhsa_exception_fp_ieee_inexact 0
		.amdhsa_exception_int_div_zero 0
	.end_amdhsa_kernel
	.section	.text._ZN7rocprim17ROCPRIM_400000_NS6detail17trampoline_kernelINS0_14default_configENS1_29binary_search_config_selectorIjbEEZNS1_14transform_implILb0ES3_S5_N6thrust23THRUST_200600_302600_NS6detail15normal_iteratorINS8_10device_ptrIjEEEENSA_INSB_IbEEEEZNS1_13binary_searchIS3_S5_SD_SD_SF_NS1_16binary_search_opENS9_16wrapped_functionINS0_4lessIvEEbEEEE10hipError_tPvRmT1_T2_T3_mmT4_T5_P12ihipStream_tbEUlRKjE_EESM_SQ_SR_mSS_SV_bEUlT_E_NS1_11comp_targetILNS1_3genE8ELNS1_11target_archE1030ELNS1_3gpuE2ELNS1_3repE0EEENS1_30default_config_static_selectorELNS0_4arch9wavefront6targetE1EEEvSP_,"axG",@progbits,_ZN7rocprim17ROCPRIM_400000_NS6detail17trampoline_kernelINS0_14default_configENS1_29binary_search_config_selectorIjbEEZNS1_14transform_implILb0ES3_S5_N6thrust23THRUST_200600_302600_NS6detail15normal_iteratorINS8_10device_ptrIjEEEENSA_INSB_IbEEEEZNS1_13binary_searchIS3_S5_SD_SD_SF_NS1_16binary_search_opENS9_16wrapped_functionINS0_4lessIvEEbEEEE10hipError_tPvRmT1_T2_T3_mmT4_T5_P12ihipStream_tbEUlRKjE_EESM_SQ_SR_mSS_SV_bEUlT_E_NS1_11comp_targetILNS1_3genE8ELNS1_11target_archE1030ELNS1_3gpuE2ELNS1_3repE0EEENS1_30default_config_static_selectorELNS0_4arch9wavefront6targetE1EEEvSP_,comdat
.Lfunc_end464:
	.size	_ZN7rocprim17ROCPRIM_400000_NS6detail17trampoline_kernelINS0_14default_configENS1_29binary_search_config_selectorIjbEEZNS1_14transform_implILb0ES3_S5_N6thrust23THRUST_200600_302600_NS6detail15normal_iteratorINS8_10device_ptrIjEEEENSA_INSB_IbEEEEZNS1_13binary_searchIS3_S5_SD_SD_SF_NS1_16binary_search_opENS9_16wrapped_functionINS0_4lessIvEEbEEEE10hipError_tPvRmT1_T2_T3_mmT4_T5_P12ihipStream_tbEUlRKjE_EESM_SQ_SR_mSS_SV_bEUlT_E_NS1_11comp_targetILNS1_3genE8ELNS1_11target_archE1030ELNS1_3gpuE2ELNS1_3repE0EEENS1_30default_config_static_selectorELNS0_4arch9wavefront6targetE1EEEvSP_, .Lfunc_end464-_ZN7rocprim17ROCPRIM_400000_NS6detail17trampoline_kernelINS0_14default_configENS1_29binary_search_config_selectorIjbEEZNS1_14transform_implILb0ES3_S5_N6thrust23THRUST_200600_302600_NS6detail15normal_iteratorINS8_10device_ptrIjEEEENSA_INSB_IbEEEEZNS1_13binary_searchIS3_S5_SD_SD_SF_NS1_16binary_search_opENS9_16wrapped_functionINS0_4lessIvEEbEEEE10hipError_tPvRmT1_T2_T3_mmT4_T5_P12ihipStream_tbEUlRKjE_EESM_SQ_SR_mSS_SV_bEUlT_E_NS1_11comp_targetILNS1_3genE8ELNS1_11target_archE1030ELNS1_3gpuE2ELNS1_3repE0EEENS1_30default_config_static_selectorELNS0_4arch9wavefront6targetE1EEEvSP_
                                        ; -- End function
	.section	.AMDGPU.csdata,"",@progbits
; Kernel info:
; codeLenInByte = 0
; NumSgprs: 4
; NumVgprs: 0
; NumAgprs: 0
; TotalNumVgprs: 0
; ScratchSize: 0
; MemoryBound: 0
; FloatMode: 240
; IeeeMode: 1
; LDSByteSize: 0 bytes/workgroup (compile time only)
; SGPRBlocks: 0
; VGPRBlocks: 0
; NumSGPRsForWavesPerEU: 4
; NumVGPRsForWavesPerEU: 1
; AccumOffset: 4
; Occupancy: 8
; WaveLimiterHint : 0
; COMPUTE_PGM_RSRC2:SCRATCH_EN: 0
; COMPUTE_PGM_RSRC2:USER_SGPR: 6
; COMPUTE_PGM_RSRC2:TRAP_HANDLER: 0
; COMPUTE_PGM_RSRC2:TGID_X_EN: 1
; COMPUTE_PGM_RSRC2:TGID_Y_EN: 0
; COMPUTE_PGM_RSRC2:TGID_Z_EN: 0
; COMPUTE_PGM_RSRC2:TIDIG_COMP_CNT: 0
; COMPUTE_PGM_RSRC3_GFX90A:ACCUM_OFFSET: 0
; COMPUTE_PGM_RSRC3_GFX90A:TG_SPLIT: 0
	.section	.text._ZN7rocprim17ROCPRIM_400000_NS6detail17trampoline_kernelINS0_14default_configENS1_29binary_search_config_selectorIjiEEZNS1_14transform_implILb0ES3_S5_N6thrust23THRUST_200600_302600_NS6detail15normal_iteratorINS8_10device_ptrIjEEEENSA_INSB_IiEEEEZNS1_13binary_searchIS3_S5_SD_SD_SF_NS1_16binary_search_opENS9_16wrapped_functionINS0_4lessIvEEbEEEE10hipError_tPvRmT1_T2_T3_mmT4_T5_P12ihipStream_tbEUlRKjE_EESM_SQ_SR_mSS_SV_bEUlT_E_NS1_11comp_targetILNS1_3genE0ELNS1_11target_archE4294967295ELNS1_3gpuE0ELNS1_3repE0EEENS1_30default_config_static_selectorELNS0_4arch9wavefront6targetE1EEEvSP_,"axG",@progbits,_ZN7rocprim17ROCPRIM_400000_NS6detail17trampoline_kernelINS0_14default_configENS1_29binary_search_config_selectorIjiEEZNS1_14transform_implILb0ES3_S5_N6thrust23THRUST_200600_302600_NS6detail15normal_iteratorINS8_10device_ptrIjEEEENSA_INSB_IiEEEEZNS1_13binary_searchIS3_S5_SD_SD_SF_NS1_16binary_search_opENS9_16wrapped_functionINS0_4lessIvEEbEEEE10hipError_tPvRmT1_T2_T3_mmT4_T5_P12ihipStream_tbEUlRKjE_EESM_SQ_SR_mSS_SV_bEUlT_E_NS1_11comp_targetILNS1_3genE0ELNS1_11target_archE4294967295ELNS1_3gpuE0ELNS1_3repE0EEENS1_30default_config_static_selectorELNS0_4arch9wavefront6targetE1EEEvSP_,comdat
	.protected	_ZN7rocprim17ROCPRIM_400000_NS6detail17trampoline_kernelINS0_14default_configENS1_29binary_search_config_selectorIjiEEZNS1_14transform_implILb0ES3_S5_N6thrust23THRUST_200600_302600_NS6detail15normal_iteratorINS8_10device_ptrIjEEEENSA_INSB_IiEEEEZNS1_13binary_searchIS3_S5_SD_SD_SF_NS1_16binary_search_opENS9_16wrapped_functionINS0_4lessIvEEbEEEE10hipError_tPvRmT1_T2_T3_mmT4_T5_P12ihipStream_tbEUlRKjE_EESM_SQ_SR_mSS_SV_bEUlT_E_NS1_11comp_targetILNS1_3genE0ELNS1_11target_archE4294967295ELNS1_3gpuE0ELNS1_3repE0EEENS1_30default_config_static_selectorELNS0_4arch9wavefront6targetE1EEEvSP_ ; -- Begin function _ZN7rocprim17ROCPRIM_400000_NS6detail17trampoline_kernelINS0_14default_configENS1_29binary_search_config_selectorIjiEEZNS1_14transform_implILb0ES3_S5_N6thrust23THRUST_200600_302600_NS6detail15normal_iteratorINS8_10device_ptrIjEEEENSA_INSB_IiEEEEZNS1_13binary_searchIS3_S5_SD_SD_SF_NS1_16binary_search_opENS9_16wrapped_functionINS0_4lessIvEEbEEEE10hipError_tPvRmT1_T2_T3_mmT4_T5_P12ihipStream_tbEUlRKjE_EESM_SQ_SR_mSS_SV_bEUlT_E_NS1_11comp_targetILNS1_3genE0ELNS1_11target_archE4294967295ELNS1_3gpuE0ELNS1_3repE0EEENS1_30default_config_static_selectorELNS0_4arch9wavefront6targetE1EEEvSP_
	.globl	_ZN7rocprim17ROCPRIM_400000_NS6detail17trampoline_kernelINS0_14default_configENS1_29binary_search_config_selectorIjiEEZNS1_14transform_implILb0ES3_S5_N6thrust23THRUST_200600_302600_NS6detail15normal_iteratorINS8_10device_ptrIjEEEENSA_INSB_IiEEEEZNS1_13binary_searchIS3_S5_SD_SD_SF_NS1_16binary_search_opENS9_16wrapped_functionINS0_4lessIvEEbEEEE10hipError_tPvRmT1_T2_T3_mmT4_T5_P12ihipStream_tbEUlRKjE_EESM_SQ_SR_mSS_SV_bEUlT_E_NS1_11comp_targetILNS1_3genE0ELNS1_11target_archE4294967295ELNS1_3gpuE0ELNS1_3repE0EEENS1_30default_config_static_selectorELNS0_4arch9wavefront6targetE1EEEvSP_
	.p2align	8
	.type	_ZN7rocprim17ROCPRIM_400000_NS6detail17trampoline_kernelINS0_14default_configENS1_29binary_search_config_selectorIjiEEZNS1_14transform_implILb0ES3_S5_N6thrust23THRUST_200600_302600_NS6detail15normal_iteratorINS8_10device_ptrIjEEEENSA_INSB_IiEEEEZNS1_13binary_searchIS3_S5_SD_SD_SF_NS1_16binary_search_opENS9_16wrapped_functionINS0_4lessIvEEbEEEE10hipError_tPvRmT1_T2_T3_mmT4_T5_P12ihipStream_tbEUlRKjE_EESM_SQ_SR_mSS_SV_bEUlT_E_NS1_11comp_targetILNS1_3genE0ELNS1_11target_archE4294967295ELNS1_3gpuE0ELNS1_3repE0EEENS1_30default_config_static_selectorELNS0_4arch9wavefront6targetE1EEEvSP_,@function
_ZN7rocprim17ROCPRIM_400000_NS6detail17trampoline_kernelINS0_14default_configENS1_29binary_search_config_selectorIjiEEZNS1_14transform_implILb0ES3_S5_N6thrust23THRUST_200600_302600_NS6detail15normal_iteratorINS8_10device_ptrIjEEEENSA_INSB_IiEEEEZNS1_13binary_searchIS3_S5_SD_SD_SF_NS1_16binary_search_opENS9_16wrapped_functionINS0_4lessIvEEbEEEE10hipError_tPvRmT1_T2_T3_mmT4_T5_P12ihipStream_tbEUlRKjE_EESM_SQ_SR_mSS_SV_bEUlT_E_NS1_11comp_targetILNS1_3genE0ELNS1_11target_archE4294967295ELNS1_3gpuE0ELNS1_3repE0EEENS1_30default_config_static_selectorELNS0_4arch9wavefront6targetE1EEEvSP_: ; @_ZN7rocprim17ROCPRIM_400000_NS6detail17trampoline_kernelINS0_14default_configENS1_29binary_search_config_selectorIjiEEZNS1_14transform_implILb0ES3_S5_N6thrust23THRUST_200600_302600_NS6detail15normal_iteratorINS8_10device_ptrIjEEEENSA_INSB_IiEEEEZNS1_13binary_searchIS3_S5_SD_SD_SF_NS1_16binary_search_opENS9_16wrapped_functionINS0_4lessIvEEbEEEE10hipError_tPvRmT1_T2_T3_mmT4_T5_P12ihipStream_tbEUlRKjE_EESM_SQ_SR_mSS_SV_bEUlT_E_NS1_11comp_targetILNS1_3genE0ELNS1_11target_archE4294967295ELNS1_3gpuE0ELNS1_3repE0EEENS1_30default_config_static_selectorELNS0_4arch9wavefront6targetE1EEEvSP_
; %bb.0:
	.section	.rodata,"a",@progbits
	.p2align	6, 0x0
	.amdhsa_kernel _ZN7rocprim17ROCPRIM_400000_NS6detail17trampoline_kernelINS0_14default_configENS1_29binary_search_config_selectorIjiEEZNS1_14transform_implILb0ES3_S5_N6thrust23THRUST_200600_302600_NS6detail15normal_iteratorINS8_10device_ptrIjEEEENSA_INSB_IiEEEEZNS1_13binary_searchIS3_S5_SD_SD_SF_NS1_16binary_search_opENS9_16wrapped_functionINS0_4lessIvEEbEEEE10hipError_tPvRmT1_T2_T3_mmT4_T5_P12ihipStream_tbEUlRKjE_EESM_SQ_SR_mSS_SV_bEUlT_E_NS1_11comp_targetILNS1_3genE0ELNS1_11target_archE4294967295ELNS1_3gpuE0ELNS1_3repE0EEENS1_30default_config_static_selectorELNS0_4arch9wavefront6targetE1EEEvSP_
		.amdhsa_group_segment_fixed_size 0
		.amdhsa_private_segment_fixed_size 0
		.amdhsa_kernarg_size 56
		.amdhsa_user_sgpr_count 6
		.amdhsa_user_sgpr_private_segment_buffer 1
		.amdhsa_user_sgpr_dispatch_ptr 0
		.amdhsa_user_sgpr_queue_ptr 0
		.amdhsa_user_sgpr_kernarg_segment_ptr 1
		.amdhsa_user_sgpr_dispatch_id 0
		.amdhsa_user_sgpr_flat_scratch_init 0
		.amdhsa_user_sgpr_kernarg_preload_length 0
		.amdhsa_user_sgpr_kernarg_preload_offset 0
		.amdhsa_user_sgpr_private_segment_size 0
		.amdhsa_uses_dynamic_stack 0
		.amdhsa_system_sgpr_private_segment_wavefront_offset 0
		.amdhsa_system_sgpr_workgroup_id_x 1
		.amdhsa_system_sgpr_workgroup_id_y 0
		.amdhsa_system_sgpr_workgroup_id_z 0
		.amdhsa_system_sgpr_workgroup_info 0
		.amdhsa_system_vgpr_workitem_id 0
		.amdhsa_next_free_vgpr 1
		.amdhsa_next_free_sgpr 0
		.amdhsa_accum_offset 4
		.amdhsa_reserve_vcc 0
		.amdhsa_reserve_flat_scratch 0
		.amdhsa_float_round_mode_32 0
		.amdhsa_float_round_mode_16_64 0
		.amdhsa_float_denorm_mode_32 3
		.amdhsa_float_denorm_mode_16_64 3
		.amdhsa_dx10_clamp 1
		.amdhsa_ieee_mode 1
		.amdhsa_fp16_overflow 0
		.amdhsa_tg_split 0
		.amdhsa_exception_fp_ieee_invalid_op 0
		.amdhsa_exception_fp_denorm_src 0
		.amdhsa_exception_fp_ieee_div_zero 0
		.amdhsa_exception_fp_ieee_overflow 0
		.amdhsa_exception_fp_ieee_underflow 0
		.amdhsa_exception_fp_ieee_inexact 0
		.amdhsa_exception_int_div_zero 0
	.end_amdhsa_kernel
	.section	.text._ZN7rocprim17ROCPRIM_400000_NS6detail17trampoline_kernelINS0_14default_configENS1_29binary_search_config_selectorIjiEEZNS1_14transform_implILb0ES3_S5_N6thrust23THRUST_200600_302600_NS6detail15normal_iteratorINS8_10device_ptrIjEEEENSA_INSB_IiEEEEZNS1_13binary_searchIS3_S5_SD_SD_SF_NS1_16binary_search_opENS9_16wrapped_functionINS0_4lessIvEEbEEEE10hipError_tPvRmT1_T2_T3_mmT4_T5_P12ihipStream_tbEUlRKjE_EESM_SQ_SR_mSS_SV_bEUlT_E_NS1_11comp_targetILNS1_3genE0ELNS1_11target_archE4294967295ELNS1_3gpuE0ELNS1_3repE0EEENS1_30default_config_static_selectorELNS0_4arch9wavefront6targetE1EEEvSP_,"axG",@progbits,_ZN7rocprim17ROCPRIM_400000_NS6detail17trampoline_kernelINS0_14default_configENS1_29binary_search_config_selectorIjiEEZNS1_14transform_implILb0ES3_S5_N6thrust23THRUST_200600_302600_NS6detail15normal_iteratorINS8_10device_ptrIjEEEENSA_INSB_IiEEEEZNS1_13binary_searchIS3_S5_SD_SD_SF_NS1_16binary_search_opENS9_16wrapped_functionINS0_4lessIvEEbEEEE10hipError_tPvRmT1_T2_T3_mmT4_T5_P12ihipStream_tbEUlRKjE_EESM_SQ_SR_mSS_SV_bEUlT_E_NS1_11comp_targetILNS1_3genE0ELNS1_11target_archE4294967295ELNS1_3gpuE0ELNS1_3repE0EEENS1_30default_config_static_selectorELNS0_4arch9wavefront6targetE1EEEvSP_,comdat
.Lfunc_end465:
	.size	_ZN7rocprim17ROCPRIM_400000_NS6detail17trampoline_kernelINS0_14default_configENS1_29binary_search_config_selectorIjiEEZNS1_14transform_implILb0ES3_S5_N6thrust23THRUST_200600_302600_NS6detail15normal_iteratorINS8_10device_ptrIjEEEENSA_INSB_IiEEEEZNS1_13binary_searchIS3_S5_SD_SD_SF_NS1_16binary_search_opENS9_16wrapped_functionINS0_4lessIvEEbEEEE10hipError_tPvRmT1_T2_T3_mmT4_T5_P12ihipStream_tbEUlRKjE_EESM_SQ_SR_mSS_SV_bEUlT_E_NS1_11comp_targetILNS1_3genE0ELNS1_11target_archE4294967295ELNS1_3gpuE0ELNS1_3repE0EEENS1_30default_config_static_selectorELNS0_4arch9wavefront6targetE1EEEvSP_, .Lfunc_end465-_ZN7rocprim17ROCPRIM_400000_NS6detail17trampoline_kernelINS0_14default_configENS1_29binary_search_config_selectorIjiEEZNS1_14transform_implILb0ES3_S5_N6thrust23THRUST_200600_302600_NS6detail15normal_iteratorINS8_10device_ptrIjEEEENSA_INSB_IiEEEEZNS1_13binary_searchIS3_S5_SD_SD_SF_NS1_16binary_search_opENS9_16wrapped_functionINS0_4lessIvEEbEEEE10hipError_tPvRmT1_T2_T3_mmT4_T5_P12ihipStream_tbEUlRKjE_EESM_SQ_SR_mSS_SV_bEUlT_E_NS1_11comp_targetILNS1_3genE0ELNS1_11target_archE4294967295ELNS1_3gpuE0ELNS1_3repE0EEENS1_30default_config_static_selectorELNS0_4arch9wavefront6targetE1EEEvSP_
                                        ; -- End function
	.section	.AMDGPU.csdata,"",@progbits
; Kernel info:
; codeLenInByte = 0
; NumSgprs: 4
; NumVgprs: 0
; NumAgprs: 0
; TotalNumVgprs: 0
; ScratchSize: 0
; MemoryBound: 0
; FloatMode: 240
; IeeeMode: 1
; LDSByteSize: 0 bytes/workgroup (compile time only)
; SGPRBlocks: 0
; VGPRBlocks: 0
; NumSGPRsForWavesPerEU: 4
; NumVGPRsForWavesPerEU: 1
; AccumOffset: 4
; Occupancy: 8
; WaveLimiterHint : 0
; COMPUTE_PGM_RSRC2:SCRATCH_EN: 0
; COMPUTE_PGM_RSRC2:USER_SGPR: 6
; COMPUTE_PGM_RSRC2:TRAP_HANDLER: 0
; COMPUTE_PGM_RSRC2:TGID_X_EN: 1
; COMPUTE_PGM_RSRC2:TGID_Y_EN: 0
; COMPUTE_PGM_RSRC2:TGID_Z_EN: 0
; COMPUTE_PGM_RSRC2:TIDIG_COMP_CNT: 0
; COMPUTE_PGM_RSRC3_GFX90A:ACCUM_OFFSET: 0
; COMPUTE_PGM_RSRC3_GFX90A:TG_SPLIT: 0
	.section	.text._ZN7rocprim17ROCPRIM_400000_NS6detail17trampoline_kernelINS0_14default_configENS1_29binary_search_config_selectorIjiEEZNS1_14transform_implILb0ES3_S5_N6thrust23THRUST_200600_302600_NS6detail15normal_iteratorINS8_10device_ptrIjEEEENSA_INSB_IiEEEEZNS1_13binary_searchIS3_S5_SD_SD_SF_NS1_16binary_search_opENS9_16wrapped_functionINS0_4lessIvEEbEEEE10hipError_tPvRmT1_T2_T3_mmT4_T5_P12ihipStream_tbEUlRKjE_EESM_SQ_SR_mSS_SV_bEUlT_E_NS1_11comp_targetILNS1_3genE5ELNS1_11target_archE942ELNS1_3gpuE9ELNS1_3repE0EEENS1_30default_config_static_selectorELNS0_4arch9wavefront6targetE1EEEvSP_,"axG",@progbits,_ZN7rocprim17ROCPRIM_400000_NS6detail17trampoline_kernelINS0_14default_configENS1_29binary_search_config_selectorIjiEEZNS1_14transform_implILb0ES3_S5_N6thrust23THRUST_200600_302600_NS6detail15normal_iteratorINS8_10device_ptrIjEEEENSA_INSB_IiEEEEZNS1_13binary_searchIS3_S5_SD_SD_SF_NS1_16binary_search_opENS9_16wrapped_functionINS0_4lessIvEEbEEEE10hipError_tPvRmT1_T2_T3_mmT4_T5_P12ihipStream_tbEUlRKjE_EESM_SQ_SR_mSS_SV_bEUlT_E_NS1_11comp_targetILNS1_3genE5ELNS1_11target_archE942ELNS1_3gpuE9ELNS1_3repE0EEENS1_30default_config_static_selectorELNS0_4arch9wavefront6targetE1EEEvSP_,comdat
	.protected	_ZN7rocprim17ROCPRIM_400000_NS6detail17trampoline_kernelINS0_14default_configENS1_29binary_search_config_selectorIjiEEZNS1_14transform_implILb0ES3_S5_N6thrust23THRUST_200600_302600_NS6detail15normal_iteratorINS8_10device_ptrIjEEEENSA_INSB_IiEEEEZNS1_13binary_searchIS3_S5_SD_SD_SF_NS1_16binary_search_opENS9_16wrapped_functionINS0_4lessIvEEbEEEE10hipError_tPvRmT1_T2_T3_mmT4_T5_P12ihipStream_tbEUlRKjE_EESM_SQ_SR_mSS_SV_bEUlT_E_NS1_11comp_targetILNS1_3genE5ELNS1_11target_archE942ELNS1_3gpuE9ELNS1_3repE0EEENS1_30default_config_static_selectorELNS0_4arch9wavefront6targetE1EEEvSP_ ; -- Begin function _ZN7rocprim17ROCPRIM_400000_NS6detail17trampoline_kernelINS0_14default_configENS1_29binary_search_config_selectorIjiEEZNS1_14transform_implILb0ES3_S5_N6thrust23THRUST_200600_302600_NS6detail15normal_iteratorINS8_10device_ptrIjEEEENSA_INSB_IiEEEEZNS1_13binary_searchIS3_S5_SD_SD_SF_NS1_16binary_search_opENS9_16wrapped_functionINS0_4lessIvEEbEEEE10hipError_tPvRmT1_T2_T3_mmT4_T5_P12ihipStream_tbEUlRKjE_EESM_SQ_SR_mSS_SV_bEUlT_E_NS1_11comp_targetILNS1_3genE5ELNS1_11target_archE942ELNS1_3gpuE9ELNS1_3repE0EEENS1_30default_config_static_selectorELNS0_4arch9wavefront6targetE1EEEvSP_
	.globl	_ZN7rocprim17ROCPRIM_400000_NS6detail17trampoline_kernelINS0_14default_configENS1_29binary_search_config_selectorIjiEEZNS1_14transform_implILb0ES3_S5_N6thrust23THRUST_200600_302600_NS6detail15normal_iteratorINS8_10device_ptrIjEEEENSA_INSB_IiEEEEZNS1_13binary_searchIS3_S5_SD_SD_SF_NS1_16binary_search_opENS9_16wrapped_functionINS0_4lessIvEEbEEEE10hipError_tPvRmT1_T2_T3_mmT4_T5_P12ihipStream_tbEUlRKjE_EESM_SQ_SR_mSS_SV_bEUlT_E_NS1_11comp_targetILNS1_3genE5ELNS1_11target_archE942ELNS1_3gpuE9ELNS1_3repE0EEENS1_30default_config_static_selectorELNS0_4arch9wavefront6targetE1EEEvSP_
	.p2align	8
	.type	_ZN7rocprim17ROCPRIM_400000_NS6detail17trampoline_kernelINS0_14default_configENS1_29binary_search_config_selectorIjiEEZNS1_14transform_implILb0ES3_S5_N6thrust23THRUST_200600_302600_NS6detail15normal_iteratorINS8_10device_ptrIjEEEENSA_INSB_IiEEEEZNS1_13binary_searchIS3_S5_SD_SD_SF_NS1_16binary_search_opENS9_16wrapped_functionINS0_4lessIvEEbEEEE10hipError_tPvRmT1_T2_T3_mmT4_T5_P12ihipStream_tbEUlRKjE_EESM_SQ_SR_mSS_SV_bEUlT_E_NS1_11comp_targetILNS1_3genE5ELNS1_11target_archE942ELNS1_3gpuE9ELNS1_3repE0EEENS1_30default_config_static_selectorELNS0_4arch9wavefront6targetE1EEEvSP_,@function
_ZN7rocprim17ROCPRIM_400000_NS6detail17trampoline_kernelINS0_14default_configENS1_29binary_search_config_selectorIjiEEZNS1_14transform_implILb0ES3_S5_N6thrust23THRUST_200600_302600_NS6detail15normal_iteratorINS8_10device_ptrIjEEEENSA_INSB_IiEEEEZNS1_13binary_searchIS3_S5_SD_SD_SF_NS1_16binary_search_opENS9_16wrapped_functionINS0_4lessIvEEbEEEE10hipError_tPvRmT1_T2_T3_mmT4_T5_P12ihipStream_tbEUlRKjE_EESM_SQ_SR_mSS_SV_bEUlT_E_NS1_11comp_targetILNS1_3genE5ELNS1_11target_archE942ELNS1_3gpuE9ELNS1_3repE0EEENS1_30default_config_static_selectorELNS0_4arch9wavefront6targetE1EEEvSP_: ; @_ZN7rocprim17ROCPRIM_400000_NS6detail17trampoline_kernelINS0_14default_configENS1_29binary_search_config_selectorIjiEEZNS1_14transform_implILb0ES3_S5_N6thrust23THRUST_200600_302600_NS6detail15normal_iteratorINS8_10device_ptrIjEEEENSA_INSB_IiEEEEZNS1_13binary_searchIS3_S5_SD_SD_SF_NS1_16binary_search_opENS9_16wrapped_functionINS0_4lessIvEEbEEEE10hipError_tPvRmT1_T2_T3_mmT4_T5_P12ihipStream_tbEUlRKjE_EESM_SQ_SR_mSS_SV_bEUlT_E_NS1_11comp_targetILNS1_3genE5ELNS1_11target_archE942ELNS1_3gpuE9ELNS1_3repE0EEENS1_30default_config_static_selectorELNS0_4arch9wavefront6targetE1EEEvSP_
; %bb.0:
	.section	.rodata,"a",@progbits
	.p2align	6, 0x0
	.amdhsa_kernel _ZN7rocprim17ROCPRIM_400000_NS6detail17trampoline_kernelINS0_14default_configENS1_29binary_search_config_selectorIjiEEZNS1_14transform_implILb0ES3_S5_N6thrust23THRUST_200600_302600_NS6detail15normal_iteratorINS8_10device_ptrIjEEEENSA_INSB_IiEEEEZNS1_13binary_searchIS3_S5_SD_SD_SF_NS1_16binary_search_opENS9_16wrapped_functionINS0_4lessIvEEbEEEE10hipError_tPvRmT1_T2_T3_mmT4_T5_P12ihipStream_tbEUlRKjE_EESM_SQ_SR_mSS_SV_bEUlT_E_NS1_11comp_targetILNS1_3genE5ELNS1_11target_archE942ELNS1_3gpuE9ELNS1_3repE0EEENS1_30default_config_static_selectorELNS0_4arch9wavefront6targetE1EEEvSP_
		.amdhsa_group_segment_fixed_size 0
		.amdhsa_private_segment_fixed_size 0
		.amdhsa_kernarg_size 56
		.amdhsa_user_sgpr_count 6
		.amdhsa_user_sgpr_private_segment_buffer 1
		.amdhsa_user_sgpr_dispatch_ptr 0
		.amdhsa_user_sgpr_queue_ptr 0
		.amdhsa_user_sgpr_kernarg_segment_ptr 1
		.amdhsa_user_sgpr_dispatch_id 0
		.amdhsa_user_sgpr_flat_scratch_init 0
		.amdhsa_user_sgpr_kernarg_preload_length 0
		.amdhsa_user_sgpr_kernarg_preload_offset 0
		.amdhsa_user_sgpr_private_segment_size 0
		.amdhsa_uses_dynamic_stack 0
		.amdhsa_system_sgpr_private_segment_wavefront_offset 0
		.amdhsa_system_sgpr_workgroup_id_x 1
		.amdhsa_system_sgpr_workgroup_id_y 0
		.amdhsa_system_sgpr_workgroup_id_z 0
		.amdhsa_system_sgpr_workgroup_info 0
		.amdhsa_system_vgpr_workitem_id 0
		.amdhsa_next_free_vgpr 1
		.amdhsa_next_free_sgpr 0
		.amdhsa_accum_offset 4
		.amdhsa_reserve_vcc 0
		.amdhsa_reserve_flat_scratch 0
		.amdhsa_float_round_mode_32 0
		.amdhsa_float_round_mode_16_64 0
		.amdhsa_float_denorm_mode_32 3
		.amdhsa_float_denorm_mode_16_64 3
		.amdhsa_dx10_clamp 1
		.amdhsa_ieee_mode 1
		.amdhsa_fp16_overflow 0
		.amdhsa_tg_split 0
		.amdhsa_exception_fp_ieee_invalid_op 0
		.amdhsa_exception_fp_denorm_src 0
		.amdhsa_exception_fp_ieee_div_zero 0
		.amdhsa_exception_fp_ieee_overflow 0
		.amdhsa_exception_fp_ieee_underflow 0
		.amdhsa_exception_fp_ieee_inexact 0
		.amdhsa_exception_int_div_zero 0
	.end_amdhsa_kernel
	.section	.text._ZN7rocprim17ROCPRIM_400000_NS6detail17trampoline_kernelINS0_14default_configENS1_29binary_search_config_selectorIjiEEZNS1_14transform_implILb0ES3_S5_N6thrust23THRUST_200600_302600_NS6detail15normal_iteratorINS8_10device_ptrIjEEEENSA_INSB_IiEEEEZNS1_13binary_searchIS3_S5_SD_SD_SF_NS1_16binary_search_opENS9_16wrapped_functionINS0_4lessIvEEbEEEE10hipError_tPvRmT1_T2_T3_mmT4_T5_P12ihipStream_tbEUlRKjE_EESM_SQ_SR_mSS_SV_bEUlT_E_NS1_11comp_targetILNS1_3genE5ELNS1_11target_archE942ELNS1_3gpuE9ELNS1_3repE0EEENS1_30default_config_static_selectorELNS0_4arch9wavefront6targetE1EEEvSP_,"axG",@progbits,_ZN7rocprim17ROCPRIM_400000_NS6detail17trampoline_kernelINS0_14default_configENS1_29binary_search_config_selectorIjiEEZNS1_14transform_implILb0ES3_S5_N6thrust23THRUST_200600_302600_NS6detail15normal_iteratorINS8_10device_ptrIjEEEENSA_INSB_IiEEEEZNS1_13binary_searchIS3_S5_SD_SD_SF_NS1_16binary_search_opENS9_16wrapped_functionINS0_4lessIvEEbEEEE10hipError_tPvRmT1_T2_T3_mmT4_T5_P12ihipStream_tbEUlRKjE_EESM_SQ_SR_mSS_SV_bEUlT_E_NS1_11comp_targetILNS1_3genE5ELNS1_11target_archE942ELNS1_3gpuE9ELNS1_3repE0EEENS1_30default_config_static_selectorELNS0_4arch9wavefront6targetE1EEEvSP_,comdat
.Lfunc_end466:
	.size	_ZN7rocprim17ROCPRIM_400000_NS6detail17trampoline_kernelINS0_14default_configENS1_29binary_search_config_selectorIjiEEZNS1_14transform_implILb0ES3_S5_N6thrust23THRUST_200600_302600_NS6detail15normal_iteratorINS8_10device_ptrIjEEEENSA_INSB_IiEEEEZNS1_13binary_searchIS3_S5_SD_SD_SF_NS1_16binary_search_opENS9_16wrapped_functionINS0_4lessIvEEbEEEE10hipError_tPvRmT1_T2_T3_mmT4_T5_P12ihipStream_tbEUlRKjE_EESM_SQ_SR_mSS_SV_bEUlT_E_NS1_11comp_targetILNS1_3genE5ELNS1_11target_archE942ELNS1_3gpuE9ELNS1_3repE0EEENS1_30default_config_static_selectorELNS0_4arch9wavefront6targetE1EEEvSP_, .Lfunc_end466-_ZN7rocprim17ROCPRIM_400000_NS6detail17trampoline_kernelINS0_14default_configENS1_29binary_search_config_selectorIjiEEZNS1_14transform_implILb0ES3_S5_N6thrust23THRUST_200600_302600_NS6detail15normal_iteratorINS8_10device_ptrIjEEEENSA_INSB_IiEEEEZNS1_13binary_searchIS3_S5_SD_SD_SF_NS1_16binary_search_opENS9_16wrapped_functionINS0_4lessIvEEbEEEE10hipError_tPvRmT1_T2_T3_mmT4_T5_P12ihipStream_tbEUlRKjE_EESM_SQ_SR_mSS_SV_bEUlT_E_NS1_11comp_targetILNS1_3genE5ELNS1_11target_archE942ELNS1_3gpuE9ELNS1_3repE0EEENS1_30default_config_static_selectorELNS0_4arch9wavefront6targetE1EEEvSP_
                                        ; -- End function
	.section	.AMDGPU.csdata,"",@progbits
; Kernel info:
; codeLenInByte = 0
; NumSgprs: 4
; NumVgprs: 0
; NumAgprs: 0
; TotalNumVgprs: 0
; ScratchSize: 0
; MemoryBound: 0
; FloatMode: 240
; IeeeMode: 1
; LDSByteSize: 0 bytes/workgroup (compile time only)
; SGPRBlocks: 0
; VGPRBlocks: 0
; NumSGPRsForWavesPerEU: 4
; NumVGPRsForWavesPerEU: 1
; AccumOffset: 4
; Occupancy: 8
; WaveLimiterHint : 0
; COMPUTE_PGM_RSRC2:SCRATCH_EN: 0
; COMPUTE_PGM_RSRC2:USER_SGPR: 6
; COMPUTE_PGM_RSRC2:TRAP_HANDLER: 0
; COMPUTE_PGM_RSRC2:TGID_X_EN: 1
; COMPUTE_PGM_RSRC2:TGID_Y_EN: 0
; COMPUTE_PGM_RSRC2:TGID_Z_EN: 0
; COMPUTE_PGM_RSRC2:TIDIG_COMP_CNT: 0
; COMPUTE_PGM_RSRC3_GFX90A:ACCUM_OFFSET: 0
; COMPUTE_PGM_RSRC3_GFX90A:TG_SPLIT: 0
	.section	.text._ZN7rocprim17ROCPRIM_400000_NS6detail17trampoline_kernelINS0_14default_configENS1_29binary_search_config_selectorIjiEEZNS1_14transform_implILb0ES3_S5_N6thrust23THRUST_200600_302600_NS6detail15normal_iteratorINS8_10device_ptrIjEEEENSA_INSB_IiEEEEZNS1_13binary_searchIS3_S5_SD_SD_SF_NS1_16binary_search_opENS9_16wrapped_functionINS0_4lessIvEEbEEEE10hipError_tPvRmT1_T2_T3_mmT4_T5_P12ihipStream_tbEUlRKjE_EESM_SQ_SR_mSS_SV_bEUlT_E_NS1_11comp_targetILNS1_3genE4ELNS1_11target_archE910ELNS1_3gpuE8ELNS1_3repE0EEENS1_30default_config_static_selectorELNS0_4arch9wavefront6targetE1EEEvSP_,"axG",@progbits,_ZN7rocprim17ROCPRIM_400000_NS6detail17trampoline_kernelINS0_14default_configENS1_29binary_search_config_selectorIjiEEZNS1_14transform_implILb0ES3_S5_N6thrust23THRUST_200600_302600_NS6detail15normal_iteratorINS8_10device_ptrIjEEEENSA_INSB_IiEEEEZNS1_13binary_searchIS3_S5_SD_SD_SF_NS1_16binary_search_opENS9_16wrapped_functionINS0_4lessIvEEbEEEE10hipError_tPvRmT1_T2_T3_mmT4_T5_P12ihipStream_tbEUlRKjE_EESM_SQ_SR_mSS_SV_bEUlT_E_NS1_11comp_targetILNS1_3genE4ELNS1_11target_archE910ELNS1_3gpuE8ELNS1_3repE0EEENS1_30default_config_static_selectorELNS0_4arch9wavefront6targetE1EEEvSP_,comdat
	.protected	_ZN7rocprim17ROCPRIM_400000_NS6detail17trampoline_kernelINS0_14default_configENS1_29binary_search_config_selectorIjiEEZNS1_14transform_implILb0ES3_S5_N6thrust23THRUST_200600_302600_NS6detail15normal_iteratorINS8_10device_ptrIjEEEENSA_INSB_IiEEEEZNS1_13binary_searchIS3_S5_SD_SD_SF_NS1_16binary_search_opENS9_16wrapped_functionINS0_4lessIvEEbEEEE10hipError_tPvRmT1_T2_T3_mmT4_T5_P12ihipStream_tbEUlRKjE_EESM_SQ_SR_mSS_SV_bEUlT_E_NS1_11comp_targetILNS1_3genE4ELNS1_11target_archE910ELNS1_3gpuE8ELNS1_3repE0EEENS1_30default_config_static_selectorELNS0_4arch9wavefront6targetE1EEEvSP_ ; -- Begin function _ZN7rocprim17ROCPRIM_400000_NS6detail17trampoline_kernelINS0_14default_configENS1_29binary_search_config_selectorIjiEEZNS1_14transform_implILb0ES3_S5_N6thrust23THRUST_200600_302600_NS6detail15normal_iteratorINS8_10device_ptrIjEEEENSA_INSB_IiEEEEZNS1_13binary_searchIS3_S5_SD_SD_SF_NS1_16binary_search_opENS9_16wrapped_functionINS0_4lessIvEEbEEEE10hipError_tPvRmT1_T2_T3_mmT4_T5_P12ihipStream_tbEUlRKjE_EESM_SQ_SR_mSS_SV_bEUlT_E_NS1_11comp_targetILNS1_3genE4ELNS1_11target_archE910ELNS1_3gpuE8ELNS1_3repE0EEENS1_30default_config_static_selectorELNS0_4arch9wavefront6targetE1EEEvSP_
	.globl	_ZN7rocprim17ROCPRIM_400000_NS6detail17trampoline_kernelINS0_14default_configENS1_29binary_search_config_selectorIjiEEZNS1_14transform_implILb0ES3_S5_N6thrust23THRUST_200600_302600_NS6detail15normal_iteratorINS8_10device_ptrIjEEEENSA_INSB_IiEEEEZNS1_13binary_searchIS3_S5_SD_SD_SF_NS1_16binary_search_opENS9_16wrapped_functionINS0_4lessIvEEbEEEE10hipError_tPvRmT1_T2_T3_mmT4_T5_P12ihipStream_tbEUlRKjE_EESM_SQ_SR_mSS_SV_bEUlT_E_NS1_11comp_targetILNS1_3genE4ELNS1_11target_archE910ELNS1_3gpuE8ELNS1_3repE0EEENS1_30default_config_static_selectorELNS0_4arch9wavefront6targetE1EEEvSP_
	.p2align	8
	.type	_ZN7rocprim17ROCPRIM_400000_NS6detail17trampoline_kernelINS0_14default_configENS1_29binary_search_config_selectorIjiEEZNS1_14transform_implILb0ES3_S5_N6thrust23THRUST_200600_302600_NS6detail15normal_iteratorINS8_10device_ptrIjEEEENSA_INSB_IiEEEEZNS1_13binary_searchIS3_S5_SD_SD_SF_NS1_16binary_search_opENS9_16wrapped_functionINS0_4lessIvEEbEEEE10hipError_tPvRmT1_T2_T3_mmT4_T5_P12ihipStream_tbEUlRKjE_EESM_SQ_SR_mSS_SV_bEUlT_E_NS1_11comp_targetILNS1_3genE4ELNS1_11target_archE910ELNS1_3gpuE8ELNS1_3repE0EEENS1_30default_config_static_selectorELNS0_4arch9wavefront6targetE1EEEvSP_,@function
_ZN7rocprim17ROCPRIM_400000_NS6detail17trampoline_kernelINS0_14default_configENS1_29binary_search_config_selectorIjiEEZNS1_14transform_implILb0ES3_S5_N6thrust23THRUST_200600_302600_NS6detail15normal_iteratorINS8_10device_ptrIjEEEENSA_INSB_IiEEEEZNS1_13binary_searchIS3_S5_SD_SD_SF_NS1_16binary_search_opENS9_16wrapped_functionINS0_4lessIvEEbEEEE10hipError_tPvRmT1_T2_T3_mmT4_T5_P12ihipStream_tbEUlRKjE_EESM_SQ_SR_mSS_SV_bEUlT_E_NS1_11comp_targetILNS1_3genE4ELNS1_11target_archE910ELNS1_3gpuE8ELNS1_3repE0EEENS1_30default_config_static_selectorELNS0_4arch9wavefront6targetE1EEEvSP_: ; @_ZN7rocprim17ROCPRIM_400000_NS6detail17trampoline_kernelINS0_14default_configENS1_29binary_search_config_selectorIjiEEZNS1_14transform_implILb0ES3_S5_N6thrust23THRUST_200600_302600_NS6detail15normal_iteratorINS8_10device_ptrIjEEEENSA_INSB_IiEEEEZNS1_13binary_searchIS3_S5_SD_SD_SF_NS1_16binary_search_opENS9_16wrapped_functionINS0_4lessIvEEbEEEE10hipError_tPvRmT1_T2_T3_mmT4_T5_P12ihipStream_tbEUlRKjE_EESM_SQ_SR_mSS_SV_bEUlT_E_NS1_11comp_targetILNS1_3genE4ELNS1_11target_archE910ELNS1_3gpuE8ELNS1_3repE0EEENS1_30default_config_static_selectorELNS0_4arch9wavefront6targetE1EEEvSP_
; %bb.0:
	s_load_dwordx4 s[12:15], s[4:5], 0x0
	s_load_dwordx4 s[0:3], s[4:5], 0x18
	s_load_dwordx2 s[10:11], s[4:5], 0x28
	s_load_dword s7, s[4:5], 0x38
	s_waitcnt lgkmcnt(0)
	s_lshl_b64 s[8:9], s[14:15], 2
	s_add_u32 s14, s12, s8
	s_addc_u32 s15, s13, s9
	s_add_u32 s12, s0, s8
	s_addc_u32 s13, s1, s9
	s_lshl_b32 s8, s6, 8
	s_add_i32 s7, s7, -1
	s_mov_b32 s9, 0
	s_cmp_lg_u32 s6, s7
	s_mov_b64 s[0:1], -1
	s_cbranch_scc0 .LBB467_8
; %bb.1:
	s_lshl_b64 s[0:1], s[8:9], 2
	s_add_u32 s6, s14, s0
	s_addc_u32 s7, s15, s1
	v_lshlrev_b32_e32 v1, 2, v0
	v_mov_b32_e32 v3, s7
	v_add_co_u32_e32 v2, vcc, s6, v1
	v_addc_co_u32_e32 v3, vcc, 0, v3, vcc
	flat_load_dword v6, v[2:3]
	s_mov_b64 s[6:7], 0
	s_cmp_eq_u64 s[10:11], 0
	v_pk_mov_b32 v[2:3], 0, 0
	s_cbranch_scc1 .LBB467_5
; %bb.2:
	v_pk_mov_b32 v[2:3], 0, 0
	v_pk_mov_b32 v[4:5], s[10:11], s[10:11] op_sel:[0,1]
	v_mov_b32_e32 v7, s3
.LBB467_3:                              ; =>This Inner Loop Header: Depth=1
	v_sub_co_u32_e32 v8, vcc, v4, v2
	v_subb_co_u32_e32 v9, vcc, v5, v3, vcc
	v_lshrrev_b64 v[10:11], 1, v[8:9]
	v_add_co_u32_e32 v10, vcc, v10, v2
	v_lshrrev_b64 v[8:9], 6, v[8:9]
	v_addc_co_u32_e32 v11, vcc, v11, v3, vcc
	v_add_co_u32_e32 v8, vcc, v10, v8
	v_addc_co_u32_e32 v9, vcc, v11, v9, vcc
	v_lshlrev_b64 v[10:11], 2, v[8:9]
	v_add_co_u32_e32 v10, vcc, s2, v10
	v_addc_co_u32_e32 v11, vcc, v7, v11, vcc
	global_load_dword v10, v[10:11], off
	v_add_co_u32_e32 v11, vcc, 1, v8
	v_addc_co_u32_e32 v12, vcc, 0, v9, vcc
	s_waitcnt vmcnt(0) lgkmcnt(0)
	v_cmp_lt_u32_e32 vcc, v10, v6
	v_cndmask_b32_e32 v5, v9, v5, vcc
	v_cndmask_b32_e32 v4, v8, v4, vcc
	;; [unrolled: 1-line block ×4, first 2 shown]
	v_cmp_ge_u64_e32 vcc, v[2:3], v[4:5]
	s_or_b64 s[6:7], vcc, s[6:7]
	s_andn2_b64 exec, exec, s[6:7]
	s_cbranch_execnz .LBB467_3
; %bb.4:
	s_or_b64 exec, exec, s[6:7]
.LBB467_5:
	v_cmp_ne_u64_e32 vcc, s[10:11], v[2:3]
	v_mov_b32_e32 v4, 0
	s_and_saveexec_b64 s[6:7], vcc
	s_cbranch_execz .LBB467_7
; %bb.6:
	v_lshlrev_b64 v[2:3], 2, v[2:3]
	v_mov_b32_e32 v4, s3
	v_add_co_u32_e32 v2, vcc, s2, v2
	v_addc_co_u32_e32 v3, vcc, v4, v3, vcc
	global_load_dword v2, v[2:3], off
	s_waitcnt vmcnt(0) lgkmcnt(0)
	v_cmp_le_u32_e32 vcc, v2, v6
	v_cndmask_b32_e64 v4, 0, 1, vcc
.LBB467_7:
	s_or_b64 exec, exec, s[6:7]
	s_add_u32 s0, s12, s0
	s_addc_u32 s1, s13, s1
	v_mov_b32_e32 v3, s1
	v_add_co_u32_e32 v2, vcc, s0, v1
	v_addc_co_u32_e32 v3, vcc, 0, v3, vcc
	s_mov_b64 s[0:1], 0
	flat_store_dword v[2:3], v4
.LBB467_8:
	s_and_b64 vcc, exec, s[0:1]
	s_cbranch_vccz .LBB467_13
; %bb.9:
	s_load_dword s0, s[4:5], 0x10
                                        ; implicit-def: $vgpr1
	s_waitcnt lgkmcnt(0)
	s_sub_i32 s0, s0, s8
	v_cmp_gt_u32_e32 vcc, s0, v0
	s_and_saveexec_b64 s[4:5], vcc
	s_cbranch_execnz .LBB467_14
; %bb.10:
	s_or_b64 exec, exec, s[4:5]
                                        ; implicit-def: $vgpr4
	s_and_saveexec_b64 s[4:5], vcc
	s_cbranch_execnz .LBB467_15
.LBB467_11:
	s_or_b64 exec, exec, s[4:5]
	s_and_saveexec_b64 s[0:1], vcc
	s_cbranch_execz .LBB467_13
.LBB467_12:
	s_lshl_b64 s[0:1], s[8:9], 2
	s_add_u32 s0, s12, s0
	s_addc_u32 s1, s13, s1
	v_lshlrev_b32_e32 v0, 2, v0
	s_waitcnt vmcnt(0) lgkmcnt(0)
	v_mov_b32_e32 v1, s1
	v_add_co_u32_e32 v0, vcc, s0, v0
	v_addc_co_u32_e32 v1, vcc, 0, v1, vcc
	flat_store_dword v[0:1], v4
.LBB467_13:
	s_endpgm
.LBB467_14:
	s_lshl_b64 s[0:1], s[8:9], 2
	s_add_u32 s0, s14, s0
	s_addc_u32 s1, s15, s1
	v_lshlrev_b32_e32 v1, 2, v0
	v_mov_b32_e32 v3, s1
	v_add_co_u32_e64 v2, s[0:1], s0, v1
	v_addc_co_u32_e64 v3, s[0:1], 0, v3, s[0:1]
	flat_load_dword v1, v[2:3]
	s_or_b64 exec, exec, s[4:5]
                                        ; implicit-def: $vgpr4
	s_and_saveexec_b64 s[4:5], vcc
	s_cbranch_execz .LBB467_11
.LBB467_15:
	s_mov_b64 s[6:7], 0
	s_cmp_eq_u64 s[10:11], 0
	v_pk_mov_b32 v[2:3], 0, 0
	s_cbranch_scc1 .LBB467_19
; %bb.16:
	v_pk_mov_b32 v[2:3], 0, 0
	v_pk_mov_b32 v[4:5], s[10:11], s[10:11] op_sel:[0,1]
	s_waitcnt vmcnt(0)
	v_mov_b32_e32 v6, s3
.LBB467_17:                             ; =>This Inner Loop Header: Depth=1
	v_sub_co_u32_e64 v8, s[0:1], v4, v2
	v_subb_co_u32_e64 v9, s[0:1], v5, v3, s[0:1]
	v_lshrrev_b64 v[10:11], 1, v[8:9]
	v_add_co_u32_e64 v7, s[0:1], v10, v2
	v_lshrrev_b64 v[8:9], 6, v[8:9]
	v_addc_co_u32_e64 v10, s[0:1], v11, v3, s[0:1]
	v_add_co_u32_e64 v8, s[0:1], v7, v8
	v_addc_co_u32_e64 v9, s[0:1], v10, v9, s[0:1]
	v_lshlrev_b64 v[10:11], 2, v[8:9]
	v_add_co_u32_e64 v10, s[0:1], s2, v10
	v_addc_co_u32_e64 v11, s[0:1], v6, v11, s[0:1]
	global_load_dword v7, v[10:11], off
	v_add_co_u32_e64 v10, s[0:1], 1, v8
	v_addc_co_u32_e64 v11, s[0:1], 0, v9, s[0:1]
	s_waitcnt vmcnt(0) lgkmcnt(0)
	v_cmp_lt_u32_e64 s[0:1], v7, v1
	v_cndmask_b32_e64 v5, v9, v5, s[0:1]
	v_cndmask_b32_e64 v4, v8, v4, s[0:1]
	;; [unrolled: 1-line block ×4, first 2 shown]
	v_cmp_ge_u64_e64 s[0:1], v[2:3], v[4:5]
	s_or_b64 s[6:7], s[0:1], s[6:7]
	s_andn2_b64 exec, exec, s[6:7]
	s_cbranch_execnz .LBB467_17
; %bb.18:
	s_or_b64 exec, exec, s[6:7]
.LBB467_19:
	v_cmp_ne_u64_e64 s[0:1], s[10:11], v[2:3]
	v_mov_b32_e32 v4, 0
	s_and_saveexec_b64 s[6:7], s[0:1]
	s_cbranch_execz .LBB467_21
; %bb.20:
	v_lshlrev_b64 v[2:3], 2, v[2:3]
	v_mov_b32_e32 v4, s3
	v_add_co_u32_e64 v2, s[0:1], s2, v2
	v_addc_co_u32_e64 v3, s[0:1], v4, v3, s[0:1]
	global_load_dword v2, v[2:3], off
	s_waitcnt vmcnt(0) lgkmcnt(0)
	v_cmp_le_u32_e64 s[0:1], v2, v1
	v_cndmask_b32_e64 v4, 0, 1, s[0:1]
.LBB467_21:
	s_or_b64 exec, exec, s[6:7]
	s_or_b64 exec, exec, s[4:5]
	s_and_saveexec_b64 s[0:1], vcc
	s_cbranch_execnz .LBB467_12
	s_branch .LBB467_13
	.section	.rodata,"a",@progbits
	.p2align	6, 0x0
	.amdhsa_kernel _ZN7rocprim17ROCPRIM_400000_NS6detail17trampoline_kernelINS0_14default_configENS1_29binary_search_config_selectorIjiEEZNS1_14transform_implILb0ES3_S5_N6thrust23THRUST_200600_302600_NS6detail15normal_iteratorINS8_10device_ptrIjEEEENSA_INSB_IiEEEEZNS1_13binary_searchIS3_S5_SD_SD_SF_NS1_16binary_search_opENS9_16wrapped_functionINS0_4lessIvEEbEEEE10hipError_tPvRmT1_T2_T3_mmT4_T5_P12ihipStream_tbEUlRKjE_EESM_SQ_SR_mSS_SV_bEUlT_E_NS1_11comp_targetILNS1_3genE4ELNS1_11target_archE910ELNS1_3gpuE8ELNS1_3repE0EEENS1_30default_config_static_selectorELNS0_4arch9wavefront6targetE1EEEvSP_
		.amdhsa_group_segment_fixed_size 0
		.amdhsa_private_segment_fixed_size 0
		.amdhsa_kernarg_size 312
		.amdhsa_user_sgpr_count 6
		.amdhsa_user_sgpr_private_segment_buffer 1
		.amdhsa_user_sgpr_dispatch_ptr 0
		.amdhsa_user_sgpr_queue_ptr 0
		.amdhsa_user_sgpr_kernarg_segment_ptr 1
		.amdhsa_user_sgpr_dispatch_id 0
		.amdhsa_user_sgpr_flat_scratch_init 0
		.amdhsa_user_sgpr_kernarg_preload_length 0
		.amdhsa_user_sgpr_kernarg_preload_offset 0
		.amdhsa_user_sgpr_private_segment_size 0
		.amdhsa_uses_dynamic_stack 0
		.amdhsa_system_sgpr_private_segment_wavefront_offset 0
		.amdhsa_system_sgpr_workgroup_id_x 1
		.amdhsa_system_sgpr_workgroup_id_y 0
		.amdhsa_system_sgpr_workgroup_id_z 0
		.amdhsa_system_sgpr_workgroup_info 0
		.amdhsa_system_vgpr_workitem_id 0
		.amdhsa_next_free_vgpr 13
		.amdhsa_next_free_sgpr 16
		.amdhsa_accum_offset 16
		.amdhsa_reserve_vcc 1
		.amdhsa_reserve_flat_scratch 0
		.amdhsa_float_round_mode_32 0
		.amdhsa_float_round_mode_16_64 0
		.amdhsa_float_denorm_mode_32 3
		.amdhsa_float_denorm_mode_16_64 3
		.amdhsa_dx10_clamp 1
		.amdhsa_ieee_mode 1
		.amdhsa_fp16_overflow 0
		.amdhsa_tg_split 0
		.amdhsa_exception_fp_ieee_invalid_op 0
		.amdhsa_exception_fp_denorm_src 0
		.amdhsa_exception_fp_ieee_div_zero 0
		.amdhsa_exception_fp_ieee_overflow 0
		.amdhsa_exception_fp_ieee_underflow 0
		.amdhsa_exception_fp_ieee_inexact 0
		.amdhsa_exception_int_div_zero 0
	.end_amdhsa_kernel
	.section	.text._ZN7rocprim17ROCPRIM_400000_NS6detail17trampoline_kernelINS0_14default_configENS1_29binary_search_config_selectorIjiEEZNS1_14transform_implILb0ES3_S5_N6thrust23THRUST_200600_302600_NS6detail15normal_iteratorINS8_10device_ptrIjEEEENSA_INSB_IiEEEEZNS1_13binary_searchIS3_S5_SD_SD_SF_NS1_16binary_search_opENS9_16wrapped_functionINS0_4lessIvEEbEEEE10hipError_tPvRmT1_T2_T3_mmT4_T5_P12ihipStream_tbEUlRKjE_EESM_SQ_SR_mSS_SV_bEUlT_E_NS1_11comp_targetILNS1_3genE4ELNS1_11target_archE910ELNS1_3gpuE8ELNS1_3repE0EEENS1_30default_config_static_selectorELNS0_4arch9wavefront6targetE1EEEvSP_,"axG",@progbits,_ZN7rocprim17ROCPRIM_400000_NS6detail17trampoline_kernelINS0_14default_configENS1_29binary_search_config_selectorIjiEEZNS1_14transform_implILb0ES3_S5_N6thrust23THRUST_200600_302600_NS6detail15normal_iteratorINS8_10device_ptrIjEEEENSA_INSB_IiEEEEZNS1_13binary_searchIS3_S5_SD_SD_SF_NS1_16binary_search_opENS9_16wrapped_functionINS0_4lessIvEEbEEEE10hipError_tPvRmT1_T2_T3_mmT4_T5_P12ihipStream_tbEUlRKjE_EESM_SQ_SR_mSS_SV_bEUlT_E_NS1_11comp_targetILNS1_3genE4ELNS1_11target_archE910ELNS1_3gpuE8ELNS1_3repE0EEENS1_30default_config_static_selectorELNS0_4arch9wavefront6targetE1EEEvSP_,comdat
.Lfunc_end467:
	.size	_ZN7rocprim17ROCPRIM_400000_NS6detail17trampoline_kernelINS0_14default_configENS1_29binary_search_config_selectorIjiEEZNS1_14transform_implILb0ES3_S5_N6thrust23THRUST_200600_302600_NS6detail15normal_iteratorINS8_10device_ptrIjEEEENSA_INSB_IiEEEEZNS1_13binary_searchIS3_S5_SD_SD_SF_NS1_16binary_search_opENS9_16wrapped_functionINS0_4lessIvEEbEEEE10hipError_tPvRmT1_T2_T3_mmT4_T5_P12ihipStream_tbEUlRKjE_EESM_SQ_SR_mSS_SV_bEUlT_E_NS1_11comp_targetILNS1_3genE4ELNS1_11target_archE910ELNS1_3gpuE8ELNS1_3repE0EEENS1_30default_config_static_selectorELNS0_4arch9wavefront6targetE1EEEvSP_, .Lfunc_end467-_ZN7rocprim17ROCPRIM_400000_NS6detail17trampoline_kernelINS0_14default_configENS1_29binary_search_config_selectorIjiEEZNS1_14transform_implILb0ES3_S5_N6thrust23THRUST_200600_302600_NS6detail15normal_iteratorINS8_10device_ptrIjEEEENSA_INSB_IiEEEEZNS1_13binary_searchIS3_S5_SD_SD_SF_NS1_16binary_search_opENS9_16wrapped_functionINS0_4lessIvEEbEEEE10hipError_tPvRmT1_T2_T3_mmT4_T5_P12ihipStream_tbEUlRKjE_EESM_SQ_SR_mSS_SV_bEUlT_E_NS1_11comp_targetILNS1_3genE4ELNS1_11target_archE910ELNS1_3gpuE8ELNS1_3repE0EEENS1_30default_config_static_selectorELNS0_4arch9wavefront6targetE1EEEvSP_
                                        ; -- End function
	.section	.AMDGPU.csdata,"",@progbits
; Kernel info:
; codeLenInByte = 848
; NumSgprs: 20
; NumVgprs: 13
; NumAgprs: 0
; TotalNumVgprs: 13
; ScratchSize: 0
; MemoryBound: 0
; FloatMode: 240
; IeeeMode: 1
; LDSByteSize: 0 bytes/workgroup (compile time only)
; SGPRBlocks: 2
; VGPRBlocks: 1
; NumSGPRsForWavesPerEU: 20
; NumVGPRsForWavesPerEU: 13
; AccumOffset: 16
; Occupancy: 8
; WaveLimiterHint : 0
; COMPUTE_PGM_RSRC2:SCRATCH_EN: 0
; COMPUTE_PGM_RSRC2:USER_SGPR: 6
; COMPUTE_PGM_RSRC2:TRAP_HANDLER: 0
; COMPUTE_PGM_RSRC2:TGID_X_EN: 1
; COMPUTE_PGM_RSRC2:TGID_Y_EN: 0
; COMPUTE_PGM_RSRC2:TGID_Z_EN: 0
; COMPUTE_PGM_RSRC2:TIDIG_COMP_CNT: 0
; COMPUTE_PGM_RSRC3_GFX90A:ACCUM_OFFSET: 3
; COMPUTE_PGM_RSRC3_GFX90A:TG_SPLIT: 0
	.section	.text._ZN7rocprim17ROCPRIM_400000_NS6detail17trampoline_kernelINS0_14default_configENS1_29binary_search_config_selectorIjiEEZNS1_14transform_implILb0ES3_S5_N6thrust23THRUST_200600_302600_NS6detail15normal_iteratorINS8_10device_ptrIjEEEENSA_INSB_IiEEEEZNS1_13binary_searchIS3_S5_SD_SD_SF_NS1_16binary_search_opENS9_16wrapped_functionINS0_4lessIvEEbEEEE10hipError_tPvRmT1_T2_T3_mmT4_T5_P12ihipStream_tbEUlRKjE_EESM_SQ_SR_mSS_SV_bEUlT_E_NS1_11comp_targetILNS1_3genE3ELNS1_11target_archE908ELNS1_3gpuE7ELNS1_3repE0EEENS1_30default_config_static_selectorELNS0_4arch9wavefront6targetE1EEEvSP_,"axG",@progbits,_ZN7rocprim17ROCPRIM_400000_NS6detail17trampoline_kernelINS0_14default_configENS1_29binary_search_config_selectorIjiEEZNS1_14transform_implILb0ES3_S5_N6thrust23THRUST_200600_302600_NS6detail15normal_iteratorINS8_10device_ptrIjEEEENSA_INSB_IiEEEEZNS1_13binary_searchIS3_S5_SD_SD_SF_NS1_16binary_search_opENS9_16wrapped_functionINS0_4lessIvEEbEEEE10hipError_tPvRmT1_T2_T3_mmT4_T5_P12ihipStream_tbEUlRKjE_EESM_SQ_SR_mSS_SV_bEUlT_E_NS1_11comp_targetILNS1_3genE3ELNS1_11target_archE908ELNS1_3gpuE7ELNS1_3repE0EEENS1_30default_config_static_selectorELNS0_4arch9wavefront6targetE1EEEvSP_,comdat
	.protected	_ZN7rocprim17ROCPRIM_400000_NS6detail17trampoline_kernelINS0_14default_configENS1_29binary_search_config_selectorIjiEEZNS1_14transform_implILb0ES3_S5_N6thrust23THRUST_200600_302600_NS6detail15normal_iteratorINS8_10device_ptrIjEEEENSA_INSB_IiEEEEZNS1_13binary_searchIS3_S5_SD_SD_SF_NS1_16binary_search_opENS9_16wrapped_functionINS0_4lessIvEEbEEEE10hipError_tPvRmT1_T2_T3_mmT4_T5_P12ihipStream_tbEUlRKjE_EESM_SQ_SR_mSS_SV_bEUlT_E_NS1_11comp_targetILNS1_3genE3ELNS1_11target_archE908ELNS1_3gpuE7ELNS1_3repE0EEENS1_30default_config_static_selectorELNS0_4arch9wavefront6targetE1EEEvSP_ ; -- Begin function _ZN7rocprim17ROCPRIM_400000_NS6detail17trampoline_kernelINS0_14default_configENS1_29binary_search_config_selectorIjiEEZNS1_14transform_implILb0ES3_S5_N6thrust23THRUST_200600_302600_NS6detail15normal_iteratorINS8_10device_ptrIjEEEENSA_INSB_IiEEEEZNS1_13binary_searchIS3_S5_SD_SD_SF_NS1_16binary_search_opENS9_16wrapped_functionINS0_4lessIvEEbEEEE10hipError_tPvRmT1_T2_T3_mmT4_T5_P12ihipStream_tbEUlRKjE_EESM_SQ_SR_mSS_SV_bEUlT_E_NS1_11comp_targetILNS1_3genE3ELNS1_11target_archE908ELNS1_3gpuE7ELNS1_3repE0EEENS1_30default_config_static_selectorELNS0_4arch9wavefront6targetE1EEEvSP_
	.globl	_ZN7rocprim17ROCPRIM_400000_NS6detail17trampoline_kernelINS0_14default_configENS1_29binary_search_config_selectorIjiEEZNS1_14transform_implILb0ES3_S5_N6thrust23THRUST_200600_302600_NS6detail15normal_iteratorINS8_10device_ptrIjEEEENSA_INSB_IiEEEEZNS1_13binary_searchIS3_S5_SD_SD_SF_NS1_16binary_search_opENS9_16wrapped_functionINS0_4lessIvEEbEEEE10hipError_tPvRmT1_T2_T3_mmT4_T5_P12ihipStream_tbEUlRKjE_EESM_SQ_SR_mSS_SV_bEUlT_E_NS1_11comp_targetILNS1_3genE3ELNS1_11target_archE908ELNS1_3gpuE7ELNS1_3repE0EEENS1_30default_config_static_selectorELNS0_4arch9wavefront6targetE1EEEvSP_
	.p2align	8
	.type	_ZN7rocprim17ROCPRIM_400000_NS6detail17trampoline_kernelINS0_14default_configENS1_29binary_search_config_selectorIjiEEZNS1_14transform_implILb0ES3_S5_N6thrust23THRUST_200600_302600_NS6detail15normal_iteratorINS8_10device_ptrIjEEEENSA_INSB_IiEEEEZNS1_13binary_searchIS3_S5_SD_SD_SF_NS1_16binary_search_opENS9_16wrapped_functionINS0_4lessIvEEbEEEE10hipError_tPvRmT1_T2_T3_mmT4_T5_P12ihipStream_tbEUlRKjE_EESM_SQ_SR_mSS_SV_bEUlT_E_NS1_11comp_targetILNS1_3genE3ELNS1_11target_archE908ELNS1_3gpuE7ELNS1_3repE0EEENS1_30default_config_static_selectorELNS0_4arch9wavefront6targetE1EEEvSP_,@function
_ZN7rocprim17ROCPRIM_400000_NS6detail17trampoline_kernelINS0_14default_configENS1_29binary_search_config_selectorIjiEEZNS1_14transform_implILb0ES3_S5_N6thrust23THRUST_200600_302600_NS6detail15normal_iteratorINS8_10device_ptrIjEEEENSA_INSB_IiEEEEZNS1_13binary_searchIS3_S5_SD_SD_SF_NS1_16binary_search_opENS9_16wrapped_functionINS0_4lessIvEEbEEEE10hipError_tPvRmT1_T2_T3_mmT4_T5_P12ihipStream_tbEUlRKjE_EESM_SQ_SR_mSS_SV_bEUlT_E_NS1_11comp_targetILNS1_3genE3ELNS1_11target_archE908ELNS1_3gpuE7ELNS1_3repE0EEENS1_30default_config_static_selectorELNS0_4arch9wavefront6targetE1EEEvSP_: ; @_ZN7rocprim17ROCPRIM_400000_NS6detail17trampoline_kernelINS0_14default_configENS1_29binary_search_config_selectorIjiEEZNS1_14transform_implILb0ES3_S5_N6thrust23THRUST_200600_302600_NS6detail15normal_iteratorINS8_10device_ptrIjEEEENSA_INSB_IiEEEEZNS1_13binary_searchIS3_S5_SD_SD_SF_NS1_16binary_search_opENS9_16wrapped_functionINS0_4lessIvEEbEEEE10hipError_tPvRmT1_T2_T3_mmT4_T5_P12ihipStream_tbEUlRKjE_EESM_SQ_SR_mSS_SV_bEUlT_E_NS1_11comp_targetILNS1_3genE3ELNS1_11target_archE908ELNS1_3gpuE7ELNS1_3repE0EEENS1_30default_config_static_selectorELNS0_4arch9wavefront6targetE1EEEvSP_
; %bb.0:
	.section	.rodata,"a",@progbits
	.p2align	6, 0x0
	.amdhsa_kernel _ZN7rocprim17ROCPRIM_400000_NS6detail17trampoline_kernelINS0_14default_configENS1_29binary_search_config_selectorIjiEEZNS1_14transform_implILb0ES3_S5_N6thrust23THRUST_200600_302600_NS6detail15normal_iteratorINS8_10device_ptrIjEEEENSA_INSB_IiEEEEZNS1_13binary_searchIS3_S5_SD_SD_SF_NS1_16binary_search_opENS9_16wrapped_functionINS0_4lessIvEEbEEEE10hipError_tPvRmT1_T2_T3_mmT4_T5_P12ihipStream_tbEUlRKjE_EESM_SQ_SR_mSS_SV_bEUlT_E_NS1_11comp_targetILNS1_3genE3ELNS1_11target_archE908ELNS1_3gpuE7ELNS1_3repE0EEENS1_30default_config_static_selectorELNS0_4arch9wavefront6targetE1EEEvSP_
		.amdhsa_group_segment_fixed_size 0
		.amdhsa_private_segment_fixed_size 0
		.amdhsa_kernarg_size 56
		.amdhsa_user_sgpr_count 6
		.amdhsa_user_sgpr_private_segment_buffer 1
		.amdhsa_user_sgpr_dispatch_ptr 0
		.amdhsa_user_sgpr_queue_ptr 0
		.amdhsa_user_sgpr_kernarg_segment_ptr 1
		.amdhsa_user_sgpr_dispatch_id 0
		.amdhsa_user_sgpr_flat_scratch_init 0
		.amdhsa_user_sgpr_kernarg_preload_length 0
		.amdhsa_user_sgpr_kernarg_preload_offset 0
		.amdhsa_user_sgpr_private_segment_size 0
		.amdhsa_uses_dynamic_stack 0
		.amdhsa_system_sgpr_private_segment_wavefront_offset 0
		.amdhsa_system_sgpr_workgroup_id_x 1
		.amdhsa_system_sgpr_workgroup_id_y 0
		.amdhsa_system_sgpr_workgroup_id_z 0
		.amdhsa_system_sgpr_workgroup_info 0
		.amdhsa_system_vgpr_workitem_id 0
		.amdhsa_next_free_vgpr 1
		.amdhsa_next_free_sgpr 0
		.amdhsa_accum_offset 4
		.amdhsa_reserve_vcc 0
		.amdhsa_reserve_flat_scratch 0
		.amdhsa_float_round_mode_32 0
		.amdhsa_float_round_mode_16_64 0
		.amdhsa_float_denorm_mode_32 3
		.amdhsa_float_denorm_mode_16_64 3
		.amdhsa_dx10_clamp 1
		.amdhsa_ieee_mode 1
		.amdhsa_fp16_overflow 0
		.amdhsa_tg_split 0
		.amdhsa_exception_fp_ieee_invalid_op 0
		.amdhsa_exception_fp_denorm_src 0
		.amdhsa_exception_fp_ieee_div_zero 0
		.amdhsa_exception_fp_ieee_overflow 0
		.amdhsa_exception_fp_ieee_underflow 0
		.amdhsa_exception_fp_ieee_inexact 0
		.amdhsa_exception_int_div_zero 0
	.end_amdhsa_kernel
	.section	.text._ZN7rocprim17ROCPRIM_400000_NS6detail17trampoline_kernelINS0_14default_configENS1_29binary_search_config_selectorIjiEEZNS1_14transform_implILb0ES3_S5_N6thrust23THRUST_200600_302600_NS6detail15normal_iteratorINS8_10device_ptrIjEEEENSA_INSB_IiEEEEZNS1_13binary_searchIS3_S5_SD_SD_SF_NS1_16binary_search_opENS9_16wrapped_functionINS0_4lessIvEEbEEEE10hipError_tPvRmT1_T2_T3_mmT4_T5_P12ihipStream_tbEUlRKjE_EESM_SQ_SR_mSS_SV_bEUlT_E_NS1_11comp_targetILNS1_3genE3ELNS1_11target_archE908ELNS1_3gpuE7ELNS1_3repE0EEENS1_30default_config_static_selectorELNS0_4arch9wavefront6targetE1EEEvSP_,"axG",@progbits,_ZN7rocprim17ROCPRIM_400000_NS6detail17trampoline_kernelINS0_14default_configENS1_29binary_search_config_selectorIjiEEZNS1_14transform_implILb0ES3_S5_N6thrust23THRUST_200600_302600_NS6detail15normal_iteratorINS8_10device_ptrIjEEEENSA_INSB_IiEEEEZNS1_13binary_searchIS3_S5_SD_SD_SF_NS1_16binary_search_opENS9_16wrapped_functionINS0_4lessIvEEbEEEE10hipError_tPvRmT1_T2_T3_mmT4_T5_P12ihipStream_tbEUlRKjE_EESM_SQ_SR_mSS_SV_bEUlT_E_NS1_11comp_targetILNS1_3genE3ELNS1_11target_archE908ELNS1_3gpuE7ELNS1_3repE0EEENS1_30default_config_static_selectorELNS0_4arch9wavefront6targetE1EEEvSP_,comdat
.Lfunc_end468:
	.size	_ZN7rocprim17ROCPRIM_400000_NS6detail17trampoline_kernelINS0_14default_configENS1_29binary_search_config_selectorIjiEEZNS1_14transform_implILb0ES3_S5_N6thrust23THRUST_200600_302600_NS6detail15normal_iteratorINS8_10device_ptrIjEEEENSA_INSB_IiEEEEZNS1_13binary_searchIS3_S5_SD_SD_SF_NS1_16binary_search_opENS9_16wrapped_functionINS0_4lessIvEEbEEEE10hipError_tPvRmT1_T2_T3_mmT4_T5_P12ihipStream_tbEUlRKjE_EESM_SQ_SR_mSS_SV_bEUlT_E_NS1_11comp_targetILNS1_3genE3ELNS1_11target_archE908ELNS1_3gpuE7ELNS1_3repE0EEENS1_30default_config_static_selectorELNS0_4arch9wavefront6targetE1EEEvSP_, .Lfunc_end468-_ZN7rocprim17ROCPRIM_400000_NS6detail17trampoline_kernelINS0_14default_configENS1_29binary_search_config_selectorIjiEEZNS1_14transform_implILb0ES3_S5_N6thrust23THRUST_200600_302600_NS6detail15normal_iteratorINS8_10device_ptrIjEEEENSA_INSB_IiEEEEZNS1_13binary_searchIS3_S5_SD_SD_SF_NS1_16binary_search_opENS9_16wrapped_functionINS0_4lessIvEEbEEEE10hipError_tPvRmT1_T2_T3_mmT4_T5_P12ihipStream_tbEUlRKjE_EESM_SQ_SR_mSS_SV_bEUlT_E_NS1_11comp_targetILNS1_3genE3ELNS1_11target_archE908ELNS1_3gpuE7ELNS1_3repE0EEENS1_30default_config_static_selectorELNS0_4arch9wavefront6targetE1EEEvSP_
                                        ; -- End function
	.section	.AMDGPU.csdata,"",@progbits
; Kernel info:
; codeLenInByte = 0
; NumSgprs: 4
; NumVgprs: 0
; NumAgprs: 0
; TotalNumVgprs: 0
; ScratchSize: 0
; MemoryBound: 0
; FloatMode: 240
; IeeeMode: 1
; LDSByteSize: 0 bytes/workgroup (compile time only)
; SGPRBlocks: 0
; VGPRBlocks: 0
; NumSGPRsForWavesPerEU: 4
; NumVGPRsForWavesPerEU: 1
; AccumOffset: 4
; Occupancy: 8
; WaveLimiterHint : 0
; COMPUTE_PGM_RSRC2:SCRATCH_EN: 0
; COMPUTE_PGM_RSRC2:USER_SGPR: 6
; COMPUTE_PGM_RSRC2:TRAP_HANDLER: 0
; COMPUTE_PGM_RSRC2:TGID_X_EN: 1
; COMPUTE_PGM_RSRC2:TGID_Y_EN: 0
; COMPUTE_PGM_RSRC2:TGID_Z_EN: 0
; COMPUTE_PGM_RSRC2:TIDIG_COMP_CNT: 0
; COMPUTE_PGM_RSRC3_GFX90A:ACCUM_OFFSET: 0
; COMPUTE_PGM_RSRC3_GFX90A:TG_SPLIT: 0
	.section	.text._ZN7rocprim17ROCPRIM_400000_NS6detail17trampoline_kernelINS0_14default_configENS1_29binary_search_config_selectorIjiEEZNS1_14transform_implILb0ES3_S5_N6thrust23THRUST_200600_302600_NS6detail15normal_iteratorINS8_10device_ptrIjEEEENSA_INSB_IiEEEEZNS1_13binary_searchIS3_S5_SD_SD_SF_NS1_16binary_search_opENS9_16wrapped_functionINS0_4lessIvEEbEEEE10hipError_tPvRmT1_T2_T3_mmT4_T5_P12ihipStream_tbEUlRKjE_EESM_SQ_SR_mSS_SV_bEUlT_E_NS1_11comp_targetILNS1_3genE2ELNS1_11target_archE906ELNS1_3gpuE6ELNS1_3repE0EEENS1_30default_config_static_selectorELNS0_4arch9wavefront6targetE1EEEvSP_,"axG",@progbits,_ZN7rocprim17ROCPRIM_400000_NS6detail17trampoline_kernelINS0_14default_configENS1_29binary_search_config_selectorIjiEEZNS1_14transform_implILb0ES3_S5_N6thrust23THRUST_200600_302600_NS6detail15normal_iteratorINS8_10device_ptrIjEEEENSA_INSB_IiEEEEZNS1_13binary_searchIS3_S5_SD_SD_SF_NS1_16binary_search_opENS9_16wrapped_functionINS0_4lessIvEEbEEEE10hipError_tPvRmT1_T2_T3_mmT4_T5_P12ihipStream_tbEUlRKjE_EESM_SQ_SR_mSS_SV_bEUlT_E_NS1_11comp_targetILNS1_3genE2ELNS1_11target_archE906ELNS1_3gpuE6ELNS1_3repE0EEENS1_30default_config_static_selectorELNS0_4arch9wavefront6targetE1EEEvSP_,comdat
	.protected	_ZN7rocprim17ROCPRIM_400000_NS6detail17trampoline_kernelINS0_14default_configENS1_29binary_search_config_selectorIjiEEZNS1_14transform_implILb0ES3_S5_N6thrust23THRUST_200600_302600_NS6detail15normal_iteratorINS8_10device_ptrIjEEEENSA_INSB_IiEEEEZNS1_13binary_searchIS3_S5_SD_SD_SF_NS1_16binary_search_opENS9_16wrapped_functionINS0_4lessIvEEbEEEE10hipError_tPvRmT1_T2_T3_mmT4_T5_P12ihipStream_tbEUlRKjE_EESM_SQ_SR_mSS_SV_bEUlT_E_NS1_11comp_targetILNS1_3genE2ELNS1_11target_archE906ELNS1_3gpuE6ELNS1_3repE0EEENS1_30default_config_static_selectorELNS0_4arch9wavefront6targetE1EEEvSP_ ; -- Begin function _ZN7rocprim17ROCPRIM_400000_NS6detail17trampoline_kernelINS0_14default_configENS1_29binary_search_config_selectorIjiEEZNS1_14transform_implILb0ES3_S5_N6thrust23THRUST_200600_302600_NS6detail15normal_iteratorINS8_10device_ptrIjEEEENSA_INSB_IiEEEEZNS1_13binary_searchIS3_S5_SD_SD_SF_NS1_16binary_search_opENS9_16wrapped_functionINS0_4lessIvEEbEEEE10hipError_tPvRmT1_T2_T3_mmT4_T5_P12ihipStream_tbEUlRKjE_EESM_SQ_SR_mSS_SV_bEUlT_E_NS1_11comp_targetILNS1_3genE2ELNS1_11target_archE906ELNS1_3gpuE6ELNS1_3repE0EEENS1_30default_config_static_selectorELNS0_4arch9wavefront6targetE1EEEvSP_
	.globl	_ZN7rocprim17ROCPRIM_400000_NS6detail17trampoline_kernelINS0_14default_configENS1_29binary_search_config_selectorIjiEEZNS1_14transform_implILb0ES3_S5_N6thrust23THRUST_200600_302600_NS6detail15normal_iteratorINS8_10device_ptrIjEEEENSA_INSB_IiEEEEZNS1_13binary_searchIS3_S5_SD_SD_SF_NS1_16binary_search_opENS9_16wrapped_functionINS0_4lessIvEEbEEEE10hipError_tPvRmT1_T2_T3_mmT4_T5_P12ihipStream_tbEUlRKjE_EESM_SQ_SR_mSS_SV_bEUlT_E_NS1_11comp_targetILNS1_3genE2ELNS1_11target_archE906ELNS1_3gpuE6ELNS1_3repE0EEENS1_30default_config_static_selectorELNS0_4arch9wavefront6targetE1EEEvSP_
	.p2align	8
	.type	_ZN7rocprim17ROCPRIM_400000_NS6detail17trampoline_kernelINS0_14default_configENS1_29binary_search_config_selectorIjiEEZNS1_14transform_implILb0ES3_S5_N6thrust23THRUST_200600_302600_NS6detail15normal_iteratorINS8_10device_ptrIjEEEENSA_INSB_IiEEEEZNS1_13binary_searchIS3_S5_SD_SD_SF_NS1_16binary_search_opENS9_16wrapped_functionINS0_4lessIvEEbEEEE10hipError_tPvRmT1_T2_T3_mmT4_T5_P12ihipStream_tbEUlRKjE_EESM_SQ_SR_mSS_SV_bEUlT_E_NS1_11comp_targetILNS1_3genE2ELNS1_11target_archE906ELNS1_3gpuE6ELNS1_3repE0EEENS1_30default_config_static_selectorELNS0_4arch9wavefront6targetE1EEEvSP_,@function
_ZN7rocprim17ROCPRIM_400000_NS6detail17trampoline_kernelINS0_14default_configENS1_29binary_search_config_selectorIjiEEZNS1_14transform_implILb0ES3_S5_N6thrust23THRUST_200600_302600_NS6detail15normal_iteratorINS8_10device_ptrIjEEEENSA_INSB_IiEEEEZNS1_13binary_searchIS3_S5_SD_SD_SF_NS1_16binary_search_opENS9_16wrapped_functionINS0_4lessIvEEbEEEE10hipError_tPvRmT1_T2_T3_mmT4_T5_P12ihipStream_tbEUlRKjE_EESM_SQ_SR_mSS_SV_bEUlT_E_NS1_11comp_targetILNS1_3genE2ELNS1_11target_archE906ELNS1_3gpuE6ELNS1_3repE0EEENS1_30default_config_static_selectorELNS0_4arch9wavefront6targetE1EEEvSP_: ; @_ZN7rocprim17ROCPRIM_400000_NS6detail17trampoline_kernelINS0_14default_configENS1_29binary_search_config_selectorIjiEEZNS1_14transform_implILb0ES3_S5_N6thrust23THRUST_200600_302600_NS6detail15normal_iteratorINS8_10device_ptrIjEEEENSA_INSB_IiEEEEZNS1_13binary_searchIS3_S5_SD_SD_SF_NS1_16binary_search_opENS9_16wrapped_functionINS0_4lessIvEEbEEEE10hipError_tPvRmT1_T2_T3_mmT4_T5_P12ihipStream_tbEUlRKjE_EESM_SQ_SR_mSS_SV_bEUlT_E_NS1_11comp_targetILNS1_3genE2ELNS1_11target_archE906ELNS1_3gpuE6ELNS1_3repE0EEENS1_30default_config_static_selectorELNS0_4arch9wavefront6targetE1EEEvSP_
; %bb.0:
	.section	.rodata,"a",@progbits
	.p2align	6, 0x0
	.amdhsa_kernel _ZN7rocprim17ROCPRIM_400000_NS6detail17trampoline_kernelINS0_14default_configENS1_29binary_search_config_selectorIjiEEZNS1_14transform_implILb0ES3_S5_N6thrust23THRUST_200600_302600_NS6detail15normal_iteratorINS8_10device_ptrIjEEEENSA_INSB_IiEEEEZNS1_13binary_searchIS3_S5_SD_SD_SF_NS1_16binary_search_opENS9_16wrapped_functionINS0_4lessIvEEbEEEE10hipError_tPvRmT1_T2_T3_mmT4_T5_P12ihipStream_tbEUlRKjE_EESM_SQ_SR_mSS_SV_bEUlT_E_NS1_11comp_targetILNS1_3genE2ELNS1_11target_archE906ELNS1_3gpuE6ELNS1_3repE0EEENS1_30default_config_static_selectorELNS0_4arch9wavefront6targetE1EEEvSP_
		.amdhsa_group_segment_fixed_size 0
		.amdhsa_private_segment_fixed_size 0
		.amdhsa_kernarg_size 56
		.amdhsa_user_sgpr_count 6
		.amdhsa_user_sgpr_private_segment_buffer 1
		.amdhsa_user_sgpr_dispatch_ptr 0
		.amdhsa_user_sgpr_queue_ptr 0
		.amdhsa_user_sgpr_kernarg_segment_ptr 1
		.amdhsa_user_sgpr_dispatch_id 0
		.amdhsa_user_sgpr_flat_scratch_init 0
		.amdhsa_user_sgpr_kernarg_preload_length 0
		.amdhsa_user_sgpr_kernarg_preload_offset 0
		.amdhsa_user_sgpr_private_segment_size 0
		.amdhsa_uses_dynamic_stack 0
		.amdhsa_system_sgpr_private_segment_wavefront_offset 0
		.amdhsa_system_sgpr_workgroup_id_x 1
		.amdhsa_system_sgpr_workgroup_id_y 0
		.amdhsa_system_sgpr_workgroup_id_z 0
		.amdhsa_system_sgpr_workgroup_info 0
		.amdhsa_system_vgpr_workitem_id 0
		.amdhsa_next_free_vgpr 1
		.amdhsa_next_free_sgpr 0
		.amdhsa_accum_offset 4
		.amdhsa_reserve_vcc 0
		.amdhsa_reserve_flat_scratch 0
		.amdhsa_float_round_mode_32 0
		.amdhsa_float_round_mode_16_64 0
		.amdhsa_float_denorm_mode_32 3
		.amdhsa_float_denorm_mode_16_64 3
		.amdhsa_dx10_clamp 1
		.amdhsa_ieee_mode 1
		.amdhsa_fp16_overflow 0
		.amdhsa_tg_split 0
		.amdhsa_exception_fp_ieee_invalid_op 0
		.amdhsa_exception_fp_denorm_src 0
		.amdhsa_exception_fp_ieee_div_zero 0
		.amdhsa_exception_fp_ieee_overflow 0
		.amdhsa_exception_fp_ieee_underflow 0
		.amdhsa_exception_fp_ieee_inexact 0
		.amdhsa_exception_int_div_zero 0
	.end_amdhsa_kernel
	.section	.text._ZN7rocprim17ROCPRIM_400000_NS6detail17trampoline_kernelINS0_14default_configENS1_29binary_search_config_selectorIjiEEZNS1_14transform_implILb0ES3_S5_N6thrust23THRUST_200600_302600_NS6detail15normal_iteratorINS8_10device_ptrIjEEEENSA_INSB_IiEEEEZNS1_13binary_searchIS3_S5_SD_SD_SF_NS1_16binary_search_opENS9_16wrapped_functionINS0_4lessIvEEbEEEE10hipError_tPvRmT1_T2_T3_mmT4_T5_P12ihipStream_tbEUlRKjE_EESM_SQ_SR_mSS_SV_bEUlT_E_NS1_11comp_targetILNS1_3genE2ELNS1_11target_archE906ELNS1_3gpuE6ELNS1_3repE0EEENS1_30default_config_static_selectorELNS0_4arch9wavefront6targetE1EEEvSP_,"axG",@progbits,_ZN7rocprim17ROCPRIM_400000_NS6detail17trampoline_kernelINS0_14default_configENS1_29binary_search_config_selectorIjiEEZNS1_14transform_implILb0ES3_S5_N6thrust23THRUST_200600_302600_NS6detail15normal_iteratorINS8_10device_ptrIjEEEENSA_INSB_IiEEEEZNS1_13binary_searchIS3_S5_SD_SD_SF_NS1_16binary_search_opENS9_16wrapped_functionINS0_4lessIvEEbEEEE10hipError_tPvRmT1_T2_T3_mmT4_T5_P12ihipStream_tbEUlRKjE_EESM_SQ_SR_mSS_SV_bEUlT_E_NS1_11comp_targetILNS1_3genE2ELNS1_11target_archE906ELNS1_3gpuE6ELNS1_3repE0EEENS1_30default_config_static_selectorELNS0_4arch9wavefront6targetE1EEEvSP_,comdat
.Lfunc_end469:
	.size	_ZN7rocprim17ROCPRIM_400000_NS6detail17trampoline_kernelINS0_14default_configENS1_29binary_search_config_selectorIjiEEZNS1_14transform_implILb0ES3_S5_N6thrust23THRUST_200600_302600_NS6detail15normal_iteratorINS8_10device_ptrIjEEEENSA_INSB_IiEEEEZNS1_13binary_searchIS3_S5_SD_SD_SF_NS1_16binary_search_opENS9_16wrapped_functionINS0_4lessIvEEbEEEE10hipError_tPvRmT1_T2_T3_mmT4_T5_P12ihipStream_tbEUlRKjE_EESM_SQ_SR_mSS_SV_bEUlT_E_NS1_11comp_targetILNS1_3genE2ELNS1_11target_archE906ELNS1_3gpuE6ELNS1_3repE0EEENS1_30default_config_static_selectorELNS0_4arch9wavefront6targetE1EEEvSP_, .Lfunc_end469-_ZN7rocprim17ROCPRIM_400000_NS6detail17trampoline_kernelINS0_14default_configENS1_29binary_search_config_selectorIjiEEZNS1_14transform_implILb0ES3_S5_N6thrust23THRUST_200600_302600_NS6detail15normal_iteratorINS8_10device_ptrIjEEEENSA_INSB_IiEEEEZNS1_13binary_searchIS3_S5_SD_SD_SF_NS1_16binary_search_opENS9_16wrapped_functionINS0_4lessIvEEbEEEE10hipError_tPvRmT1_T2_T3_mmT4_T5_P12ihipStream_tbEUlRKjE_EESM_SQ_SR_mSS_SV_bEUlT_E_NS1_11comp_targetILNS1_3genE2ELNS1_11target_archE906ELNS1_3gpuE6ELNS1_3repE0EEENS1_30default_config_static_selectorELNS0_4arch9wavefront6targetE1EEEvSP_
                                        ; -- End function
	.section	.AMDGPU.csdata,"",@progbits
; Kernel info:
; codeLenInByte = 0
; NumSgprs: 4
; NumVgprs: 0
; NumAgprs: 0
; TotalNumVgprs: 0
; ScratchSize: 0
; MemoryBound: 0
; FloatMode: 240
; IeeeMode: 1
; LDSByteSize: 0 bytes/workgroup (compile time only)
; SGPRBlocks: 0
; VGPRBlocks: 0
; NumSGPRsForWavesPerEU: 4
; NumVGPRsForWavesPerEU: 1
; AccumOffset: 4
; Occupancy: 8
; WaveLimiterHint : 0
; COMPUTE_PGM_RSRC2:SCRATCH_EN: 0
; COMPUTE_PGM_RSRC2:USER_SGPR: 6
; COMPUTE_PGM_RSRC2:TRAP_HANDLER: 0
; COMPUTE_PGM_RSRC2:TGID_X_EN: 1
; COMPUTE_PGM_RSRC2:TGID_Y_EN: 0
; COMPUTE_PGM_RSRC2:TGID_Z_EN: 0
; COMPUTE_PGM_RSRC2:TIDIG_COMP_CNT: 0
; COMPUTE_PGM_RSRC3_GFX90A:ACCUM_OFFSET: 0
; COMPUTE_PGM_RSRC3_GFX90A:TG_SPLIT: 0
	.section	.text._ZN7rocprim17ROCPRIM_400000_NS6detail17trampoline_kernelINS0_14default_configENS1_29binary_search_config_selectorIjiEEZNS1_14transform_implILb0ES3_S5_N6thrust23THRUST_200600_302600_NS6detail15normal_iteratorINS8_10device_ptrIjEEEENSA_INSB_IiEEEEZNS1_13binary_searchIS3_S5_SD_SD_SF_NS1_16binary_search_opENS9_16wrapped_functionINS0_4lessIvEEbEEEE10hipError_tPvRmT1_T2_T3_mmT4_T5_P12ihipStream_tbEUlRKjE_EESM_SQ_SR_mSS_SV_bEUlT_E_NS1_11comp_targetILNS1_3genE10ELNS1_11target_archE1201ELNS1_3gpuE5ELNS1_3repE0EEENS1_30default_config_static_selectorELNS0_4arch9wavefront6targetE1EEEvSP_,"axG",@progbits,_ZN7rocprim17ROCPRIM_400000_NS6detail17trampoline_kernelINS0_14default_configENS1_29binary_search_config_selectorIjiEEZNS1_14transform_implILb0ES3_S5_N6thrust23THRUST_200600_302600_NS6detail15normal_iteratorINS8_10device_ptrIjEEEENSA_INSB_IiEEEEZNS1_13binary_searchIS3_S5_SD_SD_SF_NS1_16binary_search_opENS9_16wrapped_functionINS0_4lessIvEEbEEEE10hipError_tPvRmT1_T2_T3_mmT4_T5_P12ihipStream_tbEUlRKjE_EESM_SQ_SR_mSS_SV_bEUlT_E_NS1_11comp_targetILNS1_3genE10ELNS1_11target_archE1201ELNS1_3gpuE5ELNS1_3repE0EEENS1_30default_config_static_selectorELNS0_4arch9wavefront6targetE1EEEvSP_,comdat
	.protected	_ZN7rocprim17ROCPRIM_400000_NS6detail17trampoline_kernelINS0_14default_configENS1_29binary_search_config_selectorIjiEEZNS1_14transform_implILb0ES3_S5_N6thrust23THRUST_200600_302600_NS6detail15normal_iteratorINS8_10device_ptrIjEEEENSA_INSB_IiEEEEZNS1_13binary_searchIS3_S5_SD_SD_SF_NS1_16binary_search_opENS9_16wrapped_functionINS0_4lessIvEEbEEEE10hipError_tPvRmT1_T2_T3_mmT4_T5_P12ihipStream_tbEUlRKjE_EESM_SQ_SR_mSS_SV_bEUlT_E_NS1_11comp_targetILNS1_3genE10ELNS1_11target_archE1201ELNS1_3gpuE5ELNS1_3repE0EEENS1_30default_config_static_selectorELNS0_4arch9wavefront6targetE1EEEvSP_ ; -- Begin function _ZN7rocprim17ROCPRIM_400000_NS6detail17trampoline_kernelINS0_14default_configENS1_29binary_search_config_selectorIjiEEZNS1_14transform_implILb0ES3_S5_N6thrust23THRUST_200600_302600_NS6detail15normal_iteratorINS8_10device_ptrIjEEEENSA_INSB_IiEEEEZNS1_13binary_searchIS3_S5_SD_SD_SF_NS1_16binary_search_opENS9_16wrapped_functionINS0_4lessIvEEbEEEE10hipError_tPvRmT1_T2_T3_mmT4_T5_P12ihipStream_tbEUlRKjE_EESM_SQ_SR_mSS_SV_bEUlT_E_NS1_11comp_targetILNS1_3genE10ELNS1_11target_archE1201ELNS1_3gpuE5ELNS1_3repE0EEENS1_30default_config_static_selectorELNS0_4arch9wavefront6targetE1EEEvSP_
	.globl	_ZN7rocprim17ROCPRIM_400000_NS6detail17trampoline_kernelINS0_14default_configENS1_29binary_search_config_selectorIjiEEZNS1_14transform_implILb0ES3_S5_N6thrust23THRUST_200600_302600_NS6detail15normal_iteratorINS8_10device_ptrIjEEEENSA_INSB_IiEEEEZNS1_13binary_searchIS3_S5_SD_SD_SF_NS1_16binary_search_opENS9_16wrapped_functionINS0_4lessIvEEbEEEE10hipError_tPvRmT1_T2_T3_mmT4_T5_P12ihipStream_tbEUlRKjE_EESM_SQ_SR_mSS_SV_bEUlT_E_NS1_11comp_targetILNS1_3genE10ELNS1_11target_archE1201ELNS1_3gpuE5ELNS1_3repE0EEENS1_30default_config_static_selectorELNS0_4arch9wavefront6targetE1EEEvSP_
	.p2align	8
	.type	_ZN7rocprim17ROCPRIM_400000_NS6detail17trampoline_kernelINS0_14default_configENS1_29binary_search_config_selectorIjiEEZNS1_14transform_implILb0ES3_S5_N6thrust23THRUST_200600_302600_NS6detail15normal_iteratorINS8_10device_ptrIjEEEENSA_INSB_IiEEEEZNS1_13binary_searchIS3_S5_SD_SD_SF_NS1_16binary_search_opENS9_16wrapped_functionINS0_4lessIvEEbEEEE10hipError_tPvRmT1_T2_T3_mmT4_T5_P12ihipStream_tbEUlRKjE_EESM_SQ_SR_mSS_SV_bEUlT_E_NS1_11comp_targetILNS1_3genE10ELNS1_11target_archE1201ELNS1_3gpuE5ELNS1_3repE0EEENS1_30default_config_static_selectorELNS0_4arch9wavefront6targetE1EEEvSP_,@function
_ZN7rocprim17ROCPRIM_400000_NS6detail17trampoline_kernelINS0_14default_configENS1_29binary_search_config_selectorIjiEEZNS1_14transform_implILb0ES3_S5_N6thrust23THRUST_200600_302600_NS6detail15normal_iteratorINS8_10device_ptrIjEEEENSA_INSB_IiEEEEZNS1_13binary_searchIS3_S5_SD_SD_SF_NS1_16binary_search_opENS9_16wrapped_functionINS0_4lessIvEEbEEEE10hipError_tPvRmT1_T2_T3_mmT4_T5_P12ihipStream_tbEUlRKjE_EESM_SQ_SR_mSS_SV_bEUlT_E_NS1_11comp_targetILNS1_3genE10ELNS1_11target_archE1201ELNS1_3gpuE5ELNS1_3repE0EEENS1_30default_config_static_selectorELNS0_4arch9wavefront6targetE1EEEvSP_: ; @_ZN7rocprim17ROCPRIM_400000_NS6detail17trampoline_kernelINS0_14default_configENS1_29binary_search_config_selectorIjiEEZNS1_14transform_implILb0ES3_S5_N6thrust23THRUST_200600_302600_NS6detail15normal_iteratorINS8_10device_ptrIjEEEENSA_INSB_IiEEEEZNS1_13binary_searchIS3_S5_SD_SD_SF_NS1_16binary_search_opENS9_16wrapped_functionINS0_4lessIvEEbEEEE10hipError_tPvRmT1_T2_T3_mmT4_T5_P12ihipStream_tbEUlRKjE_EESM_SQ_SR_mSS_SV_bEUlT_E_NS1_11comp_targetILNS1_3genE10ELNS1_11target_archE1201ELNS1_3gpuE5ELNS1_3repE0EEENS1_30default_config_static_selectorELNS0_4arch9wavefront6targetE1EEEvSP_
; %bb.0:
	.section	.rodata,"a",@progbits
	.p2align	6, 0x0
	.amdhsa_kernel _ZN7rocprim17ROCPRIM_400000_NS6detail17trampoline_kernelINS0_14default_configENS1_29binary_search_config_selectorIjiEEZNS1_14transform_implILb0ES3_S5_N6thrust23THRUST_200600_302600_NS6detail15normal_iteratorINS8_10device_ptrIjEEEENSA_INSB_IiEEEEZNS1_13binary_searchIS3_S5_SD_SD_SF_NS1_16binary_search_opENS9_16wrapped_functionINS0_4lessIvEEbEEEE10hipError_tPvRmT1_T2_T3_mmT4_T5_P12ihipStream_tbEUlRKjE_EESM_SQ_SR_mSS_SV_bEUlT_E_NS1_11comp_targetILNS1_3genE10ELNS1_11target_archE1201ELNS1_3gpuE5ELNS1_3repE0EEENS1_30default_config_static_selectorELNS0_4arch9wavefront6targetE1EEEvSP_
		.amdhsa_group_segment_fixed_size 0
		.amdhsa_private_segment_fixed_size 0
		.amdhsa_kernarg_size 56
		.amdhsa_user_sgpr_count 6
		.amdhsa_user_sgpr_private_segment_buffer 1
		.amdhsa_user_sgpr_dispatch_ptr 0
		.amdhsa_user_sgpr_queue_ptr 0
		.amdhsa_user_sgpr_kernarg_segment_ptr 1
		.amdhsa_user_sgpr_dispatch_id 0
		.amdhsa_user_sgpr_flat_scratch_init 0
		.amdhsa_user_sgpr_kernarg_preload_length 0
		.amdhsa_user_sgpr_kernarg_preload_offset 0
		.amdhsa_user_sgpr_private_segment_size 0
		.amdhsa_uses_dynamic_stack 0
		.amdhsa_system_sgpr_private_segment_wavefront_offset 0
		.amdhsa_system_sgpr_workgroup_id_x 1
		.amdhsa_system_sgpr_workgroup_id_y 0
		.amdhsa_system_sgpr_workgroup_id_z 0
		.amdhsa_system_sgpr_workgroup_info 0
		.amdhsa_system_vgpr_workitem_id 0
		.amdhsa_next_free_vgpr 1
		.amdhsa_next_free_sgpr 0
		.amdhsa_accum_offset 4
		.amdhsa_reserve_vcc 0
		.amdhsa_reserve_flat_scratch 0
		.amdhsa_float_round_mode_32 0
		.amdhsa_float_round_mode_16_64 0
		.amdhsa_float_denorm_mode_32 3
		.amdhsa_float_denorm_mode_16_64 3
		.amdhsa_dx10_clamp 1
		.amdhsa_ieee_mode 1
		.amdhsa_fp16_overflow 0
		.amdhsa_tg_split 0
		.amdhsa_exception_fp_ieee_invalid_op 0
		.amdhsa_exception_fp_denorm_src 0
		.amdhsa_exception_fp_ieee_div_zero 0
		.amdhsa_exception_fp_ieee_overflow 0
		.amdhsa_exception_fp_ieee_underflow 0
		.amdhsa_exception_fp_ieee_inexact 0
		.amdhsa_exception_int_div_zero 0
	.end_amdhsa_kernel
	.section	.text._ZN7rocprim17ROCPRIM_400000_NS6detail17trampoline_kernelINS0_14default_configENS1_29binary_search_config_selectorIjiEEZNS1_14transform_implILb0ES3_S5_N6thrust23THRUST_200600_302600_NS6detail15normal_iteratorINS8_10device_ptrIjEEEENSA_INSB_IiEEEEZNS1_13binary_searchIS3_S5_SD_SD_SF_NS1_16binary_search_opENS9_16wrapped_functionINS0_4lessIvEEbEEEE10hipError_tPvRmT1_T2_T3_mmT4_T5_P12ihipStream_tbEUlRKjE_EESM_SQ_SR_mSS_SV_bEUlT_E_NS1_11comp_targetILNS1_3genE10ELNS1_11target_archE1201ELNS1_3gpuE5ELNS1_3repE0EEENS1_30default_config_static_selectorELNS0_4arch9wavefront6targetE1EEEvSP_,"axG",@progbits,_ZN7rocprim17ROCPRIM_400000_NS6detail17trampoline_kernelINS0_14default_configENS1_29binary_search_config_selectorIjiEEZNS1_14transform_implILb0ES3_S5_N6thrust23THRUST_200600_302600_NS6detail15normal_iteratorINS8_10device_ptrIjEEEENSA_INSB_IiEEEEZNS1_13binary_searchIS3_S5_SD_SD_SF_NS1_16binary_search_opENS9_16wrapped_functionINS0_4lessIvEEbEEEE10hipError_tPvRmT1_T2_T3_mmT4_T5_P12ihipStream_tbEUlRKjE_EESM_SQ_SR_mSS_SV_bEUlT_E_NS1_11comp_targetILNS1_3genE10ELNS1_11target_archE1201ELNS1_3gpuE5ELNS1_3repE0EEENS1_30default_config_static_selectorELNS0_4arch9wavefront6targetE1EEEvSP_,comdat
.Lfunc_end470:
	.size	_ZN7rocprim17ROCPRIM_400000_NS6detail17trampoline_kernelINS0_14default_configENS1_29binary_search_config_selectorIjiEEZNS1_14transform_implILb0ES3_S5_N6thrust23THRUST_200600_302600_NS6detail15normal_iteratorINS8_10device_ptrIjEEEENSA_INSB_IiEEEEZNS1_13binary_searchIS3_S5_SD_SD_SF_NS1_16binary_search_opENS9_16wrapped_functionINS0_4lessIvEEbEEEE10hipError_tPvRmT1_T2_T3_mmT4_T5_P12ihipStream_tbEUlRKjE_EESM_SQ_SR_mSS_SV_bEUlT_E_NS1_11comp_targetILNS1_3genE10ELNS1_11target_archE1201ELNS1_3gpuE5ELNS1_3repE0EEENS1_30default_config_static_selectorELNS0_4arch9wavefront6targetE1EEEvSP_, .Lfunc_end470-_ZN7rocprim17ROCPRIM_400000_NS6detail17trampoline_kernelINS0_14default_configENS1_29binary_search_config_selectorIjiEEZNS1_14transform_implILb0ES3_S5_N6thrust23THRUST_200600_302600_NS6detail15normal_iteratorINS8_10device_ptrIjEEEENSA_INSB_IiEEEEZNS1_13binary_searchIS3_S5_SD_SD_SF_NS1_16binary_search_opENS9_16wrapped_functionINS0_4lessIvEEbEEEE10hipError_tPvRmT1_T2_T3_mmT4_T5_P12ihipStream_tbEUlRKjE_EESM_SQ_SR_mSS_SV_bEUlT_E_NS1_11comp_targetILNS1_3genE10ELNS1_11target_archE1201ELNS1_3gpuE5ELNS1_3repE0EEENS1_30default_config_static_selectorELNS0_4arch9wavefront6targetE1EEEvSP_
                                        ; -- End function
	.section	.AMDGPU.csdata,"",@progbits
; Kernel info:
; codeLenInByte = 0
; NumSgprs: 4
; NumVgprs: 0
; NumAgprs: 0
; TotalNumVgprs: 0
; ScratchSize: 0
; MemoryBound: 0
; FloatMode: 240
; IeeeMode: 1
; LDSByteSize: 0 bytes/workgroup (compile time only)
; SGPRBlocks: 0
; VGPRBlocks: 0
; NumSGPRsForWavesPerEU: 4
; NumVGPRsForWavesPerEU: 1
; AccumOffset: 4
; Occupancy: 8
; WaveLimiterHint : 0
; COMPUTE_PGM_RSRC2:SCRATCH_EN: 0
; COMPUTE_PGM_RSRC2:USER_SGPR: 6
; COMPUTE_PGM_RSRC2:TRAP_HANDLER: 0
; COMPUTE_PGM_RSRC2:TGID_X_EN: 1
; COMPUTE_PGM_RSRC2:TGID_Y_EN: 0
; COMPUTE_PGM_RSRC2:TGID_Z_EN: 0
; COMPUTE_PGM_RSRC2:TIDIG_COMP_CNT: 0
; COMPUTE_PGM_RSRC3_GFX90A:ACCUM_OFFSET: 0
; COMPUTE_PGM_RSRC3_GFX90A:TG_SPLIT: 0
	.section	.text._ZN7rocprim17ROCPRIM_400000_NS6detail17trampoline_kernelINS0_14default_configENS1_29binary_search_config_selectorIjiEEZNS1_14transform_implILb0ES3_S5_N6thrust23THRUST_200600_302600_NS6detail15normal_iteratorINS8_10device_ptrIjEEEENSA_INSB_IiEEEEZNS1_13binary_searchIS3_S5_SD_SD_SF_NS1_16binary_search_opENS9_16wrapped_functionINS0_4lessIvEEbEEEE10hipError_tPvRmT1_T2_T3_mmT4_T5_P12ihipStream_tbEUlRKjE_EESM_SQ_SR_mSS_SV_bEUlT_E_NS1_11comp_targetILNS1_3genE10ELNS1_11target_archE1200ELNS1_3gpuE4ELNS1_3repE0EEENS1_30default_config_static_selectorELNS0_4arch9wavefront6targetE1EEEvSP_,"axG",@progbits,_ZN7rocprim17ROCPRIM_400000_NS6detail17trampoline_kernelINS0_14default_configENS1_29binary_search_config_selectorIjiEEZNS1_14transform_implILb0ES3_S5_N6thrust23THRUST_200600_302600_NS6detail15normal_iteratorINS8_10device_ptrIjEEEENSA_INSB_IiEEEEZNS1_13binary_searchIS3_S5_SD_SD_SF_NS1_16binary_search_opENS9_16wrapped_functionINS0_4lessIvEEbEEEE10hipError_tPvRmT1_T2_T3_mmT4_T5_P12ihipStream_tbEUlRKjE_EESM_SQ_SR_mSS_SV_bEUlT_E_NS1_11comp_targetILNS1_3genE10ELNS1_11target_archE1200ELNS1_3gpuE4ELNS1_3repE0EEENS1_30default_config_static_selectorELNS0_4arch9wavefront6targetE1EEEvSP_,comdat
	.protected	_ZN7rocprim17ROCPRIM_400000_NS6detail17trampoline_kernelINS0_14default_configENS1_29binary_search_config_selectorIjiEEZNS1_14transform_implILb0ES3_S5_N6thrust23THRUST_200600_302600_NS6detail15normal_iteratorINS8_10device_ptrIjEEEENSA_INSB_IiEEEEZNS1_13binary_searchIS3_S5_SD_SD_SF_NS1_16binary_search_opENS9_16wrapped_functionINS0_4lessIvEEbEEEE10hipError_tPvRmT1_T2_T3_mmT4_T5_P12ihipStream_tbEUlRKjE_EESM_SQ_SR_mSS_SV_bEUlT_E_NS1_11comp_targetILNS1_3genE10ELNS1_11target_archE1200ELNS1_3gpuE4ELNS1_3repE0EEENS1_30default_config_static_selectorELNS0_4arch9wavefront6targetE1EEEvSP_ ; -- Begin function _ZN7rocprim17ROCPRIM_400000_NS6detail17trampoline_kernelINS0_14default_configENS1_29binary_search_config_selectorIjiEEZNS1_14transform_implILb0ES3_S5_N6thrust23THRUST_200600_302600_NS6detail15normal_iteratorINS8_10device_ptrIjEEEENSA_INSB_IiEEEEZNS1_13binary_searchIS3_S5_SD_SD_SF_NS1_16binary_search_opENS9_16wrapped_functionINS0_4lessIvEEbEEEE10hipError_tPvRmT1_T2_T3_mmT4_T5_P12ihipStream_tbEUlRKjE_EESM_SQ_SR_mSS_SV_bEUlT_E_NS1_11comp_targetILNS1_3genE10ELNS1_11target_archE1200ELNS1_3gpuE4ELNS1_3repE0EEENS1_30default_config_static_selectorELNS0_4arch9wavefront6targetE1EEEvSP_
	.globl	_ZN7rocprim17ROCPRIM_400000_NS6detail17trampoline_kernelINS0_14default_configENS1_29binary_search_config_selectorIjiEEZNS1_14transform_implILb0ES3_S5_N6thrust23THRUST_200600_302600_NS6detail15normal_iteratorINS8_10device_ptrIjEEEENSA_INSB_IiEEEEZNS1_13binary_searchIS3_S5_SD_SD_SF_NS1_16binary_search_opENS9_16wrapped_functionINS0_4lessIvEEbEEEE10hipError_tPvRmT1_T2_T3_mmT4_T5_P12ihipStream_tbEUlRKjE_EESM_SQ_SR_mSS_SV_bEUlT_E_NS1_11comp_targetILNS1_3genE10ELNS1_11target_archE1200ELNS1_3gpuE4ELNS1_3repE0EEENS1_30default_config_static_selectorELNS0_4arch9wavefront6targetE1EEEvSP_
	.p2align	8
	.type	_ZN7rocprim17ROCPRIM_400000_NS6detail17trampoline_kernelINS0_14default_configENS1_29binary_search_config_selectorIjiEEZNS1_14transform_implILb0ES3_S5_N6thrust23THRUST_200600_302600_NS6detail15normal_iteratorINS8_10device_ptrIjEEEENSA_INSB_IiEEEEZNS1_13binary_searchIS3_S5_SD_SD_SF_NS1_16binary_search_opENS9_16wrapped_functionINS0_4lessIvEEbEEEE10hipError_tPvRmT1_T2_T3_mmT4_T5_P12ihipStream_tbEUlRKjE_EESM_SQ_SR_mSS_SV_bEUlT_E_NS1_11comp_targetILNS1_3genE10ELNS1_11target_archE1200ELNS1_3gpuE4ELNS1_3repE0EEENS1_30default_config_static_selectorELNS0_4arch9wavefront6targetE1EEEvSP_,@function
_ZN7rocprim17ROCPRIM_400000_NS6detail17trampoline_kernelINS0_14default_configENS1_29binary_search_config_selectorIjiEEZNS1_14transform_implILb0ES3_S5_N6thrust23THRUST_200600_302600_NS6detail15normal_iteratorINS8_10device_ptrIjEEEENSA_INSB_IiEEEEZNS1_13binary_searchIS3_S5_SD_SD_SF_NS1_16binary_search_opENS9_16wrapped_functionINS0_4lessIvEEbEEEE10hipError_tPvRmT1_T2_T3_mmT4_T5_P12ihipStream_tbEUlRKjE_EESM_SQ_SR_mSS_SV_bEUlT_E_NS1_11comp_targetILNS1_3genE10ELNS1_11target_archE1200ELNS1_3gpuE4ELNS1_3repE0EEENS1_30default_config_static_selectorELNS0_4arch9wavefront6targetE1EEEvSP_: ; @_ZN7rocprim17ROCPRIM_400000_NS6detail17trampoline_kernelINS0_14default_configENS1_29binary_search_config_selectorIjiEEZNS1_14transform_implILb0ES3_S5_N6thrust23THRUST_200600_302600_NS6detail15normal_iteratorINS8_10device_ptrIjEEEENSA_INSB_IiEEEEZNS1_13binary_searchIS3_S5_SD_SD_SF_NS1_16binary_search_opENS9_16wrapped_functionINS0_4lessIvEEbEEEE10hipError_tPvRmT1_T2_T3_mmT4_T5_P12ihipStream_tbEUlRKjE_EESM_SQ_SR_mSS_SV_bEUlT_E_NS1_11comp_targetILNS1_3genE10ELNS1_11target_archE1200ELNS1_3gpuE4ELNS1_3repE0EEENS1_30default_config_static_selectorELNS0_4arch9wavefront6targetE1EEEvSP_
; %bb.0:
	.section	.rodata,"a",@progbits
	.p2align	6, 0x0
	.amdhsa_kernel _ZN7rocprim17ROCPRIM_400000_NS6detail17trampoline_kernelINS0_14default_configENS1_29binary_search_config_selectorIjiEEZNS1_14transform_implILb0ES3_S5_N6thrust23THRUST_200600_302600_NS6detail15normal_iteratorINS8_10device_ptrIjEEEENSA_INSB_IiEEEEZNS1_13binary_searchIS3_S5_SD_SD_SF_NS1_16binary_search_opENS9_16wrapped_functionINS0_4lessIvEEbEEEE10hipError_tPvRmT1_T2_T3_mmT4_T5_P12ihipStream_tbEUlRKjE_EESM_SQ_SR_mSS_SV_bEUlT_E_NS1_11comp_targetILNS1_3genE10ELNS1_11target_archE1200ELNS1_3gpuE4ELNS1_3repE0EEENS1_30default_config_static_selectorELNS0_4arch9wavefront6targetE1EEEvSP_
		.amdhsa_group_segment_fixed_size 0
		.amdhsa_private_segment_fixed_size 0
		.amdhsa_kernarg_size 56
		.amdhsa_user_sgpr_count 6
		.amdhsa_user_sgpr_private_segment_buffer 1
		.amdhsa_user_sgpr_dispatch_ptr 0
		.amdhsa_user_sgpr_queue_ptr 0
		.amdhsa_user_sgpr_kernarg_segment_ptr 1
		.amdhsa_user_sgpr_dispatch_id 0
		.amdhsa_user_sgpr_flat_scratch_init 0
		.amdhsa_user_sgpr_kernarg_preload_length 0
		.amdhsa_user_sgpr_kernarg_preload_offset 0
		.amdhsa_user_sgpr_private_segment_size 0
		.amdhsa_uses_dynamic_stack 0
		.amdhsa_system_sgpr_private_segment_wavefront_offset 0
		.amdhsa_system_sgpr_workgroup_id_x 1
		.amdhsa_system_sgpr_workgroup_id_y 0
		.amdhsa_system_sgpr_workgroup_id_z 0
		.amdhsa_system_sgpr_workgroup_info 0
		.amdhsa_system_vgpr_workitem_id 0
		.amdhsa_next_free_vgpr 1
		.amdhsa_next_free_sgpr 0
		.amdhsa_accum_offset 4
		.amdhsa_reserve_vcc 0
		.amdhsa_reserve_flat_scratch 0
		.amdhsa_float_round_mode_32 0
		.amdhsa_float_round_mode_16_64 0
		.amdhsa_float_denorm_mode_32 3
		.amdhsa_float_denorm_mode_16_64 3
		.amdhsa_dx10_clamp 1
		.amdhsa_ieee_mode 1
		.amdhsa_fp16_overflow 0
		.amdhsa_tg_split 0
		.amdhsa_exception_fp_ieee_invalid_op 0
		.amdhsa_exception_fp_denorm_src 0
		.amdhsa_exception_fp_ieee_div_zero 0
		.amdhsa_exception_fp_ieee_overflow 0
		.amdhsa_exception_fp_ieee_underflow 0
		.amdhsa_exception_fp_ieee_inexact 0
		.amdhsa_exception_int_div_zero 0
	.end_amdhsa_kernel
	.section	.text._ZN7rocprim17ROCPRIM_400000_NS6detail17trampoline_kernelINS0_14default_configENS1_29binary_search_config_selectorIjiEEZNS1_14transform_implILb0ES3_S5_N6thrust23THRUST_200600_302600_NS6detail15normal_iteratorINS8_10device_ptrIjEEEENSA_INSB_IiEEEEZNS1_13binary_searchIS3_S5_SD_SD_SF_NS1_16binary_search_opENS9_16wrapped_functionINS0_4lessIvEEbEEEE10hipError_tPvRmT1_T2_T3_mmT4_T5_P12ihipStream_tbEUlRKjE_EESM_SQ_SR_mSS_SV_bEUlT_E_NS1_11comp_targetILNS1_3genE10ELNS1_11target_archE1200ELNS1_3gpuE4ELNS1_3repE0EEENS1_30default_config_static_selectorELNS0_4arch9wavefront6targetE1EEEvSP_,"axG",@progbits,_ZN7rocprim17ROCPRIM_400000_NS6detail17trampoline_kernelINS0_14default_configENS1_29binary_search_config_selectorIjiEEZNS1_14transform_implILb0ES3_S5_N6thrust23THRUST_200600_302600_NS6detail15normal_iteratorINS8_10device_ptrIjEEEENSA_INSB_IiEEEEZNS1_13binary_searchIS3_S5_SD_SD_SF_NS1_16binary_search_opENS9_16wrapped_functionINS0_4lessIvEEbEEEE10hipError_tPvRmT1_T2_T3_mmT4_T5_P12ihipStream_tbEUlRKjE_EESM_SQ_SR_mSS_SV_bEUlT_E_NS1_11comp_targetILNS1_3genE10ELNS1_11target_archE1200ELNS1_3gpuE4ELNS1_3repE0EEENS1_30default_config_static_selectorELNS0_4arch9wavefront6targetE1EEEvSP_,comdat
.Lfunc_end471:
	.size	_ZN7rocprim17ROCPRIM_400000_NS6detail17trampoline_kernelINS0_14default_configENS1_29binary_search_config_selectorIjiEEZNS1_14transform_implILb0ES3_S5_N6thrust23THRUST_200600_302600_NS6detail15normal_iteratorINS8_10device_ptrIjEEEENSA_INSB_IiEEEEZNS1_13binary_searchIS3_S5_SD_SD_SF_NS1_16binary_search_opENS9_16wrapped_functionINS0_4lessIvEEbEEEE10hipError_tPvRmT1_T2_T3_mmT4_T5_P12ihipStream_tbEUlRKjE_EESM_SQ_SR_mSS_SV_bEUlT_E_NS1_11comp_targetILNS1_3genE10ELNS1_11target_archE1200ELNS1_3gpuE4ELNS1_3repE0EEENS1_30default_config_static_selectorELNS0_4arch9wavefront6targetE1EEEvSP_, .Lfunc_end471-_ZN7rocprim17ROCPRIM_400000_NS6detail17trampoline_kernelINS0_14default_configENS1_29binary_search_config_selectorIjiEEZNS1_14transform_implILb0ES3_S5_N6thrust23THRUST_200600_302600_NS6detail15normal_iteratorINS8_10device_ptrIjEEEENSA_INSB_IiEEEEZNS1_13binary_searchIS3_S5_SD_SD_SF_NS1_16binary_search_opENS9_16wrapped_functionINS0_4lessIvEEbEEEE10hipError_tPvRmT1_T2_T3_mmT4_T5_P12ihipStream_tbEUlRKjE_EESM_SQ_SR_mSS_SV_bEUlT_E_NS1_11comp_targetILNS1_3genE10ELNS1_11target_archE1200ELNS1_3gpuE4ELNS1_3repE0EEENS1_30default_config_static_selectorELNS0_4arch9wavefront6targetE1EEEvSP_
                                        ; -- End function
	.section	.AMDGPU.csdata,"",@progbits
; Kernel info:
; codeLenInByte = 0
; NumSgprs: 4
; NumVgprs: 0
; NumAgprs: 0
; TotalNumVgprs: 0
; ScratchSize: 0
; MemoryBound: 0
; FloatMode: 240
; IeeeMode: 1
; LDSByteSize: 0 bytes/workgroup (compile time only)
; SGPRBlocks: 0
; VGPRBlocks: 0
; NumSGPRsForWavesPerEU: 4
; NumVGPRsForWavesPerEU: 1
; AccumOffset: 4
; Occupancy: 8
; WaveLimiterHint : 0
; COMPUTE_PGM_RSRC2:SCRATCH_EN: 0
; COMPUTE_PGM_RSRC2:USER_SGPR: 6
; COMPUTE_PGM_RSRC2:TRAP_HANDLER: 0
; COMPUTE_PGM_RSRC2:TGID_X_EN: 1
; COMPUTE_PGM_RSRC2:TGID_Y_EN: 0
; COMPUTE_PGM_RSRC2:TGID_Z_EN: 0
; COMPUTE_PGM_RSRC2:TIDIG_COMP_CNT: 0
; COMPUTE_PGM_RSRC3_GFX90A:ACCUM_OFFSET: 0
; COMPUTE_PGM_RSRC3_GFX90A:TG_SPLIT: 0
	.section	.text._ZN7rocprim17ROCPRIM_400000_NS6detail17trampoline_kernelINS0_14default_configENS1_29binary_search_config_selectorIjiEEZNS1_14transform_implILb0ES3_S5_N6thrust23THRUST_200600_302600_NS6detail15normal_iteratorINS8_10device_ptrIjEEEENSA_INSB_IiEEEEZNS1_13binary_searchIS3_S5_SD_SD_SF_NS1_16binary_search_opENS9_16wrapped_functionINS0_4lessIvEEbEEEE10hipError_tPvRmT1_T2_T3_mmT4_T5_P12ihipStream_tbEUlRKjE_EESM_SQ_SR_mSS_SV_bEUlT_E_NS1_11comp_targetILNS1_3genE9ELNS1_11target_archE1100ELNS1_3gpuE3ELNS1_3repE0EEENS1_30default_config_static_selectorELNS0_4arch9wavefront6targetE1EEEvSP_,"axG",@progbits,_ZN7rocprim17ROCPRIM_400000_NS6detail17trampoline_kernelINS0_14default_configENS1_29binary_search_config_selectorIjiEEZNS1_14transform_implILb0ES3_S5_N6thrust23THRUST_200600_302600_NS6detail15normal_iteratorINS8_10device_ptrIjEEEENSA_INSB_IiEEEEZNS1_13binary_searchIS3_S5_SD_SD_SF_NS1_16binary_search_opENS9_16wrapped_functionINS0_4lessIvEEbEEEE10hipError_tPvRmT1_T2_T3_mmT4_T5_P12ihipStream_tbEUlRKjE_EESM_SQ_SR_mSS_SV_bEUlT_E_NS1_11comp_targetILNS1_3genE9ELNS1_11target_archE1100ELNS1_3gpuE3ELNS1_3repE0EEENS1_30default_config_static_selectorELNS0_4arch9wavefront6targetE1EEEvSP_,comdat
	.protected	_ZN7rocprim17ROCPRIM_400000_NS6detail17trampoline_kernelINS0_14default_configENS1_29binary_search_config_selectorIjiEEZNS1_14transform_implILb0ES3_S5_N6thrust23THRUST_200600_302600_NS6detail15normal_iteratorINS8_10device_ptrIjEEEENSA_INSB_IiEEEEZNS1_13binary_searchIS3_S5_SD_SD_SF_NS1_16binary_search_opENS9_16wrapped_functionINS0_4lessIvEEbEEEE10hipError_tPvRmT1_T2_T3_mmT4_T5_P12ihipStream_tbEUlRKjE_EESM_SQ_SR_mSS_SV_bEUlT_E_NS1_11comp_targetILNS1_3genE9ELNS1_11target_archE1100ELNS1_3gpuE3ELNS1_3repE0EEENS1_30default_config_static_selectorELNS0_4arch9wavefront6targetE1EEEvSP_ ; -- Begin function _ZN7rocprim17ROCPRIM_400000_NS6detail17trampoline_kernelINS0_14default_configENS1_29binary_search_config_selectorIjiEEZNS1_14transform_implILb0ES3_S5_N6thrust23THRUST_200600_302600_NS6detail15normal_iteratorINS8_10device_ptrIjEEEENSA_INSB_IiEEEEZNS1_13binary_searchIS3_S5_SD_SD_SF_NS1_16binary_search_opENS9_16wrapped_functionINS0_4lessIvEEbEEEE10hipError_tPvRmT1_T2_T3_mmT4_T5_P12ihipStream_tbEUlRKjE_EESM_SQ_SR_mSS_SV_bEUlT_E_NS1_11comp_targetILNS1_3genE9ELNS1_11target_archE1100ELNS1_3gpuE3ELNS1_3repE0EEENS1_30default_config_static_selectorELNS0_4arch9wavefront6targetE1EEEvSP_
	.globl	_ZN7rocprim17ROCPRIM_400000_NS6detail17trampoline_kernelINS0_14default_configENS1_29binary_search_config_selectorIjiEEZNS1_14transform_implILb0ES3_S5_N6thrust23THRUST_200600_302600_NS6detail15normal_iteratorINS8_10device_ptrIjEEEENSA_INSB_IiEEEEZNS1_13binary_searchIS3_S5_SD_SD_SF_NS1_16binary_search_opENS9_16wrapped_functionINS0_4lessIvEEbEEEE10hipError_tPvRmT1_T2_T3_mmT4_T5_P12ihipStream_tbEUlRKjE_EESM_SQ_SR_mSS_SV_bEUlT_E_NS1_11comp_targetILNS1_3genE9ELNS1_11target_archE1100ELNS1_3gpuE3ELNS1_3repE0EEENS1_30default_config_static_selectorELNS0_4arch9wavefront6targetE1EEEvSP_
	.p2align	8
	.type	_ZN7rocprim17ROCPRIM_400000_NS6detail17trampoline_kernelINS0_14default_configENS1_29binary_search_config_selectorIjiEEZNS1_14transform_implILb0ES3_S5_N6thrust23THRUST_200600_302600_NS6detail15normal_iteratorINS8_10device_ptrIjEEEENSA_INSB_IiEEEEZNS1_13binary_searchIS3_S5_SD_SD_SF_NS1_16binary_search_opENS9_16wrapped_functionINS0_4lessIvEEbEEEE10hipError_tPvRmT1_T2_T3_mmT4_T5_P12ihipStream_tbEUlRKjE_EESM_SQ_SR_mSS_SV_bEUlT_E_NS1_11comp_targetILNS1_3genE9ELNS1_11target_archE1100ELNS1_3gpuE3ELNS1_3repE0EEENS1_30default_config_static_selectorELNS0_4arch9wavefront6targetE1EEEvSP_,@function
_ZN7rocprim17ROCPRIM_400000_NS6detail17trampoline_kernelINS0_14default_configENS1_29binary_search_config_selectorIjiEEZNS1_14transform_implILb0ES3_S5_N6thrust23THRUST_200600_302600_NS6detail15normal_iteratorINS8_10device_ptrIjEEEENSA_INSB_IiEEEEZNS1_13binary_searchIS3_S5_SD_SD_SF_NS1_16binary_search_opENS9_16wrapped_functionINS0_4lessIvEEbEEEE10hipError_tPvRmT1_T2_T3_mmT4_T5_P12ihipStream_tbEUlRKjE_EESM_SQ_SR_mSS_SV_bEUlT_E_NS1_11comp_targetILNS1_3genE9ELNS1_11target_archE1100ELNS1_3gpuE3ELNS1_3repE0EEENS1_30default_config_static_selectorELNS0_4arch9wavefront6targetE1EEEvSP_: ; @_ZN7rocprim17ROCPRIM_400000_NS6detail17trampoline_kernelINS0_14default_configENS1_29binary_search_config_selectorIjiEEZNS1_14transform_implILb0ES3_S5_N6thrust23THRUST_200600_302600_NS6detail15normal_iteratorINS8_10device_ptrIjEEEENSA_INSB_IiEEEEZNS1_13binary_searchIS3_S5_SD_SD_SF_NS1_16binary_search_opENS9_16wrapped_functionINS0_4lessIvEEbEEEE10hipError_tPvRmT1_T2_T3_mmT4_T5_P12ihipStream_tbEUlRKjE_EESM_SQ_SR_mSS_SV_bEUlT_E_NS1_11comp_targetILNS1_3genE9ELNS1_11target_archE1100ELNS1_3gpuE3ELNS1_3repE0EEENS1_30default_config_static_selectorELNS0_4arch9wavefront6targetE1EEEvSP_
; %bb.0:
	.section	.rodata,"a",@progbits
	.p2align	6, 0x0
	.amdhsa_kernel _ZN7rocprim17ROCPRIM_400000_NS6detail17trampoline_kernelINS0_14default_configENS1_29binary_search_config_selectorIjiEEZNS1_14transform_implILb0ES3_S5_N6thrust23THRUST_200600_302600_NS6detail15normal_iteratorINS8_10device_ptrIjEEEENSA_INSB_IiEEEEZNS1_13binary_searchIS3_S5_SD_SD_SF_NS1_16binary_search_opENS9_16wrapped_functionINS0_4lessIvEEbEEEE10hipError_tPvRmT1_T2_T3_mmT4_T5_P12ihipStream_tbEUlRKjE_EESM_SQ_SR_mSS_SV_bEUlT_E_NS1_11comp_targetILNS1_3genE9ELNS1_11target_archE1100ELNS1_3gpuE3ELNS1_3repE0EEENS1_30default_config_static_selectorELNS0_4arch9wavefront6targetE1EEEvSP_
		.amdhsa_group_segment_fixed_size 0
		.amdhsa_private_segment_fixed_size 0
		.amdhsa_kernarg_size 56
		.amdhsa_user_sgpr_count 6
		.amdhsa_user_sgpr_private_segment_buffer 1
		.amdhsa_user_sgpr_dispatch_ptr 0
		.amdhsa_user_sgpr_queue_ptr 0
		.amdhsa_user_sgpr_kernarg_segment_ptr 1
		.amdhsa_user_sgpr_dispatch_id 0
		.amdhsa_user_sgpr_flat_scratch_init 0
		.amdhsa_user_sgpr_kernarg_preload_length 0
		.amdhsa_user_sgpr_kernarg_preload_offset 0
		.amdhsa_user_sgpr_private_segment_size 0
		.amdhsa_uses_dynamic_stack 0
		.amdhsa_system_sgpr_private_segment_wavefront_offset 0
		.amdhsa_system_sgpr_workgroup_id_x 1
		.amdhsa_system_sgpr_workgroup_id_y 0
		.amdhsa_system_sgpr_workgroup_id_z 0
		.amdhsa_system_sgpr_workgroup_info 0
		.amdhsa_system_vgpr_workitem_id 0
		.amdhsa_next_free_vgpr 1
		.amdhsa_next_free_sgpr 0
		.amdhsa_accum_offset 4
		.amdhsa_reserve_vcc 0
		.amdhsa_reserve_flat_scratch 0
		.amdhsa_float_round_mode_32 0
		.amdhsa_float_round_mode_16_64 0
		.amdhsa_float_denorm_mode_32 3
		.amdhsa_float_denorm_mode_16_64 3
		.amdhsa_dx10_clamp 1
		.amdhsa_ieee_mode 1
		.amdhsa_fp16_overflow 0
		.amdhsa_tg_split 0
		.amdhsa_exception_fp_ieee_invalid_op 0
		.amdhsa_exception_fp_denorm_src 0
		.amdhsa_exception_fp_ieee_div_zero 0
		.amdhsa_exception_fp_ieee_overflow 0
		.amdhsa_exception_fp_ieee_underflow 0
		.amdhsa_exception_fp_ieee_inexact 0
		.amdhsa_exception_int_div_zero 0
	.end_amdhsa_kernel
	.section	.text._ZN7rocprim17ROCPRIM_400000_NS6detail17trampoline_kernelINS0_14default_configENS1_29binary_search_config_selectorIjiEEZNS1_14transform_implILb0ES3_S5_N6thrust23THRUST_200600_302600_NS6detail15normal_iteratorINS8_10device_ptrIjEEEENSA_INSB_IiEEEEZNS1_13binary_searchIS3_S5_SD_SD_SF_NS1_16binary_search_opENS9_16wrapped_functionINS0_4lessIvEEbEEEE10hipError_tPvRmT1_T2_T3_mmT4_T5_P12ihipStream_tbEUlRKjE_EESM_SQ_SR_mSS_SV_bEUlT_E_NS1_11comp_targetILNS1_3genE9ELNS1_11target_archE1100ELNS1_3gpuE3ELNS1_3repE0EEENS1_30default_config_static_selectorELNS0_4arch9wavefront6targetE1EEEvSP_,"axG",@progbits,_ZN7rocprim17ROCPRIM_400000_NS6detail17trampoline_kernelINS0_14default_configENS1_29binary_search_config_selectorIjiEEZNS1_14transform_implILb0ES3_S5_N6thrust23THRUST_200600_302600_NS6detail15normal_iteratorINS8_10device_ptrIjEEEENSA_INSB_IiEEEEZNS1_13binary_searchIS3_S5_SD_SD_SF_NS1_16binary_search_opENS9_16wrapped_functionINS0_4lessIvEEbEEEE10hipError_tPvRmT1_T2_T3_mmT4_T5_P12ihipStream_tbEUlRKjE_EESM_SQ_SR_mSS_SV_bEUlT_E_NS1_11comp_targetILNS1_3genE9ELNS1_11target_archE1100ELNS1_3gpuE3ELNS1_3repE0EEENS1_30default_config_static_selectorELNS0_4arch9wavefront6targetE1EEEvSP_,comdat
.Lfunc_end472:
	.size	_ZN7rocprim17ROCPRIM_400000_NS6detail17trampoline_kernelINS0_14default_configENS1_29binary_search_config_selectorIjiEEZNS1_14transform_implILb0ES3_S5_N6thrust23THRUST_200600_302600_NS6detail15normal_iteratorINS8_10device_ptrIjEEEENSA_INSB_IiEEEEZNS1_13binary_searchIS3_S5_SD_SD_SF_NS1_16binary_search_opENS9_16wrapped_functionINS0_4lessIvEEbEEEE10hipError_tPvRmT1_T2_T3_mmT4_T5_P12ihipStream_tbEUlRKjE_EESM_SQ_SR_mSS_SV_bEUlT_E_NS1_11comp_targetILNS1_3genE9ELNS1_11target_archE1100ELNS1_3gpuE3ELNS1_3repE0EEENS1_30default_config_static_selectorELNS0_4arch9wavefront6targetE1EEEvSP_, .Lfunc_end472-_ZN7rocprim17ROCPRIM_400000_NS6detail17trampoline_kernelINS0_14default_configENS1_29binary_search_config_selectorIjiEEZNS1_14transform_implILb0ES3_S5_N6thrust23THRUST_200600_302600_NS6detail15normal_iteratorINS8_10device_ptrIjEEEENSA_INSB_IiEEEEZNS1_13binary_searchIS3_S5_SD_SD_SF_NS1_16binary_search_opENS9_16wrapped_functionINS0_4lessIvEEbEEEE10hipError_tPvRmT1_T2_T3_mmT4_T5_P12ihipStream_tbEUlRKjE_EESM_SQ_SR_mSS_SV_bEUlT_E_NS1_11comp_targetILNS1_3genE9ELNS1_11target_archE1100ELNS1_3gpuE3ELNS1_3repE0EEENS1_30default_config_static_selectorELNS0_4arch9wavefront6targetE1EEEvSP_
                                        ; -- End function
	.section	.AMDGPU.csdata,"",@progbits
; Kernel info:
; codeLenInByte = 0
; NumSgprs: 4
; NumVgprs: 0
; NumAgprs: 0
; TotalNumVgprs: 0
; ScratchSize: 0
; MemoryBound: 0
; FloatMode: 240
; IeeeMode: 1
; LDSByteSize: 0 bytes/workgroup (compile time only)
; SGPRBlocks: 0
; VGPRBlocks: 0
; NumSGPRsForWavesPerEU: 4
; NumVGPRsForWavesPerEU: 1
; AccumOffset: 4
; Occupancy: 8
; WaveLimiterHint : 0
; COMPUTE_PGM_RSRC2:SCRATCH_EN: 0
; COMPUTE_PGM_RSRC2:USER_SGPR: 6
; COMPUTE_PGM_RSRC2:TRAP_HANDLER: 0
; COMPUTE_PGM_RSRC2:TGID_X_EN: 1
; COMPUTE_PGM_RSRC2:TGID_Y_EN: 0
; COMPUTE_PGM_RSRC2:TGID_Z_EN: 0
; COMPUTE_PGM_RSRC2:TIDIG_COMP_CNT: 0
; COMPUTE_PGM_RSRC3_GFX90A:ACCUM_OFFSET: 0
; COMPUTE_PGM_RSRC3_GFX90A:TG_SPLIT: 0
	.section	.text._ZN7rocprim17ROCPRIM_400000_NS6detail17trampoline_kernelINS0_14default_configENS1_29binary_search_config_selectorIjiEEZNS1_14transform_implILb0ES3_S5_N6thrust23THRUST_200600_302600_NS6detail15normal_iteratorINS8_10device_ptrIjEEEENSA_INSB_IiEEEEZNS1_13binary_searchIS3_S5_SD_SD_SF_NS1_16binary_search_opENS9_16wrapped_functionINS0_4lessIvEEbEEEE10hipError_tPvRmT1_T2_T3_mmT4_T5_P12ihipStream_tbEUlRKjE_EESM_SQ_SR_mSS_SV_bEUlT_E_NS1_11comp_targetILNS1_3genE8ELNS1_11target_archE1030ELNS1_3gpuE2ELNS1_3repE0EEENS1_30default_config_static_selectorELNS0_4arch9wavefront6targetE1EEEvSP_,"axG",@progbits,_ZN7rocprim17ROCPRIM_400000_NS6detail17trampoline_kernelINS0_14default_configENS1_29binary_search_config_selectorIjiEEZNS1_14transform_implILb0ES3_S5_N6thrust23THRUST_200600_302600_NS6detail15normal_iteratorINS8_10device_ptrIjEEEENSA_INSB_IiEEEEZNS1_13binary_searchIS3_S5_SD_SD_SF_NS1_16binary_search_opENS9_16wrapped_functionINS0_4lessIvEEbEEEE10hipError_tPvRmT1_T2_T3_mmT4_T5_P12ihipStream_tbEUlRKjE_EESM_SQ_SR_mSS_SV_bEUlT_E_NS1_11comp_targetILNS1_3genE8ELNS1_11target_archE1030ELNS1_3gpuE2ELNS1_3repE0EEENS1_30default_config_static_selectorELNS0_4arch9wavefront6targetE1EEEvSP_,comdat
	.protected	_ZN7rocprim17ROCPRIM_400000_NS6detail17trampoline_kernelINS0_14default_configENS1_29binary_search_config_selectorIjiEEZNS1_14transform_implILb0ES3_S5_N6thrust23THRUST_200600_302600_NS6detail15normal_iteratorINS8_10device_ptrIjEEEENSA_INSB_IiEEEEZNS1_13binary_searchIS3_S5_SD_SD_SF_NS1_16binary_search_opENS9_16wrapped_functionINS0_4lessIvEEbEEEE10hipError_tPvRmT1_T2_T3_mmT4_T5_P12ihipStream_tbEUlRKjE_EESM_SQ_SR_mSS_SV_bEUlT_E_NS1_11comp_targetILNS1_3genE8ELNS1_11target_archE1030ELNS1_3gpuE2ELNS1_3repE0EEENS1_30default_config_static_selectorELNS0_4arch9wavefront6targetE1EEEvSP_ ; -- Begin function _ZN7rocprim17ROCPRIM_400000_NS6detail17trampoline_kernelINS0_14default_configENS1_29binary_search_config_selectorIjiEEZNS1_14transform_implILb0ES3_S5_N6thrust23THRUST_200600_302600_NS6detail15normal_iteratorINS8_10device_ptrIjEEEENSA_INSB_IiEEEEZNS1_13binary_searchIS3_S5_SD_SD_SF_NS1_16binary_search_opENS9_16wrapped_functionINS0_4lessIvEEbEEEE10hipError_tPvRmT1_T2_T3_mmT4_T5_P12ihipStream_tbEUlRKjE_EESM_SQ_SR_mSS_SV_bEUlT_E_NS1_11comp_targetILNS1_3genE8ELNS1_11target_archE1030ELNS1_3gpuE2ELNS1_3repE0EEENS1_30default_config_static_selectorELNS0_4arch9wavefront6targetE1EEEvSP_
	.globl	_ZN7rocprim17ROCPRIM_400000_NS6detail17trampoline_kernelINS0_14default_configENS1_29binary_search_config_selectorIjiEEZNS1_14transform_implILb0ES3_S5_N6thrust23THRUST_200600_302600_NS6detail15normal_iteratorINS8_10device_ptrIjEEEENSA_INSB_IiEEEEZNS1_13binary_searchIS3_S5_SD_SD_SF_NS1_16binary_search_opENS9_16wrapped_functionINS0_4lessIvEEbEEEE10hipError_tPvRmT1_T2_T3_mmT4_T5_P12ihipStream_tbEUlRKjE_EESM_SQ_SR_mSS_SV_bEUlT_E_NS1_11comp_targetILNS1_3genE8ELNS1_11target_archE1030ELNS1_3gpuE2ELNS1_3repE0EEENS1_30default_config_static_selectorELNS0_4arch9wavefront6targetE1EEEvSP_
	.p2align	8
	.type	_ZN7rocprim17ROCPRIM_400000_NS6detail17trampoline_kernelINS0_14default_configENS1_29binary_search_config_selectorIjiEEZNS1_14transform_implILb0ES3_S5_N6thrust23THRUST_200600_302600_NS6detail15normal_iteratorINS8_10device_ptrIjEEEENSA_INSB_IiEEEEZNS1_13binary_searchIS3_S5_SD_SD_SF_NS1_16binary_search_opENS9_16wrapped_functionINS0_4lessIvEEbEEEE10hipError_tPvRmT1_T2_T3_mmT4_T5_P12ihipStream_tbEUlRKjE_EESM_SQ_SR_mSS_SV_bEUlT_E_NS1_11comp_targetILNS1_3genE8ELNS1_11target_archE1030ELNS1_3gpuE2ELNS1_3repE0EEENS1_30default_config_static_selectorELNS0_4arch9wavefront6targetE1EEEvSP_,@function
_ZN7rocprim17ROCPRIM_400000_NS6detail17trampoline_kernelINS0_14default_configENS1_29binary_search_config_selectorIjiEEZNS1_14transform_implILb0ES3_S5_N6thrust23THRUST_200600_302600_NS6detail15normal_iteratorINS8_10device_ptrIjEEEENSA_INSB_IiEEEEZNS1_13binary_searchIS3_S5_SD_SD_SF_NS1_16binary_search_opENS9_16wrapped_functionINS0_4lessIvEEbEEEE10hipError_tPvRmT1_T2_T3_mmT4_T5_P12ihipStream_tbEUlRKjE_EESM_SQ_SR_mSS_SV_bEUlT_E_NS1_11comp_targetILNS1_3genE8ELNS1_11target_archE1030ELNS1_3gpuE2ELNS1_3repE0EEENS1_30default_config_static_selectorELNS0_4arch9wavefront6targetE1EEEvSP_: ; @_ZN7rocprim17ROCPRIM_400000_NS6detail17trampoline_kernelINS0_14default_configENS1_29binary_search_config_selectorIjiEEZNS1_14transform_implILb0ES3_S5_N6thrust23THRUST_200600_302600_NS6detail15normal_iteratorINS8_10device_ptrIjEEEENSA_INSB_IiEEEEZNS1_13binary_searchIS3_S5_SD_SD_SF_NS1_16binary_search_opENS9_16wrapped_functionINS0_4lessIvEEbEEEE10hipError_tPvRmT1_T2_T3_mmT4_T5_P12ihipStream_tbEUlRKjE_EESM_SQ_SR_mSS_SV_bEUlT_E_NS1_11comp_targetILNS1_3genE8ELNS1_11target_archE1030ELNS1_3gpuE2ELNS1_3repE0EEENS1_30default_config_static_selectorELNS0_4arch9wavefront6targetE1EEEvSP_
; %bb.0:
	.section	.rodata,"a",@progbits
	.p2align	6, 0x0
	.amdhsa_kernel _ZN7rocprim17ROCPRIM_400000_NS6detail17trampoline_kernelINS0_14default_configENS1_29binary_search_config_selectorIjiEEZNS1_14transform_implILb0ES3_S5_N6thrust23THRUST_200600_302600_NS6detail15normal_iteratorINS8_10device_ptrIjEEEENSA_INSB_IiEEEEZNS1_13binary_searchIS3_S5_SD_SD_SF_NS1_16binary_search_opENS9_16wrapped_functionINS0_4lessIvEEbEEEE10hipError_tPvRmT1_T2_T3_mmT4_T5_P12ihipStream_tbEUlRKjE_EESM_SQ_SR_mSS_SV_bEUlT_E_NS1_11comp_targetILNS1_3genE8ELNS1_11target_archE1030ELNS1_3gpuE2ELNS1_3repE0EEENS1_30default_config_static_selectorELNS0_4arch9wavefront6targetE1EEEvSP_
		.amdhsa_group_segment_fixed_size 0
		.amdhsa_private_segment_fixed_size 0
		.amdhsa_kernarg_size 56
		.amdhsa_user_sgpr_count 6
		.amdhsa_user_sgpr_private_segment_buffer 1
		.amdhsa_user_sgpr_dispatch_ptr 0
		.amdhsa_user_sgpr_queue_ptr 0
		.amdhsa_user_sgpr_kernarg_segment_ptr 1
		.amdhsa_user_sgpr_dispatch_id 0
		.amdhsa_user_sgpr_flat_scratch_init 0
		.amdhsa_user_sgpr_kernarg_preload_length 0
		.amdhsa_user_sgpr_kernarg_preload_offset 0
		.amdhsa_user_sgpr_private_segment_size 0
		.amdhsa_uses_dynamic_stack 0
		.amdhsa_system_sgpr_private_segment_wavefront_offset 0
		.amdhsa_system_sgpr_workgroup_id_x 1
		.amdhsa_system_sgpr_workgroup_id_y 0
		.amdhsa_system_sgpr_workgroup_id_z 0
		.amdhsa_system_sgpr_workgroup_info 0
		.amdhsa_system_vgpr_workitem_id 0
		.amdhsa_next_free_vgpr 1
		.amdhsa_next_free_sgpr 0
		.amdhsa_accum_offset 4
		.amdhsa_reserve_vcc 0
		.amdhsa_reserve_flat_scratch 0
		.amdhsa_float_round_mode_32 0
		.amdhsa_float_round_mode_16_64 0
		.amdhsa_float_denorm_mode_32 3
		.amdhsa_float_denorm_mode_16_64 3
		.amdhsa_dx10_clamp 1
		.amdhsa_ieee_mode 1
		.amdhsa_fp16_overflow 0
		.amdhsa_tg_split 0
		.amdhsa_exception_fp_ieee_invalid_op 0
		.amdhsa_exception_fp_denorm_src 0
		.amdhsa_exception_fp_ieee_div_zero 0
		.amdhsa_exception_fp_ieee_overflow 0
		.amdhsa_exception_fp_ieee_underflow 0
		.amdhsa_exception_fp_ieee_inexact 0
		.amdhsa_exception_int_div_zero 0
	.end_amdhsa_kernel
	.section	.text._ZN7rocprim17ROCPRIM_400000_NS6detail17trampoline_kernelINS0_14default_configENS1_29binary_search_config_selectorIjiEEZNS1_14transform_implILb0ES3_S5_N6thrust23THRUST_200600_302600_NS6detail15normal_iteratorINS8_10device_ptrIjEEEENSA_INSB_IiEEEEZNS1_13binary_searchIS3_S5_SD_SD_SF_NS1_16binary_search_opENS9_16wrapped_functionINS0_4lessIvEEbEEEE10hipError_tPvRmT1_T2_T3_mmT4_T5_P12ihipStream_tbEUlRKjE_EESM_SQ_SR_mSS_SV_bEUlT_E_NS1_11comp_targetILNS1_3genE8ELNS1_11target_archE1030ELNS1_3gpuE2ELNS1_3repE0EEENS1_30default_config_static_selectorELNS0_4arch9wavefront6targetE1EEEvSP_,"axG",@progbits,_ZN7rocprim17ROCPRIM_400000_NS6detail17trampoline_kernelINS0_14default_configENS1_29binary_search_config_selectorIjiEEZNS1_14transform_implILb0ES3_S5_N6thrust23THRUST_200600_302600_NS6detail15normal_iteratorINS8_10device_ptrIjEEEENSA_INSB_IiEEEEZNS1_13binary_searchIS3_S5_SD_SD_SF_NS1_16binary_search_opENS9_16wrapped_functionINS0_4lessIvEEbEEEE10hipError_tPvRmT1_T2_T3_mmT4_T5_P12ihipStream_tbEUlRKjE_EESM_SQ_SR_mSS_SV_bEUlT_E_NS1_11comp_targetILNS1_3genE8ELNS1_11target_archE1030ELNS1_3gpuE2ELNS1_3repE0EEENS1_30default_config_static_selectorELNS0_4arch9wavefront6targetE1EEEvSP_,comdat
.Lfunc_end473:
	.size	_ZN7rocprim17ROCPRIM_400000_NS6detail17trampoline_kernelINS0_14default_configENS1_29binary_search_config_selectorIjiEEZNS1_14transform_implILb0ES3_S5_N6thrust23THRUST_200600_302600_NS6detail15normal_iteratorINS8_10device_ptrIjEEEENSA_INSB_IiEEEEZNS1_13binary_searchIS3_S5_SD_SD_SF_NS1_16binary_search_opENS9_16wrapped_functionINS0_4lessIvEEbEEEE10hipError_tPvRmT1_T2_T3_mmT4_T5_P12ihipStream_tbEUlRKjE_EESM_SQ_SR_mSS_SV_bEUlT_E_NS1_11comp_targetILNS1_3genE8ELNS1_11target_archE1030ELNS1_3gpuE2ELNS1_3repE0EEENS1_30default_config_static_selectorELNS0_4arch9wavefront6targetE1EEEvSP_, .Lfunc_end473-_ZN7rocprim17ROCPRIM_400000_NS6detail17trampoline_kernelINS0_14default_configENS1_29binary_search_config_selectorIjiEEZNS1_14transform_implILb0ES3_S5_N6thrust23THRUST_200600_302600_NS6detail15normal_iteratorINS8_10device_ptrIjEEEENSA_INSB_IiEEEEZNS1_13binary_searchIS3_S5_SD_SD_SF_NS1_16binary_search_opENS9_16wrapped_functionINS0_4lessIvEEbEEEE10hipError_tPvRmT1_T2_T3_mmT4_T5_P12ihipStream_tbEUlRKjE_EESM_SQ_SR_mSS_SV_bEUlT_E_NS1_11comp_targetILNS1_3genE8ELNS1_11target_archE1030ELNS1_3gpuE2ELNS1_3repE0EEENS1_30default_config_static_selectorELNS0_4arch9wavefront6targetE1EEEvSP_
                                        ; -- End function
	.section	.AMDGPU.csdata,"",@progbits
; Kernel info:
; codeLenInByte = 0
; NumSgprs: 4
; NumVgprs: 0
; NumAgprs: 0
; TotalNumVgprs: 0
; ScratchSize: 0
; MemoryBound: 0
; FloatMode: 240
; IeeeMode: 1
; LDSByteSize: 0 bytes/workgroup (compile time only)
; SGPRBlocks: 0
; VGPRBlocks: 0
; NumSGPRsForWavesPerEU: 4
; NumVGPRsForWavesPerEU: 1
; AccumOffset: 4
; Occupancy: 8
; WaveLimiterHint : 0
; COMPUTE_PGM_RSRC2:SCRATCH_EN: 0
; COMPUTE_PGM_RSRC2:USER_SGPR: 6
; COMPUTE_PGM_RSRC2:TRAP_HANDLER: 0
; COMPUTE_PGM_RSRC2:TGID_X_EN: 1
; COMPUTE_PGM_RSRC2:TGID_Y_EN: 0
; COMPUTE_PGM_RSRC2:TGID_Z_EN: 0
; COMPUTE_PGM_RSRC2:TIDIG_COMP_CNT: 0
; COMPUTE_PGM_RSRC3_GFX90A:ACCUM_OFFSET: 0
; COMPUTE_PGM_RSRC3_GFX90A:TG_SPLIT: 0
	.section	.text._ZN7rocprim17ROCPRIM_400000_NS6detail17trampoline_kernelINS0_14default_configENS1_29binary_search_config_selectorItbEEZNS1_14transform_implILb0ES3_S5_N6thrust23THRUST_200600_302600_NS6detail15normal_iteratorINS8_10device_ptrItEEEENSA_INSB_IbEEEEZNS1_13binary_searchIS3_S5_SD_SD_SF_NS1_16binary_search_opENS9_16wrapped_functionINS0_4lessIvEEbEEEE10hipError_tPvRmT1_T2_T3_mmT4_T5_P12ihipStream_tbEUlRKtE_EESM_SQ_SR_mSS_SV_bEUlT_E_NS1_11comp_targetILNS1_3genE0ELNS1_11target_archE4294967295ELNS1_3gpuE0ELNS1_3repE0EEENS1_30default_config_static_selectorELNS0_4arch9wavefront6targetE1EEEvSP_,"axG",@progbits,_ZN7rocprim17ROCPRIM_400000_NS6detail17trampoline_kernelINS0_14default_configENS1_29binary_search_config_selectorItbEEZNS1_14transform_implILb0ES3_S5_N6thrust23THRUST_200600_302600_NS6detail15normal_iteratorINS8_10device_ptrItEEEENSA_INSB_IbEEEEZNS1_13binary_searchIS3_S5_SD_SD_SF_NS1_16binary_search_opENS9_16wrapped_functionINS0_4lessIvEEbEEEE10hipError_tPvRmT1_T2_T3_mmT4_T5_P12ihipStream_tbEUlRKtE_EESM_SQ_SR_mSS_SV_bEUlT_E_NS1_11comp_targetILNS1_3genE0ELNS1_11target_archE4294967295ELNS1_3gpuE0ELNS1_3repE0EEENS1_30default_config_static_selectorELNS0_4arch9wavefront6targetE1EEEvSP_,comdat
	.protected	_ZN7rocprim17ROCPRIM_400000_NS6detail17trampoline_kernelINS0_14default_configENS1_29binary_search_config_selectorItbEEZNS1_14transform_implILb0ES3_S5_N6thrust23THRUST_200600_302600_NS6detail15normal_iteratorINS8_10device_ptrItEEEENSA_INSB_IbEEEEZNS1_13binary_searchIS3_S5_SD_SD_SF_NS1_16binary_search_opENS9_16wrapped_functionINS0_4lessIvEEbEEEE10hipError_tPvRmT1_T2_T3_mmT4_T5_P12ihipStream_tbEUlRKtE_EESM_SQ_SR_mSS_SV_bEUlT_E_NS1_11comp_targetILNS1_3genE0ELNS1_11target_archE4294967295ELNS1_3gpuE0ELNS1_3repE0EEENS1_30default_config_static_selectorELNS0_4arch9wavefront6targetE1EEEvSP_ ; -- Begin function _ZN7rocprim17ROCPRIM_400000_NS6detail17trampoline_kernelINS0_14default_configENS1_29binary_search_config_selectorItbEEZNS1_14transform_implILb0ES3_S5_N6thrust23THRUST_200600_302600_NS6detail15normal_iteratorINS8_10device_ptrItEEEENSA_INSB_IbEEEEZNS1_13binary_searchIS3_S5_SD_SD_SF_NS1_16binary_search_opENS9_16wrapped_functionINS0_4lessIvEEbEEEE10hipError_tPvRmT1_T2_T3_mmT4_T5_P12ihipStream_tbEUlRKtE_EESM_SQ_SR_mSS_SV_bEUlT_E_NS1_11comp_targetILNS1_3genE0ELNS1_11target_archE4294967295ELNS1_3gpuE0ELNS1_3repE0EEENS1_30default_config_static_selectorELNS0_4arch9wavefront6targetE1EEEvSP_
	.globl	_ZN7rocprim17ROCPRIM_400000_NS6detail17trampoline_kernelINS0_14default_configENS1_29binary_search_config_selectorItbEEZNS1_14transform_implILb0ES3_S5_N6thrust23THRUST_200600_302600_NS6detail15normal_iteratorINS8_10device_ptrItEEEENSA_INSB_IbEEEEZNS1_13binary_searchIS3_S5_SD_SD_SF_NS1_16binary_search_opENS9_16wrapped_functionINS0_4lessIvEEbEEEE10hipError_tPvRmT1_T2_T3_mmT4_T5_P12ihipStream_tbEUlRKtE_EESM_SQ_SR_mSS_SV_bEUlT_E_NS1_11comp_targetILNS1_3genE0ELNS1_11target_archE4294967295ELNS1_3gpuE0ELNS1_3repE0EEENS1_30default_config_static_selectorELNS0_4arch9wavefront6targetE1EEEvSP_
	.p2align	8
	.type	_ZN7rocprim17ROCPRIM_400000_NS6detail17trampoline_kernelINS0_14default_configENS1_29binary_search_config_selectorItbEEZNS1_14transform_implILb0ES3_S5_N6thrust23THRUST_200600_302600_NS6detail15normal_iteratorINS8_10device_ptrItEEEENSA_INSB_IbEEEEZNS1_13binary_searchIS3_S5_SD_SD_SF_NS1_16binary_search_opENS9_16wrapped_functionINS0_4lessIvEEbEEEE10hipError_tPvRmT1_T2_T3_mmT4_T5_P12ihipStream_tbEUlRKtE_EESM_SQ_SR_mSS_SV_bEUlT_E_NS1_11comp_targetILNS1_3genE0ELNS1_11target_archE4294967295ELNS1_3gpuE0ELNS1_3repE0EEENS1_30default_config_static_selectorELNS0_4arch9wavefront6targetE1EEEvSP_,@function
_ZN7rocprim17ROCPRIM_400000_NS6detail17trampoline_kernelINS0_14default_configENS1_29binary_search_config_selectorItbEEZNS1_14transform_implILb0ES3_S5_N6thrust23THRUST_200600_302600_NS6detail15normal_iteratorINS8_10device_ptrItEEEENSA_INSB_IbEEEEZNS1_13binary_searchIS3_S5_SD_SD_SF_NS1_16binary_search_opENS9_16wrapped_functionINS0_4lessIvEEbEEEE10hipError_tPvRmT1_T2_T3_mmT4_T5_P12ihipStream_tbEUlRKtE_EESM_SQ_SR_mSS_SV_bEUlT_E_NS1_11comp_targetILNS1_3genE0ELNS1_11target_archE4294967295ELNS1_3gpuE0ELNS1_3repE0EEENS1_30default_config_static_selectorELNS0_4arch9wavefront6targetE1EEEvSP_: ; @_ZN7rocprim17ROCPRIM_400000_NS6detail17trampoline_kernelINS0_14default_configENS1_29binary_search_config_selectorItbEEZNS1_14transform_implILb0ES3_S5_N6thrust23THRUST_200600_302600_NS6detail15normal_iteratorINS8_10device_ptrItEEEENSA_INSB_IbEEEEZNS1_13binary_searchIS3_S5_SD_SD_SF_NS1_16binary_search_opENS9_16wrapped_functionINS0_4lessIvEEbEEEE10hipError_tPvRmT1_T2_T3_mmT4_T5_P12ihipStream_tbEUlRKtE_EESM_SQ_SR_mSS_SV_bEUlT_E_NS1_11comp_targetILNS1_3genE0ELNS1_11target_archE4294967295ELNS1_3gpuE0ELNS1_3repE0EEENS1_30default_config_static_selectorELNS0_4arch9wavefront6targetE1EEEvSP_
; %bb.0:
	.section	.rodata,"a",@progbits
	.p2align	6, 0x0
	.amdhsa_kernel _ZN7rocprim17ROCPRIM_400000_NS6detail17trampoline_kernelINS0_14default_configENS1_29binary_search_config_selectorItbEEZNS1_14transform_implILb0ES3_S5_N6thrust23THRUST_200600_302600_NS6detail15normal_iteratorINS8_10device_ptrItEEEENSA_INSB_IbEEEEZNS1_13binary_searchIS3_S5_SD_SD_SF_NS1_16binary_search_opENS9_16wrapped_functionINS0_4lessIvEEbEEEE10hipError_tPvRmT1_T2_T3_mmT4_T5_P12ihipStream_tbEUlRKtE_EESM_SQ_SR_mSS_SV_bEUlT_E_NS1_11comp_targetILNS1_3genE0ELNS1_11target_archE4294967295ELNS1_3gpuE0ELNS1_3repE0EEENS1_30default_config_static_selectorELNS0_4arch9wavefront6targetE1EEEvSP_
		.amdhsa_group_segment_fixed_size 0
		.amdhsa_private_segment_fixed_size 0
		.amdhsa_kernarg_size 56
		.amdhsa_user_sgpr_count 6
		.amdhsa_user_sgpr_private_segment_buffer 1
		.amdhsa_user_sgpr_dispatch_ptr 0
		.amdhsa_user_sgpr_queue_ptr 0
		.amdhsa_user_sgpr_kernarg_segment_ptr 1
		.amdhsa_user_sgpr_dispatch_id 0
		.amdhsa_user_sgpr_flat_scratch_init 0
		.amdhsa_user_sgpr_kernarg_preload_length 0
		.amdhsa_user_sgpr_kernarg_preload_offset 0
		.amdhsa_user_sgpr_private_segment_size 0
		.amdhsa_uses_dynamic_stack 0
		.amdhsa_system_sgpr_private_segment_wavefront_offset 0
		.amdhsa_system_sgpr_workgroup_id_x 1
		.amdhsa_system_sgpr_workgroup_id_y 0
		.amdhsa_system_sgpr_workgroup_id_z 0
		.amdhsa_system_sgpr_workgroup_info 0
		.amdhsa_system_vgpr_workitem_id 0
		.amdhsa_next_free_vgpr 1
		.amdhsa_next_free_sgpr 0
		.amdhsa_accum_offset 4
		.amdhsa_reserve_vcc 0
		.amdhsa_reserve_flat_scratch 0
		.amdhsa_float_round_mode_32 0
		.amdhsa_float_round_mode_16_64 0
		.amdhsa_float_denorm_mode_32 3
		.amdhsa_float_denorm_mode_16_64 3
		.amdhsa_dx10_clamp 1
		.amdhsa_ieee_mode 1
		.amdhsa_fp16_overflow 0
		.amdhsa_tg_split 0
		.amdhsa_exception_fp_ieee_invalid_op 0
		.amdhsa_exception_fp_denorm_src 0
		.amdhsa_exception_fp_ieee_div_zero 0
		.amdhsa_exception_fp_ieee_overflow 0
		.amdhsa_exception_fp_ieee_underflow 0
		.amdhsa_exception_fp_ieee_inexact 0
		.amdhsa_exception_int_div_zero 0
	.end_amdhsa_kernel
	.section	.text._ZN7rocprim17ROCPRIM_400000_NS6detail17trampoline_kernelINS0_14default_configENS1_29binary_search_config_selectorItbEEZNS1_14transform_implILb0ES3_S5_N6thrust23THRUST_200600_302600_NS6detail15normal_iteratorINS8_10device_ptrItEEEENSA_INSB_IbEEEEZNS1_13binary_searchIS3_S5_SD_SD_SF_NS1_16binary_search_opENS9_16wrapped_functionINS0_4lessIvEEbEEEE10hipError_tPvRmT1_T2_T3_mmT4_T5_P12ihipStream_tbEUlRKtE_EESM_SQ_SR_mSS_SV_bEUlT_E_NS1_11comp_targetILNS1_3genE0ELNS1_11target_archE4294967295ELNS1_3gpuE0ELNS1_3repE0EEENS1_30default_config_static_selectorELNS0_4arch9wavefront6targetE1EEEvSP_,"axG",@progbits,_ZN7rocprim17ROCPRIM_400000_NS6detail17trampoline_kernelINS0_14default_configENS1_29binary_search_config_selectorItbEEZNS1_14transform_implILb0ES3_S5_N6thrust23THRUST_200600_302600_NS6detail15normal_iteratorINS8_10device_ptrItEEEENSA_INSB_IbEEEEZNS1_13binary_searchIS3_S5_SD_SD_SF_NS1_16binary_search_opENS9_16wrapped_functionINS0_4lessIvEEbEEEE10hipError_tPvRmT1_T2_T3_mmT4_T5_P12ihipStream_tbEUlRKtE_EESM_SQ_SR_mSS_SV_bEUlT_E_NS1_11comp_targetILNS1_3genE0ELNS1_11target_archE4294967295ELNS1_3gpuE0ELNS1_3repE0EEENS1_30default_config_static_selectorELNS0_4arch9wavefront6targetE1EEEvSP_,comdat
.Lfunc_end474:
	.size	_ZN7rocprim17ROCPRIM_400000_NS6detail17trampoline_kernelINS0_14default_configENS1_29binary_search_config_selectorItbEEZNS1_14transform_implILb0ES3_S5_N6thrust23THRUST_200600_302600_NS6detail15normal_iteratorINS8_10device_ptrItEEEENSA_INSB_IbEEEEZNS1_13binary_searchIS3_S5_SD_SD_SF_NS1_16binary_search_opENS9_16wrapped_functionINS0_4lessIvEEbEEEE10hipError_tPvRmT1_T2_T3_mmT4_T5_P12ihipStream_tbEUlRKtE_EESM_SQ_SR_mSS_SV_bEUlT_E_NS1_11comp_targetILNS1_3genE0ELNS1_11target_archE4294967295ELNS1_3gpuE0ELNS1_3repE0EEENS1_30default_config_static_selectorELNS0_4arch9wavefront6targetE1EEEvSP_, .Lfunc_end474-_ZN7rocprim17ROCPRIM_400000_NS6detail17trampoline_kernelINS0_14default_configENS1_29binary_search_config_selectorItbEEZNS1_14transform_implILb0ES3_S5_N6thrust23THRUST_200600_302600_NS6detail15normal_iteratorINS8_10device_ptrItEEEENSA_INSB_IbEEEEZNS1_13binary_searchIS3_S5_SD_SD_SF_NS1_16binary_search_opENS9_16wrapped_functionINS0_4lessIvEEbEEEE10hipError_tPvRmT1_T2_T3_mmT4_T5_P12ihipStream_tbEUlRKtE_EESM_SQ_SR_mSS_SV_bEUlT_E_NS1_11comp_targetILNS1_3genE0ELNS1_11target_archE4294967295ELNS1_3gpuE0ELNS1_3repE0EEENS1_30default_config_static_selectorELNS0_4arch9wavefront6targetE1EEEvSP_
                                        ; -- End function
	.section	.AMDGPU.csdata,"",@progbits
; Kernel info:
; codeLenInByte = 0
; NumSgprs: 4
; NumVgprs: 0
; NumAgprs: 0
; TotalNumVgprs: 0
; ScratchSize: 0
; MemoryBound: 0
; FloatMode: 240
; IeeeMode: 1
; LDSByteSize: 0 bytes/workgroup (compile time only)
; SGPRBlocks: 0
; VGPRBlocks: 0
; NumSGPRsForWavesPerEU: 4
; NumVGPRsForWavesPerEU: 1
; AccumOffset: 4
; Occupancy: 8
; WaveLimiterHint : 0
; COMPUTE_PGM_RSRC2:SCRATCH_EN: 0
; COMPUTE_PGM_RSRC2:USER_SGPR: 6
; COMPUTE_PGM_RSRC2:TRAP_HANDLER: 0
; COMPUTE_PGM_RSRC2:TGID_X_EN: 1
; COMPUTE_PGM_RSRC2:TGID_Y_EN: 0
; COMPUTE_PGM_RSRC2:TGID_Z_EN: 0
; COMPUTE_PGM_RSRC2:TIDIG_COMP_CNT: 0
; COMPUTE_PGM_RSRC3_GFX90A:ACCUM_OFFSET: 0
; COMPUTE_PGM_RSRC3_GFX90A:TG_SPLIT: 0
	.section	.text._ZN7rocprim17ROCPRIM_400000_NS6detail17trampoline_kernelINS0_14default_configENS1_29binary_search_config_selectorItbEEZNS1_14transform_implILb0ES3_S5_N6thrust23THRUST_200600_302600_NS6detail15normal_iteratorINS8_10device_ptrItEEEENSA_INSB_IbEEEEZNS1_13binary_searchIS3_S5_SD_SD_SF_NS1_16binary_search_opENS9_16wrapped_functionINS0_4lessIvEEbEEEE10hipError_tPvRmT1_T2_T3_mmT4_T5_P12ihipStream_tbEUlRKtE_EESM_SQ_SR_mSS_SV_bEUlT_E_NS1_11comp_targetILNS1_3genE5ELNS1_11target_archE942ELNS1_3gpuE9ELNS1_3repE0EEENS1_30default_config_static_selectorELNS0_4arch9wavefront6targetE1EEEvSP_,"axG",@progbits,_ZN7rocprim17ROCPRIM_400000_NS6detail17trampoline_kernelINS0_14default_configENS1_29binary_search_config_selectorItbEEZNS1_14transform_implILb0ES3_S5_N6thrust23THRUST_200600_302600_NS6detail15normal_iteratorINS8_10device_ptrItEEEENSA_INSB_IbEEEEZNS1_13binary_searchIS3_S5_SD_SD_SF_NS1_16binary_search_opENS9_16wrapped_functionINS0_4lessIvEEbEEEE10hipError_tPvRmT1_T2_T3_mmT4_T5_P12ihipStream_tbEUlRKtE_EESM_SQ_SR_mSS_SV_bEUlT_E_NS1_11comp_targetILNS1_3genE5ELNS1_11target_archE942ELNS1_3gpuE9ELNS1_3repE0EEENS1_30default_config_static_selectorELNS0_4arch9wavefront6targetE1EEEvSP_,comdat
	.protected	_ZN7rocprim17ROCPRIM_400000_NS6detail17trampoline_kernelINS0_14default_configENS1_29binary_search_config_selectorItbEEZNS1_14transform_implILb0ES3_S5_N6thrust23THRUST_200600_302600_NS6detail15normal_iteratorINS8_10device_ptrItEEEENSA_INSB_IbEEEEZNS1_13binary_searchIS3_S5_SD_SD_SF_NS1_16binary_search_opENS9_16wrapped_functionINS0_4lessIvEEbEEEE10hipError_tPvRmT1_T2_T3_mmT4_T5_P12ihipStream_tbEUlRKtE_EESM_SQ_SR_mSS_SV_bEUlT_E_NS1_11comp_targetILNS1_3genE5ELNS1_11target_archE942ELNS1_3gpuE9ELNS1_3repE0EEENS1_30default_config_static_selectorELNS0_4arch9wavefront6targetE1EEEvSP_ ; -- Begin function _ZN7rocprim17ROCPRIM_400000_NS6detail17trampoline_kernelINS0_14default_configENS1_29binary_search_config_selectorItbEEZNS1_14transform_implILb0ES3_S5_N6thrust23THRUST_200600_302600_NS6detail15normal_iteratorINS8_10device_ptrItEEEENSA_INSB_IbEEEEZNS1_13binary_searchIS3_S5_SD_SD_SF_NS1_16binary_search_opENS9_16wrapped_functionINS0_4lessIvEEbEEEE10hipError_tPvRmT1_T2_T3_mmT4_T5_P12ihipStream_tbEUlRKtE_EESM_SQ_SR_mSS_SV_bEUlT_E_NS1_11comp_targetILNS1_3genE5ELNS1_11target_archE942ELNS1_3gpuE9ELNS1_3repE0EEENS1_30default_config_static_selectorELNS0_4arch9wavefront6targetE1EEEvSP_
	.globl	_ZN7rocprim17ROCPRIM_400000_NS6detail17trampoline_kernelINS0_14default_configENS1_29binary_search_config_selectorItbEEZNS1_14transform_implILb0ES3_S5_N6thrust23THRUST_200600_302600_NS6detail15normal_iteratorINS8_10device_ptrItEEEENSA_INSB_IbEEEEZNS1_13binary_searchIS3_S5_SD_SD_SF_NS1_16binary_search_opENS9_16wrapped_functionINS0_4lessIvEEbEEEE10hipError_tPvRmT1_T2_T3_mmT4_T5_P12ihipStream_tbEUlRKtE_EESM_SQ_SR_mSS_SV_bEUlT_E_NS1_11comp_targetILNS1_3genE5ELNS1_11target_archE942ELNS1_3gpuE9ELNS1_3repE0EEENS1_30default_config_static_selectorELNS0_4arch9wavefront6targetE1EEEvSP_
	.p2align	8
	.type	_ZN7rocprim17ROCPRIM_400000_NS6detail17trampoline_kernelINS0_14default_configENS1_29binary_search_config_selectorItbEEZNS1_14transform_implILb0ES3_S5_N6thrust23THRUST_200600_302600_NS6detail15normal_iteratorINS8_10device_ptrItEEEENSA_INSB_IbEEEEZNS1_13binary_searchIS3_S5_SD_SD_SF_NS1_16binary_search_opENS9_16wrapped_functionINS0_4lessIvEEbEEEE10hipError_tPvRmT1_T2_T3_mmT4_T5_P12ihipStream_tbEUlRKtE_EESM_SQ_SR_mSS_SV_bEUlT_E_NS1_11comp_targetILNS1_3genE5ELNS1_11target_archE942ELNS1_3gpuE9ELNS1_3repE0EEENS1_30default_config_static_selectorELNS0_4arch9wavefront6targetE1EEEvSP_,@function
_ZN7rocprim17ROCPRIM_400000_NS6detail17trampoline_kernelINS0_14default_configENS1_29binary_search_config_selectorItbEEZNS1_14transform_implILb0ES3_S5_N6thrust23THRUST_200600_302600_NS6detail15normal_iteratorINS8_10device_ptrItEEEENSA_INSB_IbEEEEZNS1_13binary_searchIS3_S5_SD_SD_SF_NS1_16binary_search_opENS9_16wrapped_functionINS0_4lessIvEEbEEEE10hipError_tPvRmT1_T2_T3_mmT4_T5_P12ihipStream_tbEUlRKtE_EESM_SQ_SR_mSS_SV_bEUlT_E_NS1_11comp_targetILNS1_3genE5ELNS1_11target_archE942ELNS1_3gpuE9ELNS1_3repE0EEENS1_30default_config_static_selectorELNS0_4arch9wavefront6targetE1EEEvSP_: ; @_ZN7rocprim17ROCPRIM_400000_NS6detail17trampoline_kernelINS0_14default_configENS1_29binary_search_config_selectorItbEEZNS1_14transform_implILb0ES3_S5_N6thrust23THRUST_200600_302600_NS6detail15normal_iteratorINS8_10device_ptrItEEEENSA_INSB_IbEEEEZNS1_13binary_searchIS3_S5_SD_SD_SF_NS1_16binary_search_opENS9_16wrapped_functionINS0_4lessIvEEbEEEE10hipError_tPvRmT1_T2_T3_mmT4_T5_P12ihipStream_tbEUlRKtE_EESM_SQ_SR_mSS_SV_bEUlT_E_NS1_11comp_targetILNS1_3genE5ELNS1_11target_archE942ELNS1_3gpuE9ELNS1_3repE0EEENS1_30default_config_static_selectorELNS0_4arch9wavefront6targetE1EEEvSP_
; %bb.0:
	.section	.rodata,"a",@progbits
	.p2align	6, 0x0
	.amdhsa_kernel _ZN7rocprim17ROCPRIM_400000_NS6detail17trampoline_kernelINS0_14default_configENS1_29binary_search_config_selectorItbEEZNS1_14transform_implILb0ES3_S5_N6thrust23THRUST_200600_302600_NS6detail15normal_iteratorINS8_10device_ptrItEEEENSA_INSB_IbEEEEZNS1_13binary_searchIS3_S5_SD_SD_SF_NS1_16binary_search_opENS9_16wrapped_functionINS0_4lessIvEEbEEEE10hipError_tPvRmT1_T2_T3_mmT4_T5_P12ihipStream_tbEUlRKtE_EESM_SQ_SR_mSS_SV_bEUlT_E_NS1_11comp_targetILNS1_3genE5ELNS1_11target_archE942ELNS1_3gpuE9ELNS1_3repE0EEENS1_30default_config_static_selectorELNS0_4arch9wavefront6targetE1EEEvSP_
		.amdhsa_group_segment_fixed_size 0
		.amdhsa_private_segment_fixed_size 0
		.amdhsa_kernarg_size 56
		.amdhsa_user_sgpr_count 6
		.amdhsa_user_sgpr_private_segment_buffer 1
		.amdhsa_user_sgpr_dispatch_ptr 0
		.amdhsa_user_sgpr_queue_ptr 0
		.amdhsa_user_sgpr_kernarg_segment_ptr 1
		.amdhsa_user_sgpr_dispatch_id 0
		.amdhsa_user_sgpr_flat_scratch_init 0
		.amdhsa_user_sgpr_kernarg_preload_length 0
		.amdhsa_user_sgpr_kernarg_preload_offset 0
		.amdhsa_user_sgpr_private_segment_size 0
		.amdhsa_uses_dynamic_stack 0
		.amdhsa_system_sgpr_private_segment_wavefront_offset 0
		.amdhsa_system_sgpr_workgroup_id_x 1
		.amdhsa_system_sgpr_workgroup_id_y 0
		.amdhsa_system_sgpr_workgroup_id_z 0
		.amdhsa_system_sgpr_workgroup_info 0
		.amdhsa_system_vgpr_workitem_id 0
		.amdhsa_next_free_vgpr 1
		.amdhsa_next_free_sgpr 0
		.amdhsa_accum_offset 4
		.amdhsa_reserve_vcc 0
		.amdhsa_reserve_flat_scratch 0
		.amdhsa_float_round_mode_32 0
		.amdhsa_float_round_mode_16_64 0
		.amdhsa_float_denorm_mode_32 3
		.amdhsa_float_denorm_mode_16_64 3
		.amdhsa_dx10_clamp 1
		.amdhsa_ieee_mode 1
		.amdhsa_fp16_overflow 0
		.amdhsa_tg_split 0
		.amdhsa_exception_fp_ieee_invalid_op 0
		.amdhsa_exception_fp_denorm_src 0
		.amdhsa_exception_fp_ieee_div_zero 0
		.amdhsa_exception_fp_ieee_overflow 0
		.amdhsa_exception_fp_ieee_underflow 0
		.amdhsa_exception_fp_ieee_inexact 0
		.amdhsa_exception_int_div_zero 0
	.end_amdhsa_kernel
	.section	.text._ZN7rocprim17ROCPRIM_400000_NS6detail17trampoline_kernelINS0_14default_configENS1_29binary_search_config_selectorItbEEZNS1_14transform_implILb0ES3_S5_N6thrust23THRUST_200600_302600_NS6detail15normal_iteratorINS8_10device_ptrItEEEENSA_INSB_IbEEEEZNS1_13binary_searchIS3_S5_SD_SD_SF_NS1_16binary_search_opENS9_16wrapped_functionINS0_4lessIvEEbEEEE10hipError_tPvRmT1_T2_T3_mmT4_T5_P12ihipStream_tbEUlRKtE_EESM_SQ_SR_mSS_SV_bEUlT_E_NS1_11comp_targetILNS1_3genE5ELNS1_11target_archE942ELNS1_3gpuE9ELNS1_3repE0EEENS1_30default_config_static_selectorELNS0_4arch9wavefront6targetE1EEEvSP_,"axG",@progbits,_ZN7rocprim17ROCPRIM_400000_NS6detail17trampoline_kernelINS0_14default_configENS1_29binary_search_config_selectorItbEEZNS1_14transform_implILb0ES3_S5_N6thrust23THRUST_200600_302600_NS6detail15normal_iteratorINS8_10device_ptrItEEEENSA_INSB_IbEEEEZNS1_13binary_searchIS3_S5_SD_SD_SF_NS1_16binary_search_opENS9_16wrapped_functionINS0_4lessIvEEbEEEE10hipError_tPvRmT1_T2_T3_mmT4_T5_P12ihipStream_tbEUlRKtE_EESM_SQ_SR_mSS_SV_bEUlT_E_NS1_11comp_targetILNS1_3genE5ELNS1_11target_archE942ELNS1_3gpuE9ELNS1_3repE0EEENS1_30default_config_static_selectorELNS0_4arch9wavefront6targetE1EEEvSP_,comdat
.Lfunc_end475:
	.size	_ZN7rocprim17ROCPRIM_400000_NS6detail17trampoline_kernelINS0_14default_configENS1_29binary_search_config_selectorItbEEZNS1_14transform_implILb0ES3_S5_N6thrust23THRUST_200600_302600_NS6detail15normal_iteratorINS8_10device_ptrItEEEENSA_INSB_IbEEEEZNS1_13binary_searchIS3_S5_SD_SD_SF_NS1_16binary_search_opENS9_16wrapped_functionINS0_4lessIvEEbEEEE10hipError_tPvRmT1_T2_T3_mmT4_T5_P12ihipStream_tbEUlRKtE_EESM_SQ_SR_mSS_SV_bEUlT_E_NS1_11comp_targetILNS1_3genE5ELNS1_11target_archE942ELNS1_3gpuE9ELNS1_3repE0EEENS1_30default_config_static_selectorELNS0_4arch9wavefront6targetE1EEEvSP_, .Lfunc_end475-_ZN7rocprim17ROCPRIM_400000_NS6detail17trampoline_kernelINS0_14default_configENS1_29binary_search_config_selectorItbEEZNS1_14transform_implILb0ES3_S5_N6thrust23THRUST_200600_302600_NS6detail15normal_iteratorINS8_10device_ptrItEEEENSA_INSB_IbEEEEZNS1_13binary_searchIS3_S5_SD_SD_SF_NS1_16binary_search_opENS9_16wrapped_functionINS0_4lessIvEEbEEEE10hipError_tPvRmT1_T2_T3_mmT4_T5_P12ihipStream_tbEUlRKtE_EESM_SQ_SR_mSS_SV_bEUlT_E_NS1_11comp_targetILNS1_3genE5ELNS1_11target_archE942ELNS1_3gpuE9ELNS1_3repE0EEENS1_30default_config_static_selectorELNS0_4arch9wavefront6targetE1EEEvSP_
                                        ; -- End function
	.section	.AMDGPU.csdata,"",@progbits
; Kernel info:
; codeLenInByte = 0
; NumSgprs: 4
; NumVgprs: 0
; NumAgprs: 0
; TotalNumVgprs: 0
; ScratchSize: 0
; MemoryBound: 0
; FloatMode: 240
; IeeeMode: 1
; LDSByteSize: 0 bytes/workgroup (compile time only)
; SGPRBlocks: 0
; VGPRBlocks: 0
; NumSGPRsForWavesPerEU: 4
; NumVGPRsForWavesPerEU: 1
; AccumOffset: 4
; Occupancy: 8
; WaveLimiterHint : 0
; COMPUTE_PGM_RSRC2:SCRATCH_EN: 0
; COMPUTE_PGM_RSRC2:USER_SGPR: 6
; COMPUTE_PGM_RSRC2:TRAP_HANDLER: 0
; COMPUTE_PGM_RSRC2:TGID_X_EN: 1
; COMPUTE_PGM_RSRC2:TGID_Y_EN: 0
; COMPUTE_PGM_RSRC2:TGID_Z_EN: 0
; COMPUTE_PGM_RSRC2:TIDIG_COMP_CNT: 0
; COMPUTE_PGM_RSRC3_GFX90A:ACCUM_OFFSET: 0
; COMPUTE_PGM_RSRC3_GFX90A:TG_SPLIT: 0
	.section	.text._ZN7rocprim17ROCPRIM_400000_NS6detail17trampoline_kernelINS0_14default_configENS1_29binary_search_config_selectorItbEEZNS1_14transform_implILb0ES3_S5_N6thrust23THRUST_200600_302600_NS6detail15normal_iteratorINS8_10device_ptrItEEEENSA_INSB_IbEEEEZNS1_13binary_searchIS3_S5_SD_SD_SF_NS1_16binary_search_opENS9_16wrapped_functionINS0_4lessIvEEbEEEE10hipError_tPvRmT1_T2_T3_mmT4_T5_P12ihipStream_tbEUlRKtE_EESM_SQ_SR_mSS_SV_bEUlT_E_NS1_11comp_targetILNS1_3genE4ELNS1_11target_archE910ELNS1_3gpuE8ELNS1_3repE0EEENS1_30default_config_static_selectorELNS0_4arch9wavefront6targetE1EEEvSP_,"axG",@progbits,_ZN7rocprim17ROCPRIM_400000_NS6detail17trampoline_kernelINS0_14default_configENS1_29binary_search_config_selectorItbEEZNS1_14transform_implILb0ES3_S5_N6thrust23THRUST_200600_302600_NS6detail15normal_iteratorINS8_10device_ptrItEEEENSA_INSB_IbEEEEZNS1_13binary_searchIS3_S5_SD_SD_SF_NS1_16binary_search_opENS9_16wrapped_functionINS0_4lessIvEEbEEEE10hipError_tPvRmT1_T2_T3_mmT4_T5_P12ihipStream_tbEUlRKtE_EESM_SQ_SR_mSS_SV_bEUlT_E_NS1_11comp_targetILNS1_3genE4ELNS1_11target_archE910ELNS1_3gpuE8ELNS1_3repE0EEENS1_30default_config_static_selectorELNS0_4arch9wavefront6targetE1EEEvSP_,comdat
	.protected	_ZN7rocprim17ROCPRIM_400000_NS6detail17trampoline_kernelINS0_14default_configENS1_29binary_search_config_selectorItbEEZNS1_14transform_implILb0ES3_S5_N6thrust23THRUST_200600_302600_NS6detail15normal_iteratorINS8_10device_ptrItEEEENSA_INSB_IbEEEEZNS1_13binary_searchIS3_S5_SD_SD_SF_NS1_16binary_search_opENS9_16wrapped_functionINS0_4lessIvEEbEEEE10hipError_tPvRmT1_T2_T3_mmT4_T5_P12ihipStream_tbEUlRKtE_EESM_SQ_SR_mSS_SV_bEUlT_E_NS1_11comp_targetILNS1_3genE4ELNS1_11target_archE910ELNS1_3gpuE8ELNS1_3repE0EEENS1_30default_config_static_selectorELNS0_4arch9wavefront6targetE1EEEvSP_ ; -- Begin function _ZN7rocprim17ROCPRIM_400000_NS6detail17trampoline_kernelINS0_14default_configENS1_29binary_search_config_selectorItbEEZNS1_14transform_implILb0ES3_S5_N6thrust23THRUST_200600_302600_NS6detail15normal_iteratorINS8_10device_ptrItEEEENSA_INSB_IbEEEEZNS1_13binary_searchIS3_S5_SD_SD_SF_NS1_16binary_search_opENS9_16wrapped_functionINS0_4lessIvEEbEEEE10hipError_tPvRmT1_T2_T3_mmT4_T5_P12ihipStream_tbEUlRKtE_EESM_SQ_SR_mSS_SV_bEUlT_E_NS1_11comp_targetILNS1_3genE4ELNS1_11target_archE910ELNS1_3gpuE8ELNS1_3repE0EEENS1_30default_config_static_selectorELNS0_4arch9wavefront6targetE1EEEvSP_
	.globl	_ZN7rocprim17ROCPRIM_400000_NS6detail17trampoline_kernelINS0_14default_configENS1_29binary_search_config_selectorItbEEZNS1_14transform_implILb0ES3_S5_N6thrust23THRUST_200600_302600_NS6detail15normal_iteratorINS8_10device_ptrItEEEENSA_INSB_IbEEEEZNS1_13binary_searchIS3_S5_SD_SD_SF_NS1_16binary_search_opENS9_16wrapped_functionINS0_4lessIvEEbEEEE10hipError_tPvRmT1_T2_T3_mmT4_T5_P12ihipStream_tbEUlRKtE_EESM_SQ_SR_mSS_SV_bEUlT_E_NS1_11comp_targetILNS1_3genE4ELNS1_11target_archE910ELNS1_3gpuE8ELNS1_3repE0EEENS1_30default_config_static_selectorELNS0_4arch9wavefront6targetE1EEEvSP_
	.p2align	8
	.type	_ZN7rocprim17ROCPRIM_400000_NS6detail17trampoline_kernelINS0_14default_configENS1_29binary_search_config_selectorItbEEZNS1_14transform_implILb0ES3_S5_N6thrust23THRUST_200600_302600_NS6detail15normal_iteratorINS8_10device_ptrItEEEENSA_INSB_IbEEEEZNS1_13binary_searchIS3_S5_SD_SD_SF_NS1_16binary_search_opENS9_16wrapped_functionINS0_4lessIvEEbEEEE10hipError_tPvRmT1_T2_T3_mmT4_T5_P12ihipStream_tbEUlRKtE_EESM_SQ_SR_mSS_SV_bEUlT_E_NS1_11comp_targetILNS1_3genE4ELNS1_11target_archE910ELNS1_3gpuE8ELNS1_3repE0EEENS1_30default_config_static_selectorELNS0_4arch9wavefront6targetE1EEEvSP_,@function
_ZN7rocprim17ROCPRIM_400000_NS6detail17trampoline_kernelINS0_14default_configENS1_29binary_search_config_selectorItbEEZNS1_14transform_implILb0ES3_S5_N6thrust23THRUST_200600_302600_NS6detail15normal_iteratorINS8_10device_ptrItEEEENSA_INSB_IbEEEEZNS1_13binary_searchIS3_S5_SD_SD_SF_NS1_16binary_search_opENS9_16wrapped_functionINS0_4lessIvEEbEEEE10hipError_tPvRmT1_T2_T3_mmT4_T5_P12ihipStream_tbEUlRKtE_EESM_SQ_SR_mSS_SV_bEUlT_E_NS1_11comp_targetILNS1_3genE4ELNS1_11target_archE910ELNS1_3gpuE8ELNS1_3repE0EEENS1_30default_config_static_selectorELNS0_4arch9wavefront6targetE1EEEvSP_: ; @_ZN7rocprim17ROCPRIM_400000_NS6detail17trampoline_kernelINS0_14default_configENS1_29binary_search_config_selectorItbEEZNS1_14transform_implILb0ES3_S5_N6thrust23THRUST_200600_302600_NS6detail15normal_iteratorINS8_10device_ptrItEEEENSA_INSB_IbEEEEZNS1_13binary_searchIS3_S5_SD_SD_SF_NS1_16binary_search_opENS9_16wrapped_functionINS0_4lessIvEEbEEEE10hipError_tPvRmT1_T2_T3_mmT4_T5_P12ihipStream_tbEUlRKtE_EESM_SQ_SR_mSS_SV_bEUlT_E_NS1_11comp_targetILNS1_3genE4ELNS1_11target_archE910ELNS1_3gpuE8ELNS1_3repE0EEENS1_30default_config_static_selectorELNS0_4arch9wavefront6targetE1EEEvSP_
; %bb.0:
	s_load_dwordx4 s[12:15], s[4:5], 0x0
	s_load_dwordx4 s[0:3], s[4:5], 0x18
	s_load_dwordx2 s[10:11], s[4:5], 0x28
	s_load_dword s7, s[4:5], 0x38
	s_waitcnt lgkmcnt(0)
	s_lshl_b64 s[8:9], s[14:15], 1
	s_add_u32 s16, s12, s8
	s_addc_u32 s17, s13, s9
	s_add_u32 s14, s0, s14
	s_addc_u32 s15, s1, s15
	s_lshl_b32 s8, s6, 8
	s_add_i32 s7, s7, -1
	s_mov_b32 s9, 0
	s_cmp_lg_u32 s6, s7
	s_mov_b64 s[0:1], -1
	s_cbranch_scc0 .LBB476_8
; %bb.1:
	s_lshl_b64 s[0:1], s[8:9], 1
	s_add_u32 s0, s16, s0
	s_addc_u32 s1, s17, s1
	v_lshlrev_b32_e32 v1, 1, v0
	v_mov_b32_e32 v3, s1
	v_add_co_u32_e32 v2, vcc, s0, v1
	v_addc_co_u32_e32 v3, vcc, 0, v3, vcc
	flat_load_ushort v1, v[2:3]
	s_mov_b64 s[0:1], 0
	s_cmp_eq_u64 s[10:11], 0
	v_pk_mov_b32 v[2:3], 0, 0
	s_cbranch_scc1 .LBB476_5
; %bb.2:
	v_pk_mov_b32 v[2:3], 0, 0
	v_pk_mov_b32 v[4:5], s[10:11], s[10:11] op_sel:[0,1]
	v_mov_b32_e32 v6, s3
.LBB476_3:                              ; =>This Inner Loop Header: Depth=1
	v_sub_co_u32_e32 v8, vcc, v4, v2
	v_subb_co_u32_e32 v9, vcc, v5, v3, vcc
	v_lshrrev_b64 v[10:11], 1, v[8:9]
	v_add_co_u32_e32 v7, vcc, v10, v2
	v_lshrrev_b64 v[8:9], 6, v[8:9]
	v_addc_co_u32_e32 v10, vcc, v11, v3, vcc
	v_add_co_u32_e32 v8, vcc, v7, v8
	v_addc_co_u32_e32 v9, vcc, v10, v9, vcc
	v_lshlrev_b64 v[10:11], 1, v[8:9]
	v_add_co_u32_e32 v10, vcc, s2, v10
	v_addc_co_u32_e32 v11, vcc, v6, v11, vcc
	global_load_ushort v7, v[10:11], off
	v_add_co_u32_e32 v10, vcc, 1, v8
	v_addc_co_u32_e32 v11, vcc, 0, v9, vcc
	s_waitcnt vmcnt(0) lgkmcnt(0)
	v_cmp_lt_u16_e32 vcc, v7, v1
	v_cndmask_b32_e32 v5, v9, v5, vcc
	v_cndmask_b32_e32 v4, v8, v4, vcc
	;; [unrolled: 1-line block ×4, first 2 shown]
	v_cmp_ge_u64_e32 vcc, v[2:3], v[4:5]
	s_or_b64 s[0:1], vcc, s[0:1]
	s_andn2_b64 exec, exec, s[0:1]
	s_cbranch_execnz .LBB476_3
; %bb.4:
	s_or_b64 exec, exec, s[0:1]
.LBB476_5:
	v_cmp_ne_u64_e32 vcc, s[10:11], v[2:3]
	s_mov_b64 s[0:1], 0
	s_mov_b64 s[12:13], 0
	s_and_saveexec_b64 s[6:7], vcc
	s_cbranch_execz .LBB476_7
; %bb.6:
	v_lshlrev_b64 v[2:3], 1, v[2:3]
	v_mov_b32_e32 v4, s3
	v_add_co_u32_e32 v2, vcc, s2, v2
	v_addc_co_u32_e32 v3, vcc, v4, v3, vcc
	global_load_ushort v2, v[2:3], off
	s_waitcnt vmcnt(0) lgkmcnt(0)
	v_cmp_le_u16_e32 vcc, v2, v1
	s_and_b64 s[12:13], vcc, exec
.LBB476_7:
	s_or_b64 exec, exec, s[6:7]
	s_add_u32 s6, s14, s8
	s_addc_u32 s7, s15, 0
	v_mov_b32_e32 v3, s7
	v_add_co_u32_e32 v2, vcc, s6, v0
	s_waitcnt vmcnt(0) lgkmcnt(0)
	v_cndmask_b32_e64 v1, 0, 1, s[12:13]
	v_addc_co_u32_e32 v3, vcc, 0, v3, vcc
	flat_store_byte v[2:3], v1
.LBB476_8:
	s_and_b64 vcc, exec, s[0:1]
	s_cbranch_vccz .LBB476_13
; %bb.9:
	s_load_dword s0, s[4:5], 0x10
                                        ; implicit-def: $vgpr1
	s_waitcnt lgkmcnt(0)
	s_sub_i32 s0, s0, s8
	v_cmp_gt_u32_e32 vcc, s0, v0
	s_and_saveexec_b64 s[4:5], vcc
	s_cbranch_execnz .LBB476_14
; %bb.10:
	s_or_b64 exec, exec, s[4:5]
                                        ; implicit-def: $vgpr2
	s_and_saveexec_b64 s[4:5], vcc
	s_cbranch_execnz .LBB476_15
.LBB476_11:
	s_or_b64 exec, exec, s[4:5]
	s_and_saveexec_b64 s[0:1], vcc
	s_cbranch_execz .LBB476_13
.LBB476_12:
	s_add_u32 s0, s14, s8
	s_addc_u32 s1, s15, 0
	s_waitcnt vmcnt(0) lgkmcnt(0)
	v_mov_b32_e32 v1, s1
	v_add_co_u32_e32 v0, vcc, s0, v0
	v_addc_co_u32_e32 v1, vcc, 0, v1, vcc
	flat_store_byte v[0:1], v2
.LBB476_13:
	s_endpgm
.LBB476_14:
	s_lshl_b64 s[0:1], s[8:9], 1
	s_add_u32 s0, s16, s0
	s_addc_u32 s1, s17, s1
	v_lshlrev_b32_e32 v1, 1, v0
	v_mov_b32_e32 v3, s1
	v_add_co_u32_e64 v2, s[0:1], s0, v1
	v_addc_co_u32_e64 v3, s[0:1], 0, v3, s[0:1]
	flat_load_ushort v1, v[2:3]
	s_or_b64 exec, exec, s[4:5]
                                        ; implicit-def: $vgpr2
	s_and_saveexec_b64 s[4:5], vcc
	s_cbranch_execz .LBB476_11
.LBB476_15:
	s_mov_b64 s[6:7], 0
	s_cmp_eq_u64 s[10:11], 0
	v_pk_mov_b32 v[2:3], 0, 0
	s_cbranch_scc1 .LBB476_19
; %bb.16:
	v_pk_mov_b32 v[2:3], 0, 0
	v_pk_mov_b32 v[4:5], s[10:11], s[10:11] op_sel:[0,1]
	v_mov_b32_e32 v6, s3
.LBB476_17:                             ; =>This Inner Loop Header: Depth=1
	v_sub_co_u32_e64 v8, s[0:1], v4, v2
	v_subb_co_u32_e64 v9, s[0:1], v5, v3, s[0:1]
	v_lshrrev_b64 v[10:11], 1, v[8:9]
	v_add_co_u32_e64 v7, s[0:1], v10, v2
	v_lshrrev_b64 v[8:9], 6, v[8:9]
	v_addc_co_u32_e64 v10, s[0:1], v11, v3, s[0:1]
	v_add_co_u32_e64 v8, s[0:1], v7, v8
	v_addc_co_u32_e64 v9, s[0:1], v10, v9, s[0:1]
	v_lshlrev_b64 v[10:11], 1, v[8:9]
	v_add_co_u32_e64 v10, s[0:1], s2, v10
	v_addc_co_u32_e64 v11, s[0:1], v6, v11, s[0:1]
	global_load_ushort v7, v[10:11], off
	v_add_co_u32_e64 v10, s[0:1], 1, v8
	v_addc_co_u32_e64 v11, s[0:1], 0, v9, s[0:1]
	s_waitcnt vmcnt(0) lgkmcnt(0)
	v_cmp_lt_u16_e64 s[0:1], v7, v1
	v_cndmask_b32_e64 v5, v9, v5, s[0:1]
	v_cndmask_b32_e64 v4, v8, v4, s[0:1]
	;; [unrolled: 1-line block ×4, first 2 shown]
	v_cmp_ge_u64_e64 s[0:1], v[2:3], v[4:5]
	s_or_b64 s[6:7], s[0:1], s[6:7]
	s_andn2_b64 exec, exec, s[6:7]
	s_cbranch_execnz .LBB476_17
; %bb.18:
	s_or_b64 exec, exec, s[6:7]
.LBB476_19:
	v_cmp_ne_u64_e64 s[0:1], s[10:11], v[2:3]
	s_mov_b64 s[10:11], 0
	s_and_saveexec_b64 s[6:7], s[0:1]
	s_cbranch_execz .LBB476_21
; %bb.20:
	v_lshlrev_b64 v[2:3], 1, v[2:3]
	v_mov_b32_e32 v4, s3
	v_add_co_u32_e64 v2, s[0:1], s2, v2
	v_addc_co_u32_e64 v3, s[0:1], v4, v3, s[0:1]
	global_load_ushort v2, v[2:3], off
	s_waitcnt vmcnt(0) lgkmcnt(0)
	v_cmp_le_u16_e64 s[0:1], v2, v1
	s_and_b64 s[10:11], s[0:1], exec
.LBB476_21:
	s_or_b64 exec, exec, s[6:7]
	v_cndmask_b32_e64 v2, 0, 1, s[10:11]
	s_or_b64 exec, exec, s[4:5]
	s_and_saveexec_b64 s[0:1], vcc
	s_cbranch_execnz .LBB476_12
	s_branch .LBB476_13
	.section	.rodata,"a",@progbits
	.p2align	6, 0x0
	.amdhsa_kernel _ZN7rocprim17ROCPRIM_400000_NS6detail17trampoline_kernelINS0_14default_configENS1_29binary_search_config_selectorItbEEZNS1_14transform_implILb0ES3_S5_N6thrust23THRUST_200600_302600_NS6detail15normal_iteratorINS8_10device_ptrItEEEENSA_INSB_IbEEEEZNS1_13binary_searchIS3_S5_SD_SD_SF_NS1_16binary_search_opENS9_16wrapped_functionINS0_4lessIvEEbEEEE10hipError_tPvRmT1_T2_T3_mmT4_T5_P12ihipStream_tbEUlRKtE_EESM_SQ_SR_mSS_SV_bEUlT_E_NS1_11comp_targetILNS1_3genE4ELNS1_11target_archE910ELNS1_3gpuE8ELNS1_3repE0EEENS1_30default_config_static_selectorELNS0_4arch9wavefront6targetE1EEEvSP_
		.amdhsa_group_segment_fixed_size 0
		.amdhsa_private_segment_fixed_size 0
		.amdhsa_kernarg_size 312
		.amdhsa_user_sgpr_count 6
		.amdhsa_user_sgpr_private_segment_buffer 1
		.amdhsa_user_sgpr_dispatch_ptr 0
		.amdhsa_user_sgpr_queue_ptr 0
		.amdhsa_user_sgpr_kernarg_segment_ptr 1
		.amdhsa_user_sgpr_dispatch_id 0
		.amdhsa_user_sgpr_flat_scratch_init 0
		.amdhsa_user_sgpr_kernarg_preload_length 0
		.amdhsa_user_sgpr_kernarg_preload_offset 0
		.amdhsa_user_sgpr_private_segment_size 0
		.amdhsa_uses_dynamic_stack 0
		.amdhsa_system_sgpr_private_segment_wavefront_offset 0
		.amdhsa_system_sgpr_workgroup_id_x 1
		.amdhsa_system_sgpr_workgroup_id_y 0
		.amdhsa_system_sgpr_workgroup_id_z 0
		.amdhsa_system_sgpr_workgroup_info 0
		.amdhsa_system_vgpr_workitem_id 0
		.amdhsa_next_free_vgpr 12
		.amdhsa_next_free_sgpr 18
		.amdhsa_accum_offset 12
		.amdhsa_reserve_vcc 1
		.amdhsa_reserve_flat_scratch 0
		.amdhsa_float_round_mode_32 0
		.amdhsa_float_round_mode_16_64 0
		.amdhsa_float_denorm_mode_32 3
		.amdhsa_float_denorm_mode_16_64 3
		.amdhsa_dx10_clamp 1
		.amdhsa_ieee_mode 1
		.amdhsa_fp16_overflow 0
		.amdhsa_tg_split 0
		.amdhsa_exception_fp_ieee_invalid_op 0
		.amdhsa_exception_fp_denorm_src 0
		.amdhsa_exception_fp_ieee_div_zero 0
		.amdhsa_exception_fp_ieee_overflow 0
		.amdhsa_exception_fp_ieee_underflow 0
		.amdhsa_exception_fp_ieee_inexact 0
		.amdhsa_exception_int_div_zero 0
	.end_amdhsa_kernel
	.section	.text._ZN7rocprim17ROCPRIM_400000_NS6detail17trampoline_kernelINS0_14default_configENS1_29binary_search_config_selectorItbEEZNS1_14transform_implILb0ES3_S5_N6thrust23THRUST_200600_302600_NS6detail15normal_iteratorINS8_10device_ptrItEEEENSA_INSB_IbEEEEZNS1_13binary_searchIS3_S5_SD_SD_SF_NS1_16binary_search_opENS9_16wrapped_functionINS0_4lessIvEEbEEEE10hipError_tPvRmT1_T2_T3_mmT4_T5_P12ihipStream_tbEUlRKtE_EESM_SQ_SR_mSS_SV_bEUlT_E_NS1_11comp_targetILNS1_3genE4ELNS1_11target_archE910ELNS1_3gpuE8ELNS1_3repE0EEENS1_30default_config_static_selectorELNS0_4arch9wavefront6targetE1EEEvSP_,"axG",@progbits,_ZN7rocprim17ROCPRIM_400000_NS6detail17trampoline_kernelINS0_14default_configENS1_29binary_search_config_selectorItbEEZNS1_14transform_implILb0ES3_S5_N6thrust23THRUST_200600_302600_NS6detail15normal_iteratorINS8_10device_ptrItEEEENSA_INSB_IbEEEEZNS1_13binary_searchIS3_S5_SD_SD_SF_NS1_16binary_search_opENS9_16wrapped_functionINS0_4lessIvEEbEEEE10hipError_tPvRmT1_T2_T3_mmT4_T5_P12ihipStream_tbEUlRKtE_EESM_SQ_SR_mSS_SV_bEUlT_E_NS1_11comp_targetILNS1_3genE4ELNS1_11target_archE910ELNS1_3gpuE8ELNS1_3repE0EEENS1_30default_config_static_selectorELNS0_4arch9wavefront6targetE1EEEvSP_,comdat
.Lfunc_end476:
	.size	_ZN7rocprim17ROCPRIM_400000_NS6detail17trampoline_kernelINS0_14default_configENS1_29binary_search_config_selectorItbEEZNS1_14transform_implILb0ES3_S5_N6thrust23THRUST_200600_302600_NS6detail15normal_iteratorINS8_10device_ptrItEEEENSA_INSB_IbEEEEZNS1_13binary_searchIS3_S5_SD_SD_SF_NS1_16binary_search_opENS9_16wrapped_functionINS0_4lessIvEEbEEEE10hipError_tPvRmT1_T2_T3_mmT4_T5_P12ihipStream_tbEUlRKtE_EESM_SQ_SR_mSS_SV_bEUlT_E_NS1_11comp_targetILNS1_3genE4ELNS1_11target_archE910ELNS1_3gpuE8ELNS1_3repE0EEENS1_30default_config_static_selectorELNS0_4arch9wavefront6targetE1EEEvSP_, .Lfunc_end476-_ZN7rocprim17ROCPRIM_400000_NS6detail17trampoline_kernelINS0_14default_configENS1_29binary_search_config_selectorItbEEZNS1_14transform_implILb0ES3_S5_N6thrust23THRUST_200600_302600_NS6detail15normal_iteratorINS8_10device_ptrItEEEENSA_INSB_IbEEEEZNS1_13binary_searchIS3_S5_SD_SD_SF_NS1_16binary_search_opENS9_16wrapped_functionINS0_4lessIvEEbEEEE10hipError_tPvRmT1_T2_T3_mmT4_T5_P12ihipStream_tbEUlRKtE_EESM_SQ_SR_mSS_SV_bEUlT_E_NS1_11comp_targetILNS1_3genE4ELNS1_11target_archE910ELNS1_3gpuE8ELNS1_3repE0EEENS1_30default_config_static_selectorELNS0_4arch9wavefront6targetE1EEEvSP_
                                        ; -- End function
	.section	.AMDGPU.csdata,"",@progbits
; Kernel info:
; codeLenInByte = 848
; NumSgprs: 22
; NumVgprs: 12
; NumAgprs: 0
; TotalNumVgprs: 12
; ScratchSize: 0
; MemoryBound: 0
; FloatMode: 240
; IeeeMode: 1
; LDSByteSize: 0 bytes/workgroup (compile time only)
; SGPRBlocks: 2
; VGPRBlocks: 1
; NumSGPRsForWavesPerEU: 22
; NumVGPRsForWavesPerEU: 12
; AccumOffset: 12
; Occupancy: 8
; WaveLimiterHint : 0
; COMPUTE_PGM_RSRC2:SCRATCH_EN: 0
; COMPUTE_PGM_RSRC2:USER_SGPR: 6
; COMPUTE_PGM_RSRC2:TRAP_HANDLER: 0
; COMPUTE_PGM_RSRC2:TGID_X_EN: 1
; COMPUTE_PGM_RSRC2:TGID_Y_EN: 0
; COMPUTE_PGM_RSRC2:TGID_Z_EN: 0
; COMPUTE_PGM_RSRC2:TIDIG_COMP_CNT: 0
; COMPUTE_PGM_RSRC3_GFX90A:ACCUM_OFFSET: 2
; COMPUTE_PGM_RSRC3_GFX90A:TG_SPLIT: 0
	.section	.text._ZN7rocprim17ROCPRIM_400000_NS6detail17trampoline_kernelINS0_14default_configENS1_29binary_search_config_selectorItbEEZNS1_14transform_implILb0ES3_S5_N6thrust23THRUST_200600_302600_NS6detail15normal_iteratorINS8_10device_ptrItEEEENSA_INSB_IbEEEEZNS1_13binary_searchIS3_S5_SD_SD_SF_NS1_16binary_search_opENS9_16wrapped_functionINS0_4lessIvEEbEEEE10hipError_tPvRmT1_T2_T3_mmT4_T5_P12ihipStream_tbEUlRKtE_EESM_SQ_SR_mSS_SV_bEUlT_E_NS1_11comp_targetILNS1_3genE3ELNS1_11target_archE908ELNS1_3gpuE7ELNS1_3repE0EEENS1_30default_config_static_selectorELNS0_4arch9wavefront6targetE1EEEvSP_,"axG",@progbits,_ZN7rocprim17ROCPRIM_400000_NS6detail17trampoline_kernelINS0_14default_configENS1_29binary_search_config_selectorItbEEZNS1_14transform_implILb0ES3_S5_N6thrust23THRUST_200600_302600_NS6detail15normal_iteratorINS8_10device_ptrItEEEENSA_INSB_IbEEEEZNS1_13binary_searchIS3_S5_SD_SD_SF_NS1_16binary_search_opENS9_16wrapped_functionINS0_4lessIvEEbEEEE10hipError_tPvRmT1_T2_T3_mmT4_T5_P12ihipStream_tbEUlRKtE_EESM_SQ_SR_mSS_SV_bEUlT_E_NS1_11comp_targetILNS1_3genE3ELNS1_11target_archE908ELNS1_3gpuE7ELNS1_3repE0EEENS1_30default_config_static_selectorELNS0_4arch9wavefront6targetE1EEEvSP_,comdat
	.protected	_ZN7rocprim17ROCPRIM_400000_NS6detail17trampoline_kernelINS0_14default_configENS1_29binary_search_config_selectorItbEEZNS1_14transform_implILb0ES3_S5_N6thrust23THRUST_200600_302600_NS6detail15normal_iteratorINS8_10device_ptrItEEEENSA_INSB_IbEEEEZNS1_13binary_searchIS3_S5_SD_SD_SF_NS1_16binary_search_opENS9_16wrapped_functionINS0_4lessIvEEbEEEE10hipError_tPvRmT1_T2_T3_mmT4_T5_P12ihipStream_tbEUlRKtE_EESM_SQ_SR_mSS_SV_bEUlT_E_NS1_11comp_targetILNS1_3genE3ELNS1_11target_archE908ELNS1_3gpuE7ELNS1_3repE0EEENS1_30default_config_static_selectorELNS0_4arch9wavefront6targetE1EEEvSP_ ; -- Begin function _ZN7rocprim17ROCPRIM_400000_NS6detail17trampoline_kernelINS0_14default_configENS1_29binary_search_config_selectorItbEEZNS1_14transform_implILb0ES3_S5_N6thrust23THRUST_200600_302600_NS6detail15normal_iteratorINS8_10device_ptrItEEEENSA_INSB_IbEEEEZNS1_13binary_searchIS3_S5_SD_SD_SF_NS1_16binary_search_opENS9_16wrapped_functionINS0_4lessIvEEbEEEE10hipError_tPvRmT1_T2_T3_mmT4_T5_P12ihipStream_tbEUlRKtE_EESM_SQ_SR_mSS_SV_bEUlT_E_NS1_11comp_targetILNS1_3genE3ELNS1_11target_archE908ELNS1_3gpuE7ELNS1_3repE0EEENS1_30default_config_static_selectorELNS0_4arch9wavefront6targetE1EEEvSP_
	.globl	_ZN7rocprim17ROCPRIM_400000_NS6detail17trampoline_kernelINS0_14default_configENS1_29binary_search_config_selectorItbEEZNS1_14transform_implILb0ES3_S5_N6thrust23THRUST_200600_302600_NS6detail15normal_iteratorINS8_10device_ptrItEEEENSA_INSB_IbEEEEZNS1_13binary_searchIS3_S5_SD_SD_SF_NS1_16binary_search_opENS9_16wrapped_functionINS0_4lessIvEEbEEEE10hipError_tPvRmT1_T2_T3_mmT4_T5_P12ihipStream_tbEUlRKtE_EESM_SQ_SR_mSS_SV_bEUlT_E_NS1_11comp_targetILNS1_3genE3ELNS1_11target_archE908ELNS1_3gpuE7ELNS1_3repE0EEENS1_30default_config_static_selectorELNS0_4arch9wavefront6targetE1EEEvSP_
	.p2align	8
	.type	_ZN7rocprim17ROCPRIM_400000_NS6detail17trampoline_kernelINS0_14default_configENS1_29binary_search_config_selectorItbEEZNS1_14transform_implILb0ES3_S5_N6thrust23THRUST_200600_302600_NS6detail15normal_iteratorINS8_10device_ptrItEEEENSA_INSB_IbEEEEZNS1_13binary_searchIS3_S5_SD_SD_SF_NS1_16binary_search_opENS9_16wrapped_functionINS0_4lessIvEEbEEEE10hipError_tPvRmT1_T2_T3_mmT4_T5_P12ihipStream_tbEUlRKtE_EESM_SQ_SR_mSS_SV_bEUlT_E_NS1_11comp_targetILNS1_3genE3ELNS1_11target_archE908ELNS1_3gpuE7ELNS1_3repE0EEENS1_30default_config_static_selectorELNS0_4arch9wavefront6targetE1EEEvSP_,@function
_ZN7rocprim17ROCPRIM_400000_NS6detail17trampoline_kernelINS0_14default_configENS1_29binary_search_config_selectorItbEEZNS1_14transform_implILb0ES3_S5_N6thrust23THRUST_200600_302600_NS6detail15normal_iteratorINS8_10device_ptrItEEEENSA_INSB_IbEEEEZNS1_13binary_searchIS3_S5_SD_SD_SF_NS1_16binary_search_opENS9_16wrapped_functionINS0_4lessIvEEbEEEE10hipError_tPvRmT1_T2_T3_mmT4_T5_P12ihipStream_tbEUlRKtE_EESM_SQ_SR_mSS_SV_bEUlT_E_NS1_11comp_targetILNS1_3genE3ELNS1_11target_archE908ELNS1_3gpuE7ELNS1_3repE0EEENS1_30default_config_static_selectorELNS0_4arch9wavefront6targetE1EEEvSP_: ; @_ZN7rocprim17ROCPRIM_400000_NS6detail17trampoline_kernelINS0_14default_configENS1_29binary_search_config_selectorItbEEZNS1_14transform_implILb0ES3_S5_N6thrust23THRUST_200600_302600_NS6detail15normal_iteratorINS8_10device_ptrItEEEENSA_INSB_IbEEEEZNS1_13binary_searchIS3_S5_SD_SD_SF_NS1_16binary_search_opENS9_16wrapped_functionINS0_4lessIvEEbEEEE10hipError_tPvRmT1_T2_T3_mmT4_T5_P12ihipStream_tbEUlRKtE_EESM_SQ_SR_mSS_SV_bEUlT_E_NS1_11comp_targetILNS1_3genE3ELNS1_11target_archE908ELNS1_3gpuE7ELNS1_3repE0EEENS1_30default_config_static_selectorELNS0_4arch9wavefront6targetE1EEEvSP_
; %bb.0:
	.section	.rodata,"a",@progbits
	.p2align	6, 0x0
	.amdhsa_kernel _ZN7rocprim17ROCPRIM_400000_NS6detail17trampoline_kernelINS0_14default_configENS1_29binary_search_config_selectorItbEEZNS1_14transform_implILb0ES3_S5_N6thrust23THRUST_200600_302600_NS6detail15normal_iteratorINS8_10device_ptrItEEEENSA_INSB_IbEEEEZNS1_13binary_searchIS3_S5_SD_SD_SF_NS1_16binary_search_opENS9_16wrapped_functionINS0_4lessIvEEbEEEE10hipError_tPvRmT1_T2_T3_mmT4_T5_P12ihipStream_tbEUlRKtE_EESM_SQ_SR_mSS_SV_bEUlT_E_NS1_11comp_targetILNS1_3genE3ELNS1_11target_archE908ELNS1_3gpuE7ELNS1_3repE0EEENS1_30default_config_static_selectorELNS0_4arch9wavefront6targetE1EEEvSP_
		.amdhsa_group_segment_fixed_size 0
		.amdhsa_private_segment_fixed_size 0
		.amdhsa_kernarg_size 56
		.amdhsa_user_sgpr_count 6
		.amdhsa_user_sgpr_private_segment_buffer 1
		.amdhsa_user_sgpr_dispatch_ptr 0
		.amdhsa_user_sgpr_queue_ptr 0
		.amdhsa_user_sgpr_kernarg_segment_ptr 1
		.amdhsa_user_sgpr_dispatch_id 0
		.amdhsa_user_sgpr_flat_scratch_init 0
		.amdhsa_user_sgpr_kernarg_preload_length 0
		.amdhsa_user_sgpr_kernarg_preload_offset 0
		.amdhsa_user_sgpr_private_segment_size 0
		.amdhsa_uses_dynamic_stack 0
		.amdhsa_system_sgpr_private_segment_wavefront_offset 0
		.amdhsa_system_sgpr_workgroup_id_x 1
		.amdhsa_system_sgpr_workgroup_id_y 0
		.amdhsa_system_sgpr_workgroup_id_z 0
		.amdhsa_system_sgpr_workgroup_info 0
		.amdhsa_system_vgpr_workitem_id 0
		.amdhsa_next_free_vgpr 1
		.amdhsa_next_free_sgpr 0
		.amdhsa_accum_offset 4
		.amdhsa_reserve_vcc 0
		.amdhsa_reserve_flat_scratch 0
		.amdhsa_float_round_mode_32 0
		.amdhsa_float_round_mode_16_64 0
		.amdhsa_float_denorm_mode_32 3
		.amdhsa_float_denorm_mode_16_64 3
		.amdhsa_dx10_clamp 1
		.amdhsa_ieee_mode 1
		.amdhsa_fp16_overflow 0
		.amdhsa_tg_split 0
		.amdhsa_exception_fp_ieee_invalid_op 0
		.amdhsa_exception_fp_denorm_src 0
		.amdhsa_exception_fp_ieee_div_zero 0
		.amdhsa_exception_fp_ieee_overflow 0
		.amdhsa_exception_fp_ieee_underflow 0
		.amdhsa_exception_fp_ieee_inexact 0
		.amdhsa_exception_int_div_zero 0
	.end_amdhsa_kernel
	.section	.text._ZN7rocprim17ROCPRIM_400000_NS6detail17trampoline_kernelINS0_14default_configENS1_29binary_search_config_selectorItbEEZNS1_14transform_implILb0ES3_S5_N6thrust23THRUST_200600_302600_NS6detail15normal_iteratorINS8_10device_ptrItEEEENSA_INSB_IbEEEEZNS1_13binary_searchIS3_S5_SD_SD_SF_NS1_16binary_search_opENS9_16wrapped_functionINS0_4lessIvEEbEEEE10hipError_tPvRmT1_T2_T3_mmT4_T5_P12ihipStream_tbEUlRKtE_EESM_SQ_SR_mSS_SV_bEUlT_E_NS1_11comp_targetILNS1_3genE3ELNS1_11target_archE908ELNS1_3gpuE7ELNS1_3repE0EEENS1_30default_config_static_selectorELNS0_4arch9wavefront6targetE1EEEvSP_,"axG",@progbits,_ZN7rocprim17ROCPRIM_400000_NS6detail17trampoline_kernelINS0_14default_configENS1_29binary_search_config_selectorItbEEZNS1_14transform_implILb0ES3_S5_N6thrust23THRUST_200600_302600_NS6detail15normal_iteratorINS8_10device_ptrItEEEENSA_INSB_IbEEEEZNS1_13binary_searchIS3_S5_SD_SD_SF_NS1_16binary_search_opENS9_16wrapped_functionINS0_4lessIvEEbEEEE10hipError_tPvRmT1_T2_T3_mmT4_T5_P12ihipStream_tbEUlRKtE_EESM_SQ_SR_mSS_SV_bEUlT_E_NS1_11comp_targetILNS1_3genE3ELNS1_11target_archE908ELNS1_3gpuE7ELNS1_3repE0EEENS1_30default_config_static_selectorELNS0_4arch9wavefront6targetE1EEEvSP_,comdat
.Lfunc_end477:
	.size	_ZN7rocprim17ROCPRIM_400000_NS6detail17trampoline_kernelINS0_14default_configENS1_29binary_search_config_selectorItbEEZNS1_14transform_implILb0ES3_S5_N6thrust23THRUST_200600_302600_NS6detail15normal_iteratorINS8_10device_ptrItEEEENSA_INSB_IbEEEEZNS1_13binary_searchIS3_S5_SD_SD_SF_NS1_16binary_search_opENS9_16wrapped_functionINS0_4lessIvEEbEEEE10hipError_tPvRmT1_T2_T3_mmT4_T5_P12ihipStream_tbEUlRKtE_EESM_SQ_SR_mSS_SV_bEUlT_E_NS1_11comp_targetILNS1_3genE3ELNS1_11target_archE908ELNS1_3gpuE7ELNS1_3repE0EEENS1_30default_config_static_selectorELNS0_4arch9wavefront6targetE1EEEvSP_, .Lfunc_end477-_ZN7rocprim17ROCPRIM_400000_NS6detail17trampoline_kernelINS0_14default_configENS1_29binary_search_config_selectorItbEEZNS1_14transform_implILb0ES3_S5_N6thrust23THRUST_200600_302600_NS6detail15normal_iteratorINS8_10device_ptrItEEEENSA_INSB_IbEEEEZNS1_13binary_searchIS3_S5_SD_SD_SF_NS1_16binary_search_opENS9_16wrapped_functionINS0_4lessIvEEbEEEE10hipError_tPvRmT1_T2_T3_mmT4_T5_P12ihipStream_tbEUlRKtE_EESM_SQ_SR_mSS_SV_bEUlT_E_NS1_11comp_targetILNS1_3genE3ELNS1_11target_archE908ELNS1_3gpuE7ELNS1_3repE0EEENS1_30default_config_static_selectorELNS0_4arch9wavefront6targetE1EEEvSP_
                                        ; -- End function
	.section	.AMDGPU.csdata,"",@progbits
; Kernel info:
; codeLenInByte = 0
; NumSgprs: 4
; NumVgprs: 0
; NumAgprs: 0
; TotalNumVgprs: 0
; ScratchSize: 0
; MemoryBound: 0
; FloatMode: 240
; IeeeMode: 1
; LDSByteSize: 0 bytes/workgroup (compile time only)
; SGPRBlocks: 0
; VGPRBlocks: 0
; NumSGPRsForWavesPerEU: 4
; NumVGPRsForWavesPerEU: 1
; AccumOffset: 4
; Occupancy: 8
; WaveLimiterHint : 0
; COMPUTE_PGM_RSRC2:SCRATCH_EN: 0
; COMPUTE_PGM_RSRC2:USER_SGPR: 6
; COMPUTE_PGM_RSRC2:TRAP_HANDLER: 0
; COMPUTE_PGM_RSRC2:TGID_X_EN: 1
; COMPUTE_PGM_RSRC2:TGID_Y_EN: 0
; COMPUTE_PGM_RSRC2:TGID_Z_EN: 0
; COMPUTE_PGM_RSRC2:TIDIG_COMP_CNT: 0
; COMPUTE_PGM_RSRC3_GFX90A:ACCUM_OFFSET: 0
; COMPUTE_PGM_RSRC3_GFX90A:TG_SPLIT: 0
	.section	.text._ZN7rocprim17ROCPRIM_400000_NS6detail17trampoline_kernelINS0_14default_configENS1_29binary_search_config_selectorItbEEZNS1_14transform_implILb0ES3_S5_N6thrust23THRUST_200600_302600_NS6detail15normal_iteratorINS8_10device_ptrItEEEENSA_INSB_IbEEEEZNS1_13binary_searchIS3_S5_SD_SD_SF_NS1_16binary_search_opENS9_16wrapped_functionINS0_4lessIvEEbEEEE10hipError_tPvRmT1_T2_T3_mmT4_T5_P12ihipStream_tbEUlRKtE_EESM_SQ_SR_mSS_SV_bEUlT_E_NS1_11comp_targetILNS1_3genE2ELNS1_11target_archE906ELNS1_3gpuE6ELNS1_3repE0EEENS1_30default_config_static_selectorELNS0_4arch9wavefront6targetE1EEEvSP_,"axG",@progbits,_ZN7rocprim17ROCPRIM_400000_NS6detail17trampoline_kernelINS0_14default_configENS1_29binary_search_config_selectorItbEEZNS1_14transform_implILb0ES3_S5_N6thrust23THRUST_200600_302600_NS6detail15normal_iteratorINS8_10device_ptrItEEEENSA_INSB_IbEEEEZNS1_13binary_searchIS3_S5_SD_SD_SF_NS1_16binary_search_opENS9_16wrapped_functionINS0_4lessIvEEbEEEE10hipError_tPvRmT1_T2_T3_mmT4_T5_P12ihipStream_tbEUlRKtE_EESM_SQ_SR_mSS_SV_bEUlT_E_NS1_11comp_targetILNS1_3genE2ELNS1_11target_archE906ELNS1_3gpuE6ELNS1_3repE0EEENS1_30default_config_static_selectorELNS0_4arch9wavefront6targetE1EEEvSP_,comdat
	.protected	_ZN7rocprim17ROCPRIM_400000_NS6detail17trampoline_kernelINS0_14default_configENS1_29binary_search_config_selectorItbEEZNS1_14transform_implILb0ES3_S5_N6thrust23THRUST_200600_302600_NS6detail15normal_iteratorINS8_10device_ptrItEEEENSA_INSB_IbEEEEZNS1_13binary_searchIS3_S5_SD_SD_SF_NS1_16binary_search_opENS9_16wrapped_functionINS0_4lessIvEEbEEEE10hipError_tPvRmT1_T2_T3_mmT4_T5_P12ihipStream_tbEUlRKtE_EESM_SQ_SR_mSS_SV_bEUlT_E_NS1_11comp_targetILNS1_3genE2ELNS1_11target_archE906ELNS1_3gpuE6ELNS1_3repE0EEENS1_30default_config_static_selectorELNS0_4arch9wavefront6targetE1EEEvSP_ ; -- Begin function _ZN7rocprim17ROCPRIM_400000_NS6detail17trampoline_kernelINS0_14default_configENS1_29binary_search_config_selectorItbEEZNS1_14transform_implILb0ES3_S5_N6thrust23THRUST_200600_302600_NS6detail15normal_iteratorINS8_10device_ptrItEEEENSA_INSB_IbEEEEZNS1_13binary_searchIS3_S5_SD_SD_SF_NS1_16binary_search_opENS9_16wrapped_functionINS0_4lessIvEEbEEEE10hipError_tPvRmT1_T2_T3_mmT4_T5_P12ihipStream_tbEUlRKtE_EESM_SQ_SR_mSS_SV_bEUlT_E_NS1_11comp_targetILNS1_3genE2ELNS1_11target_archE906ELNS1_3gpuE6ELNS1_3repE0EEENS1_30default_config_static_selectorELNS0_4arch9wavefront6targetE1EEEvSP_
	.globl	_ZN7rocprim17ROCPRIM_400000_NS6detail17trampoline_kernelINS0_14default_configENS1_29binary_search_config_selectorItbEEZNS1_14transform_implILb0ES3_S5_N6thrust23THRUST_200600_302600_NS6detail15normal_iteratorINS8_10device_ptrItEEEENSA_INSB_IbEEEEZNS1_13binary_searchIS3_S5_SD_SD_SF_NS1_16binary_search_opENS9_16wrapped_functionINS0_4lessIvEEbEEEE10hipError_tPvRmT1_T2_T3_mmT4_T5_P12ihipStream_tbEUlRKtE_EESM_SQ_SR_mSS_SV_bEUlT_E_NS1_11comp_targetILNS1_3genE2ELNS1_11target_archE906ELNS1_3gpuE6ELNS1_3repE0EEENS1_30default_config_static_selectorELNS0_4arch9wavefront6targetE1EEEvSP_
	.p2align	8
	.type	_ZN7rocprim17ROCPRIM_400000_NS6detail17trampoline_kernelINS0_14default_configENS1_29binary_search_config_selectorItbEEZNS1_14transform_implILb0ES3_S5_N6thrust23THRUST_200600_302600_NS6detail15normal_iteratorINS8_10device_ptrItEEEENSA_INSB_IbEEEEZNS1_13binary_searchIS3_S5_SD_SD_SF_NS1_16binary_search_opENS9_16wrapped_functionINS0_4lessIvEEbEEEE10hipError_tPvRmT1_T2_T3_mmT4_T5_P12ihipStream_tbEUlRKtE_EESM_SQ_SR_mSS_SV_bEUlT_E_NS1_11comp_targetILNS1_3genE2ELNS1_11target_archE906ELNS1_3gpuE6ELNS1_3repE0EEENS1_30default_config_static_selectorELNS0_4arch9wavefront6targetE1EEEvSP_,@function
_ZN7rocprim17ROCPRIM_400000_NS6detail17trampoline_kernelINS0_14default_configENS1_29binary_search_config_selectorItbEEZNS1_14transform_implILb0ES3_S5_N6thrust23THRUST_200600_302600_NS6detail15normal_iteratorINS8_10device_ptrItEEEENSA_INSB_IbEEEEZNS1_13binary_searchIS3_S5_SD_SD_SF_NS1_16binary_search_opENS9_16wrapped_functionINS0_4lessIvEEbEEEE10hipError_tPvRmT1_T2_T3_mmT4_T5_P12ihipStream_tbEUlRKtE_EESM_SQ_SR_mSS_SV_bEUlT_E_NS1_11comp_targetILNS1_3genE2ELNS1_11target_archE906ELNS1_3gpuE6ELNS1_3repE0EEENS1_30default_config_static_selectorELNS0_4arch9wavefront6targetE1EEEvSP_: ; @_ZN7rocprim17ROCPRIM_400000_NS6detail17trampoline_kernelINS0_14default_configENS1_29binary_search_config_selectorItbEEZNS1_14transform_implILb0ES3_S5_N6thrust23THRUST_200600_302600_NS6detail15normal_iteratorINS8_10device_ptrItEEEENSA_INSB_IbEEEEZNS1_13binary_searchIS3_S5_SD_SD_SF_NS1_16binary_search_opENS9_16wrapped_functionINS0_4lessIvEEbEEEE10hipError_tPvRmT1_T2_T3_mmT4_T5_P12ihipStream_tbEUlRKtE_EESM_SQ_SR_mSS_SV_bEUlT_E_NS1_11comp_targetILNS1_3genE2ELNS1_11target_archE906ELNS1_3gpuE6ELNS1_3repE0EEENS1_30default_config_static_selectorELNS0_4arch9wavefront6targetE1EEEvSP_
; %bb.0:
	.section	.rodata,"a",@progbits
	.p2align	6, 0x0
	.amdhsa_kernel _ZN7rocprim17ROCPRIM_400000_NS6detail17trampoline_kernelINS0_14default_configENS1_29binary_search_config_selectorItbEEZNS1_14transform_implILb0ES3_S5_N6thrust23THRUST_200600_302600_NS6detail15normal_iteratorINS8_10device_ptrItEEEENSA_INSB_IbEEEEZNS1_13binary_searchIS3_S5_SD_SD_SF_NS1_16binary_search_opENS9_16wrapped_functionINS0_4lessIvEEbEEEE10hipError_tPvRmT1_T2_T3_mmT4_T5_P12ihipStream_tbEUlRKtE_EESM_SQ_SR_mSS_SV_bEUlT_E_NS1_11comp_targetILNS1_3genE2ELNS1_11target_archE906ELNS1_3gpuE6ELNS1_3repE0EEENS1_30default_config_static_selectorELNS0_4arch9wavefront6targetE1EEEvSP_
		.amdhsa_group_segment_fixed_size 0
		.amdhsa_private_segment_fixed_size 0
		.amdhsa_kernarg_size 56
		.amdhsa_user_sgpr_count 6
		.amdhsa_user_sgpr_private_segment_buffer 1
		.amdhsa_user_sgpr_dispatch_ptr 0
		.amdhsa_user_sgpr_queue_ptr 0
		.amdhsa_user_sgpr_kernarg_segment_ptr 1
		.amdhsa_user_sgpr_dispatch_id 0
		.amdhsa_user_sgpr_flat_scratch_init 0
		.amdhsa_user_sgpr_kernarg_preload_length 0
		.amdhsa_user_sgpr_kernarg_preload_offset 0
		.amdhsa_user_sgpr_private_segment_size 0
		.amdhsa_uses_dynamic_stack 0
		.amdhsa_system_sgpr_private_segment_wavefront_offset 0
		.amdhsa_system_sgpr_workgroup_id_x 1
		.amdhsa_system_sgpr_workgroup_id_y 0
		.amdhsa_system_sgpr_workgroup_id_z 0
		.amdhsa_system_sgpr_workgroup_info 0
		.amdhsa_system_vgpr_workitem_id 0
		.amdhsa_next_free_vgpr 1
		.amdhsa_next_free_sgpr 0
		.amdhsa_accum_offset 4
		.amdhsa_reserve_vcc 0
		.amdhsa_reserve_flat_scratch 0
		.amdhsa_float_round_mode_32 0
		.amdhsa_float_round_mode_16_64 0
		.amdhsa_float_denorm_mode_32 3
		.amdhsa_float_denorm_mode_16_64 3
		.amdhsa_dx10_clamp 1
		.amdhsa_ieee_mode 1
		.amdhsa_fp16_overflow 0
		.amdhsa_tg_split 0
		.amdhsa_exception_fp_ieee_invalid_op 0
		.amdhsa_exception_fp_denorm_src 0
		.amdhsa_exception_fp_ieee_div_zero 0
		.amdhsa_exception_fp_ieee_overflow 0
		.amdhsa_exception_fp_ieee_underflow 0
		.amdhsa_exception_fp_ieee_inexact 0
		.amdhsa_exception_int_div_zero 0
	.end_amdhsa_kernel
	.section	.text._ZN7rocprim17ROCPRIM_400000_NS6detail17trampoline_kernelINS0_14default_configENS1_29binary_search_config_selectorItbEEZNS1_14transform_implILb0ES3_S5_N6thrust23THRUST_200600_302600_NS6detail15normal_iteratorINS8_10device_ptrItEEEENSA_INSB_IbEEEEZNS1_13binary_searchIS3_S5_SD_SD_SF_NS1_16binary_search_opENS9_16wrapped_functionINS0_4lessIvEEbEEEE10hipError_tPvRmT1_T2_T3_mmT4_T5_P12ihipStream_tbEUlRKtE_EESM_SQ_SR_mSS_SV_bEUlT_E_NS1_11comp_targetILNS1_3genE2ELNS1_11target_archE906ELNS1_3gpuE6ELNS1_3repE0EEENS1_30default_config_static_selectorELNS0_4arch9wavefront6targetE1EEEvSP_,"axG",@progbits,_ZN7rocprim17ROCPRIM_400000_NS6detail17trampoline_kernelINS0_14default_configENS1_29binary_search_config_selectorItbEEZNS1_14transform_implILb0ES3_S5_N6thrust23THRUST_200600_302600_NS6detail15normal_iteratorINS8_10device_ptrItEEEENSA_INSB_IbEEEEZNS1_13binary_searchIS3_S5_SD_SD_SF_NS1_16binary_search_opENS9_16wrapped_functionINS0_4lessIvEEbEEEE10hipError_tPvRmT1_T2_T3_mmT4_T5_P12ihipStream_tbEUlRKtE_EESM_SQ_SR_mSS_SV_bEUlT_E_NS1_11comp_targetILNS1_3genE2ELNS1_11target_archE906ELNS1_3gpuE6ELNS1_3repE0EEENS1_30default_config_static_selectorELNS0_4arch9wavefront6targetE1EEEvSP_,comdat
.Lfunc_end478:
	.size	_ZN7rocprim17ROCPRIM_400000_NS6detail17trampoline_kernelINS0_14default_configENS1_29binary_search_config_selectorItbEEZNS1_14transform_implILb0ES3_S5_N6thrust23THRUST_200600_302600_NS6detail15normal_iteratorINS8_10device_ptrItEEEENSA_INSB_IbEEEEZNS1_13binary_searchIS3_S5_SD_SD_SF_NS1_16binary_search_opENS9_16wrapped_functionINS0_4lessIvEEbEEEE10hipError_tPvRmT1_T2_T3_mmT4_T5_P12ihipStream_tbEUlRKtE_EESM_SQ_SR_mSS_SV_bEUlT_E_NS1_11comp_targetILNS1_3genE2ELNS1_11target_archE906ELNS1_3gpuE6ELNS1_3repE0EEENS1_30default_config_static_selectorELNS0_4arch9wavefront6targetE1EEEvSP_, .Lfunc_end478-_ZN7rocprim17ROCPRIM_400000_NS6detail17trampoline_kernelINS0_14default_configENS1_29binary_search_config_selectorItbEEZNS1_14transform_implILb0ES3_S5_N6thrust23THRUST_200600_302600_NS6detail15normal_iteratorINS8_10device_ptrItEEEENSA_INSB_IbEEEEZNS1_13binary_searchIS3_S5_SD_SD_SF_NS1_16binary_search_opENS9_16wrapped_functionINS0_4lessIvEEbEEEE10hipError_tPvRmT1_T2_T3_mmT4_T5_P12ihipStream_tbEUlRKtE_EESM_SQ_SR_mSS_SV_bEUlT_E_NS1_11comp_targetILNS1_3genE2ELNS1_11target_archE906ELNS1_3gpuE6ELNS1_3repE0EEENS1_30default_config_static_selectorELNS0_4arch9wavefront6targetE1EEEvSP_
                                        ; -- End function
	.section	.AMDGPU.csdata,"",@progbits
; Kernel info:
; codeLenInByte = 0
; NumSgprs: 4
; NumVgprs: 0
; NumAgprs: 0
; TotalNumVgprs: 0
; ScratchSize: 0
; MemoryBound: 0
; FloatMode: 240
; IeeeMode: 1
; LDSByteSize: 0 bytes/workgroup (compile time only)
; SGPRBlocks: 0
; VGPRBlocks: 0
; NumSGPRsForWavesPerEU: 4
; NumVGPRsForWavesPerEU: 1
; AccumOffset: 4
; Occupancy: 8
; WaveLimiterHint : 0
; COMPUTE_PGM_RSRC2:SCRATCH_EN: 0
; COMPUTE_PGM_RSRC2:USER_SGPR: 6
; COMPUTE_PGM_RSRC2:TRAP_HANDLER: 0
; COMPUTE_PGM_RSRC2:TGID_X_EN: 1
; COMPUTE_PGM_RSRC2:TGID_Y_EN: 0
; COMPUTE_PGM_RSRC2:TGID_Z_EN: 0
; COMPUTE_PGM_RSRC2:TIDIG_COMP_CNT: 0
; COMPUTE_PGM_RSRC3_GFX90A:ACCUM_OFFSET: 0
; COMPUTE_PGM_RSRC3_GFX90A:TG_SPLIT: 0
	.section	.text._ZN7rocprim17ROCPRIM_400000_NS6detail17trampoline_kernelINS0_14default_configENS1_29binary_search_config_selectorItbEEZNS1_14transform_implILb0ES3_S5_N6thrust23THRUST_200600_302600_NS6detail15normal_iteratorINS8_10device_ptrItEEEENSA_INSB_IbEEEEZNS1_13binary_searchIS3_S5_SD_SD_SF_NS1_16binary_search_opENS9_16wrapped_functionINS0_4lessIvEEbEEEE10hipError_tPvRmT1_T2_T3_mmT4_T5_P12ihipStream_tbEUlRKtE_EESM_SQ_SR_mSS_SV_bEUlT_E_NS1_11comp_targetILNS1_3genE10ELNS1_11target_archE1201ELNS1_3gpuE5ELNS1_3repE0EEENS1_30default_config_static_selectorELNS0_4arch9wavefront6targetE1EEEvSP_,"axG",@progbits,_ZN7rocprim17ROCPRIM_400000_NS6detail17trampoline_kernelINS0_14default_configENS1_29binary_search_config_selectorItbEEZNS1_14transform_implILb0ES3_S5_N6thrust23THRUST_200600_302600_NS6detail15normal_iteratorINS8_10device_ptrItEEEENSA_INSB_IbEEEEZNS1_13binary_searchIS3_S5_SD_SD_SF_NS1_16binary_search_opENS9_16wrapped_functionINS0_4lessIvEEbEEEE10hipError_tPvRmT1_T2_T3_mmT4_T5_P12ihipStream_tbEUlRKtE_EESM_SQ_SR_mSS_SV_bEUlT_E_NS1_11comp_targetILNS1_3genE10ELNS1_11target_archE1201ELNS1_3gpuE5ELNS1_3repE0EEENS1_30default_config_static_selectorELNS0_4arch9wavefront6targetE1EEEvSP_,comdat
	.protected	_ZN7rocprim17ROCPRIM_400000_NS6detail17trampoline_kernelINS0_14default_configENS1_29binary_search_config_selectorItbEEZNS1_14transform_implILb0ES3_S5_N6thrust23THRUST_200600_302600_NS6detail15normal_iteratorINS8_10device_ptrItEEEENSA_INSB_IbEEEEZNS1_13binary_searchIS3_S5_SD_SD_SF_NS1_16binary_search_opENS9_16wrapped_functionINS0_4lessIvEEbEEEE10hipError_tPvRmT1_T2_T3_mmT4_T5_P12ihipStream_tbEUlRKtE_EESM_SQ_SR_mSS_SV_bEUlT_E_NS1_11comp_targetILNS1_3genE10ELNS1_11target_archE1201ELNS1_3gpuE5ELNS1_3repE0EEENS1_30default_config_static_selectorELNS0_4arch9wavefront6targetE1EEEvSP_ ; -- Begin function _ZN7rocprim17ROCPRIM_400000_NS6detail17trampoline_kernelINS0_14default_configENS1_29binary_search_config_selectorItbEEZNS1_14transform_implILb0ES3_S5_N6thrust23THRUST_200600_302600_NS6detail15normal_iteratorINS8_10device_ptrItEEEENSA_INSB_IbEEEEZNS1_13binary_searchIS3_S5_SD_SD_SF_NS1_16binary_search_opENS9_16wrapped_functionINS0_4lessIvEEbEEEE10hipError_tPvRmT1_T2_T3_mmT4_T5_P12ihipStream_tbEUlRKtE_EESM_SQ_SR_mSS_SV_bEUlT_E_NS1_11comp_targetILNS1_3genE10ELNS1_11target_archE1201ELNS1_3gpuE5ELNS1_3repE0EEENS1_30default_config_static_selectorELNS0_4arch9wavefront6targetE1EEEvSP_
	.globl	_ZN7rocprim17ROCPRIM_400000_NS6detail17trampoline_kernelINS0_14default_configENS1_29binary_search_config_selectorItbEEZNS1_14transform_implILb0ES3_S5_N6thrust23THRUST_200600_302600_NS6detail15normal_iteratorINS8_10device_ptrItEEEENSA_INSB_IbEEEEZNS1_13binary_searchIS3_S5_SD_SD_SF_NS1_16binary_search_opENS9_16wrapped_functionINS0_4lessIvEEbEEEE10hipError_tPvRmT1_T2_T3_mmT4_T5_P12ihipStream_tbEUlRKtE_EESM_SQ_SR_mSS_SV_bEUlT_E_NS1_11comp_targetILNS1_3genE10ELNS1_11target_archE1201ELNS1_3gpuE5ELNS1_3repE0EEENS1_30default_config_static_selectorELNS0_4arch9wavefront6targetE1EEEvSP_
	.p2align	8
	.type	_ZN7rocprim17ROCPRIM_400000_NS6detail17trampoline_kernelINS0_14default_configENS1_29binary_search_config_selectorItbEEZNS1_14transform_implILb0ES3_S5_N6thrust23THRUST_200600_302600_NS6detail15normal_iteratorINS8_10device_ptrItEEEENSA_INSB_IbEEEEZNS1_13binary_searchIS3_S5_SD_SD_SF_NS1_16binary_search_opENS9_16wrapped_functionINS0_4lessIvEEbEEEE10hipError_tPvRmT1_T2_T3_mmT4_T5_P12ihipStream_tbEUlRKtE_EESM_SQ_SR_mSS_SV_bEUlT_E_NS1_11comp_targetILNS1_3genE10ELNS1_11target_archE1201ELNS1_3gpuE5ELNS1_3repE0EEENS1_30default_config_static_selectorELNS0_4arch9wavefront6targetE1EEEvSP_,@function
_ZN7rocprim17ROCPRIM_400000_NS6detail17trampoline_kernelINS0_14default_configENS1_29binary_search_config_selectorItbEEZNS1_14transform_implILb0ES3_S5_N6thrust23THRUST_200600_302600_NS6detail15normal_iteratorINS8_10device_ptrItEEEENSA_INSB_IbEEEEZNS1_13binary_searchIS3_S5_SD_SD_SF_NS1_16binary_search_opENS9_16wrapped_functionINS0_4lessIvEEbEEEE10hipError_tPvRmT1_T2_T3_mmT4_T5_P12ihipStream_tbEUlRKtE_EESM_SQ_SR_mSS_SV_bEUlT_E_NS1_11comp_targetILNS1_3genE10ELNS1_11target_archE1201ELNS1_3gpuE5ELNS1_3repE0EEENS1_30default_config_static_selectorELNS0_4arch9wavefront6targetE1EEEvSP_: ; @_ZN7rocprim17ROCPRIM_400000_NS6detail17trampoline_kernelINS0_14default_configENS1_29binary_search_config_selectorItbEEZNS1_14transform_implILb0ES3_S5_N6thrust23THRUST_200600_302600_NS6detail15normal_iteratorINS8_10device_ptrItEEEENSA_INSB_IbEEEEZNS1_13binary_searchIS3_S5_SD_SD_SF_NS1_16binary_search_opENS9_16wrapped_functionINS0_4lessIvEEbEEEE10hipError_tPvRmT1_T2_T3_mmT4_T5_P12ihipStream_tbEUlRKtE_EESM_SQ_SR_mSS_SV_bEUlT_E_NS1_11comp_targetILNS1_3genE10ELNS1_11target_archE1201ELNS1_3gpuE5ELNS1_3repE0EEENS1_30default_config_static_selectorELNS0_4arch9wavefront6targetE1EEEvSP_
; %bb.0:
	.section	.rodata,"a",@progbits
	.p2align	6, 0x0
	.amdhsa_kernel _ZN7rocprim17ROCPRIM_400000_NS6detail17trampoline_kernelINS0_14default_configENS1_29binary_search_config_selectorItbEEZNS1_14transform_implILb0ES3_S5_N6thrust23THRUST_200600_302600_NS6detail15normal_iteratorINS8_10device_ptrItEEEENSA_INSB_IbEEEEZNS1_13binary_searchIS3_S5_SD_SD_SF_NS1_16binary_search_opENS9_16wrapped_functionINS0_4lessIvEEbEEEE10hipError_tPvRmT1_T2_T3_mmT4_T5_P12ihipStream_tbEUlRKtE_EESM_SQ_SR_mSS_SV_bEUlT_E_NS1_11comp_targetILNS1_3genE10ELNS1_11target_archE1201ELNS1_3gpuE5ELNS1_3repE0EEENS1_30default_config_static_selectorELNS0_4arch9wavefront6targetE1EEEvSP_
		.amdhsa_group_segment_fixed_size 0
		.amdhsa_private_segment_fixed_size 0
		.amdhsa_kernarg_size 56
		.amdhsa_user_sgpr_count 6
		.amdhsa_user_sgpr_private_segment_buffer 1
		.amdhsa_user_sgpr_dispatch_ptr 0
		.amdhsa_user_sgpr_queue_ptr 0
		.amdhsa_user_sgpr_kernarg_segment_ptr 1
		.amdhsa_user_sgpr_dispatch_id 0
		.amdhsa_user_sgpr_flat_scratch_init 0
		.amdhsa_user_sgpr_kernarg_preload_length 0
		.amdhsa_user_sgpr_kernarg_preload_offset 0
		.amdhsa_user_sgpr_private_segment_size 0
		.amdhsa_uses_dynamic_stack 0
		.amdhsa_system_sgpr_private_segment_wavefront_offset 0
		.amdhsa_system_sgpr_workgroup_id_x 1
		.amdhsa_system_sgpr_workgroup_id_y 0
		.amdhsa_system_sgpr_workgroup_id_z 0
		.amdhsa_system_sgpr_workgroup_info 0
		.amdhsa_system_vgpr_workitem_id 0
		.amdhsa_next_free_vgpr 1
		.amdhsa_next_free_sgpr 0
		.amdhsa_accum_offset 4
		.amdhsa_reserve_vcc 0
		.amdhsa_reserve_flat_scratch 0
		.amdhsa_float_round_mode_32 0
		.amdhsa_float_round_mode_16_64 0
		.amdhsa_float_denorm_mode_32 3
		.amdhsa_float_denorm_mode_16_64 3
		.amdhsa_dx10_clamp 1
		.amdhsa_ieee_mode 1
		.amdhsa_fp16_overflow 0
		.amdhsa_tg_split 0
		.amdhsa_exception_fp_ieee_invalid_op 0
		.amdhsa_exception_fp_denorm_src 0
		.amdhsa_exception_fp_ieee_div_zero 0
		.amdhsa_exception_fp_ieee_overflow 0
		.amdhsa_exception_fp_ieee_underflow 0
		.amdhsa_exception_fp_ieee_inexact 0
		.amdhsa_exception_int_div_zero 0
	.end_amdhsa_kernel
	.section	.text._ZN7rocprim17ROCPRIM_400000_NS6detail17trampoline_kernelINS0_14default_configENS1_29binary_search_config_selectorItbEEZNS1_14transform_implILb0ES3_S5_N6thrust23THRUST_200600_302600_NS6detail15normal_iteratorINS8_10device_ptrItEEEENSA_INSB_IbEEEEZNS1_13binary_searchIS3_S5_SD_SD_SF_NS1_16binary_search_opENS9_16wrapped_functionINS0_4lessIvEEbEEEE10hipError_tPvRmT1_T2_T3_mmT4_T5_P12ihipStream_tbEUlRKtE_EESM_SQ_SR_mSS_SV_bEUlT_E_NS1_11comp_targetILNS1_3genE10ELNS1_11target_archE1201ELNS1_3gpuE5ELNS1_3repE0EEENS1_30default_config_static_selectorELNS0_4arch9wavefront6targetE1EEEvSP_,"axG",@progbits,_ZN7rocprim17ROCPRIM_400000_NS6detail17trampoline_kernelINS0_14default_configENS1_29binary_search_config_selectorItbEEZNS1_14transform_implILb0ES3_S5_N6thrust23THRUST_200600_302600_NS6detail15normal_iteratorINS8_10device_ptrItEEEENSA_INSB_IbEEEEZNS1_13binary_searchIS3_S5_SD_SD_SF_NS1_16binary_search_opENS9_16wrapped_functionINS0_4lessIvEEbEEEE10hipError_tPvRmT1_T2_T3_mmT4_T5_P12ihipStream_tbEUlRKtE_EESM_SQ_SR_mSS_SV_bEUlT_E_NS1_11comp_targetILNS1_3genE10ELNS1_11target_archE1201ELNS1_3gpuE5ELNS1_3repE0EEENS1_30default_config_static_selectorELNS0_4arch9wavefront6targetE1EEEvSP_,comdat
.Lfunc_end479:
	.size	_ZN7rocprim17ROCPRIM_400000_NS6detail17trampoline_kernelINS0_14default_configENS1_29binary_search_config_selectorItbEEZNS1_14transform_implILb0ES3_S5_N6thrust23THRUST_200600_302600_NS6detail15normal_iteratorINS8_10device_ptrItEEEENSA_INSB_IbEEEEZNS1_13binary_searchIS3_S5_SD_SD_SF_NS1_16binary_search_opENS9_16wrapped_functionINS0_4lessIvEEbEEEE10hipError_tPvRmT1_T2_T3_mmT4_T5_P12ihipStream_tbEUlRKtE_EESM_SQ_SR_mSS_SV_bEUlT_E_NS1_11comp_targetILNS1_3genE10ELNS1_11target_archE1201ELNS1_3gpuE5ELNS1_3repE0EEENS1_30default_config_static_selectorELNS0_4arch9wavefront6targetE1EEEvSP_, .Lfunc_end479-_ZN7rocprim17ROCPRIM_400000_NS6detail17trampoline_kernelINS0_14default_configENS1_29binary_search_config_selectorItbEEZNS1_14transform_implILb0ES3_S5_N6thrust23THRUST_200600_302600_NS6detail15normal_iteratorINS8_10device_ptrItEEEENSA_INSB_IbEEEEZNS1_13binary_searchIS3_S5_SD_SD_SF_NS1_16binary_search_opENS9_16wrapped_functionINS0_4lessIvEEbEEEE10hipError_tPvRmT1_T2_T3_mmT4_T5_P12ihipStream_tbEUlRKtE_EESM_SQ_SR_mSS_SV_bEUlT_E_NS1_11comp_targetILNS1_3genE10ELNS1_11target_archE1201ELNS1_3gpuE5ELNS1_3repE0EEENS1_30default_config_static_selectorELNS0_4arch9wavefront6targetE1EEEvSP_
                                        ; -- End function
	.section	.AMDGPU.csdata,"",@progbits
; Kernel info:
; codeLenInByte = 0
; NumSgprs: 4
; NumVgprs: 0
; NumAgprs: 0
; TotalNumVgprs: 0
; ScratchSize: 0
; MemoryBound: 0
; FloatMode: 240
; IeeeMode: 1
; LDSByteSize: 0 bytes/workgroup (compile time only)
; SGPRBlocks: 0
; VGPRBlocks: 0
; NumSGPRsForWavesPerEU: 4
; NumVGPRsForWavesPerEU: 1
; AccumOffset: 4
; Occupancy: 8
; WaveLimiterHint : 0
; COMPUTE_PGM_RSRC2:SCRATCH_EN: 0
; COMPUTE_PGM_RSRC2:USER_SGPR: 6
; COMPUTE_PGM_RSRC2:TRAP_HANDLER: 0
; COMPUTE_PGM_RSRC2:TGID_X_EN: 1
; COMPUTE_PGM_RSRC2:TGID_Y_EN: 0
; COMPUTE_PGM_RSRC2:TGID_Z_EN: 0
; COMPUTE_PGM_RSRC2:TIDIG_COMP_CNT: 0
; COMPUTE_PGM_RSRC3_GFX90A:ACCUM_OFFSET: 0
; COMPUTE_PGM_RSRC3_GFX90A:TG_SPLIT: 0
	.section	.text._ZN7rocprim17ROCPRIM_400000_NS6detail17trampoline_kernelINS0_14default_configENS1_29binary_search_config_selectorItbEEZNS1_14transform_implILb0ES3_S5_N6thrust23THRUST_200600_302600_NS6detail15normal_iteratorINS8_10device_ptrItEEEENSA_INSB_IbEEEEZNS1_13binary_searchIS3_S5_SD_SD_SF_NS1_16binary_search_opENS9_16wrapped_functionINS0_4lessIvEEbEEEE10hipError_tPvRmT1_T2_T3_mmT4_T5_P12ihipStream_tbEUlRKtE_EESM_SQ_SR_mSS_SV_bEUlT_E_NS1_11comp_targetILNS1_3genE10ELNS1_11target_archE1200ELNS1_3gpuE4ELNS1_3repE0EEENS1_30default_config_static_selectorELNS0_4arch9wavefront6targetE1EEEvSP_,"axG",@progbits,_ZN7rocprim17ROCPRIM_400000_NS6detail17trampoline_kernelINS0_14default_configENS1_29binary_search_config_selectorItbEEZNS1_14transform_implILb0ES3_S5_N6thrust23THRUST_200600_302600_NS6detail15normal_iteratorINS8_10device_ptrItEEEENSA_INSB_IbEEEEZNS1_13binary_searchIS3_S5_SD_SD_SF_NS1_16binary_search_opENS9_16wrapped_functionINS0_4lessIvEEbEEEE10hipError_tPvRmT1_T2_T3_mmT4_T5_P12ihipStream_tbEUlRKtE_EESM_SQ_SR_mSS_SV_bEUlT_E_NS1_11comp_targetILNS1_3genE10ELNS1_11target_archE1200ELNS1_3gpuE4ELNS1_3repE0EEENS1_30default_config_static_selectorELNS0_4arch9wavefront6targetE1EEEvSP_,comdat
	.protected	_ZN7rocprim17ROCPRIM_400000_NS6detail17trampoline_kernelINS0_14default_configENS1_29binary_search_config_selectorItbEEZNS1_14transform_implILb0ES3_S5_N6thrust23THRUST_200600_302600_NS6detail15normal_iteratorINS8_10device_ptrItEEEENSA_INSB_IbEEEEZNS1_13binary_searchIS3_S5_SD_SD_SF_NS1_16binary_search_opENS9_16wrapped_functionINS0_4lessIvEEbEEEE10hipError_tPvRmT1_T2_T3_mmT4_T5_P12ihipStream_tbEUlRKtE_EESM_SQ_SR_mSS_SV_bEUlT_E_NS1_11comp_targetILNS1_3genE10ELNS1_11target_archE1200ELNS1_3gpuE4ELNS1_3repE0EEENS1_30default_config_static_selectorELNS0_4arch9wavefront6targetE1EEEvSP_ ; -- Begin function _ZN7rocprim17ROCPRIM_400000_NS6detail17trampoline_kernelINS0_14default_configENS1_29binary_search_config_selectorItbEEZNS1_14transform_implILb0ES3_S5_N6thrust23THRUST_200600_302600_NS6detail15normal_iteratorINS8_10device_ptrItEEEENSA_INSB_IbEEEEZNS1_13binary_searchIS3_S5_SD_SD_SF_NS1_16binary_search_opENS9_16wrapped_functionINS0_4lessIvEEbEEEE10hipError_tPvRmT1_T2_T3_mmT4_T5_P12ihipStream_tbEUlRKtE_EESM_SQ_SR_mSS_SV_bEUlT_E_NS1_11comp_targetILNS1_3genE10ELNS1_11target_archE1200ELNS1_3gpuE4ELNS1_3repE0EEENS1_30default_config_static_selectorELNS0_4arch9wavefront6targetE1EEEvSP_
	.globl	_ZN7rocprim17ROCPRIM_400000_NS6detail17trampoline_kernelINS0_14default_configENS1_29binary_search_config_selectorItbEEZNS1_14transform_implILb0ES3_S5_N6thrust23THRUST_200600_302600_NS6detail15normal_iteratorINS8_10device_ptrItEEEENSA_INSB_IbEEEEZNS1_13binary_searchIS3_S5_SD_SD_SF_NS1_16binary_search_opENS9_16wrapped_functionINS0_4lessIvEEbEEEE10hipError_tPvRmT1_T2_T3_mmT4_T5_P12ihipStream_tbEUlRKtE_EESM_SQ_SR_mSS_SV_bEUlT_E_NS1_11comp_targetILNS1_3genE10ELNS1_11target_archE1200ELNS1_3gpuE4ELNS1_3repE0EEENS1_30default_config_static_selectorELNS0_4arch9wavefront6targetE1EEEvSP_
	.p2align	8
	.type	_ZN7rocprim17ROCPRIM_400000_NS6detail17trampoline_kernelINS0_14default_configENS1_29binary_search_config_selectorItbEEZNS1_14transform_implILb0ES3_S5_N6thrust23THRUST_200600_302600_NS6detail15normal_iteratorINS8_10device_ptrItEEEENSA_INSB_IbEEEEZNS1_13binary_searchIS3_S5_SD_SD_SF_NS1_16binary_search_opENS9_16wrapped_functionINS0_4lessIvEEbEEEE10hipError_tPvRmT1_T2_T3_mmT4_T5_P12ihipStream_tbEUlRKtE_EESM_SQ_SR_mSS_SV_bEUlT_E_NS1_11comp_targetILNS1_3genE10ELNS1_11target_archE1200ELNS1_3gpuE4ELNS1_3repE0EEENS1_30default_config_static_selectorELNS0_4arch9wavefront6targetE1EEEvSP_,@function
_ZN7rocprim17ROCPRIM_400000_NS6detail17trampoline_kernelINS0_14default_configENS1_29binary_search_config_selectorItbEEZNS1_14transform_implILb0ES3_S5_N6thrust23THRUST_200600_302600_NS6detail15normal_iteratorINS8_10device_ptrItEEEENSA_INSB_IbEEEEZNS1_13binary_searchIS3_S5_SD_SD_SF_NS1_16binary_search_opENS9_16wrapped_functionINS0_4lessIvEEbEEEE10hipError_tPvRmT1_T2_T3_mmT4_T5_P12ihipStream_tbEUlRKtE_EESM_SQ_SR_mSS_SV_bEUlT_E_NS1_11comp_targetILNS1_3genE10ELNS1_11target_archE1200ELNS1_3gpuE4ELNS1_3repE0EEENS1_30default_config_static_selectorELNS0_4arch9wavefront6targetE1EEEvSP_: ; @_ZN7rocprim17ROCPRIM_400000_NS6detail17trampoline_kernelINS0_14default_configENS1_29binary_search_config_selectorItbEEZNS1_14transform_implILb0ES3_S5_N6thrust23THRUST_200600_302600_NS6detail15normal_iteratorINS8_10device_ptrItEEEENSA_INSB_IbEEEEZNS1_13binary_searchIS3_S5_SD_SD_SF_NS1_16binary_search_opENS9_16wrapped_functionINS0_4lessIvEEbEEEE10hipError_tPvRmT1_T2_T3_mmT4_T5_P12ihipStream_tbEUlRKtE_EESM_SQ_SR_mSS_SV_bEUlT_E_NS1_11comp_targetILNS1_3genE10ELNS1_11target_archE1200ELNS1_3gpuE4ELNS1_3repE0EEENS1_30default_config_static_selectorELNS0_4arch9wavefront6targetE1EEEvSP_
; %bb.0:
	.section	.rodata,"a",@progbits
	.p2align	6, 0x0
	.amdhsa_kernel _ZN7rocprim17ROCPRIM_400000_NS6detail17trampoline_kernelINS0_14default_configENS1_29binary_search_config_selectorItbEEZNS1_14transform_implILb0ES3_S5_N6thrust23THRUST_200600_302600_NS6detail15normal_iteratorINS8_10device_ptrItEEEENSA_INSB_IbEEEEZNS1_13binary_searchIS3_S5_SD_SD_SF_NS1_16binary_search_opENS9_16wrapped_functionINS0_4lessIvEEbEEEE10hipError_tPvRmT1_T2_T3_mmT4_T5_P12ihipStream_tbEUlRKtE_EESM_SQ_SR_mSS_SV_bEUlT_E_NS1_11comp_targetILNS1_3genE10ELNS1_11target_archE1200ELNS1_3gpuE4ELNS1_3repE0EEENS1_30default_config_static_selectorELNS0_4arch9wavefront6targetE1EEEvSP_
		.amdhsa_group_segment_fixed_size 0
		.amdhsa_private_segment_fixed_size 0
		.amdhsa_kernarg_size 56
		.amdhsa_user_sgpr_count 6
		.amdhsa_user_sgpr_private_segment_buffer 1
		.amdhsa_user_sgpr_dispatch_ptr 0
		.amdhsa_user_sgpr_queue_ptr 0
		.amdhsa_user_sgpr_kernarg_segment_ptr 1
		.amdhsa_user_sgpr_dispatch_id 0
		.amdhsa_user_sgpr_flat_scratch_init 0
		.amdhsa_user_sgpr_kernarg_preload_length 0
		.amdhsa_user_sgpr_kernarg_preload_offset 0
		.amdhsa_user_sgpr_private_segment_size 0
		.amdhsa_uses_dynamic_stack 0
		.amdhsa_system_sgpr_private_segment_wavefront_offset 0
		.amdhsa_system_sgpr_workgroup_id_x 1
		.amdhsa_system_sgpr_workgroup_id_y 0
		.amdhsa_system_sgpr_workgroup_id_z 0
		.amdhsa_system_sgpr_workgroup_info 0
		.amdhsa_system_vgpr_workitem_id 0
		.amdhsa_next_free_vgpr 1
		.amdhsa_next_free_sgpr 0
		.amdhsa_accum_offset 4
		.amdhsa_reserve_vcc 0
		.amdhsa_reserve_flat_scratch 0
		.amdhsa_float_round_mode_32 0
		.amdhsa_float_round_mode_16_64 0
		.amdhsa_float_denorm_mode_32 3
		.amdhsa_float_denorm_mode_16_64 3
		.amdhsa_dx10_clamp 1
		.amdhsa_ieee_mode 1
		.amdhsa_fp16_overflow 0
		.amdhsa_tg_split 0
		.amdhsa_exception_fp_ieee_invalid_op 0
		.amdhsa_exception_fp_denorm_src 0
		.amdhsa_exception_fp_ieee_div_zero 0
		.amdhsa_exception_fp_ieee_overflow 0
		.amdhsa_exception_fp_ieee_underflow 0
		.amdhsa_exception_fp_ieee_inexact 0
		.amdhsa_exception_int_div_zero 0
	.end_amdhsa_kernel
	.section	.text._ZN7rocprim17ROCPRIM_400000_NS6detail17trampoline_kernelINS0_14default_configENS1_29binary_search_config_selectorItbEEZNS1_14transform_implILb0ES3_S5_N6thrust23THRUST_200600_302600_NS6detail15normal_iteratorINS8_10device_ptrItEEEENSA_INSB_IbEEEEZNS1_13binary_searchIS3_S5_SD_SD_SF_NS1_16binary_search_opENS9_16wrapped_functionINS0_4lessIvEEbEEEE10hipError_tPvRmT1_T2_T3_mmT4_T5_P12ihipStream_tbEUlRKtE_EESM_SQ_SR_mSS_SV_bEUlT_E_NS1_11comp_targetILNS1_3genE10ELNS1_11target_archE1200ELNS1_3gpuE4ELNS1_3repE0EEENS1_30default_config_static_selectorELNS0_4arch9wavefront6targetE1EEEvSP_,"axG",@progbits,_ZN7rocprim17ROCPRIM_400000_NS6detail17trampoline_kernelINS0_14default_configENS1_29binary_search_config_selectorItbEEZNS1_14transform_implILb0ES3_S5_N6thrust23THRUST_200600_302600_NS6detail15normal_iteratorINS8_10device_ptrItEEEENSA_INSB_IbEEEEZNS1_13binary_searchIS3_S5_SD_SD_SF_NS1_16binary_search_opENS9_16wrapped_functionINS0_4lessIvEEbEEEE10hipError_tPvRmT1_T2_T3_mmT4_T5_P12ihipStream_tbEUlRKtE_EESM_SQ_SR_mSS_SV_bEUlT_E_NS1_11comp_targetILNS1_3genE10ELNS1_11target_archE1200ELNS1_3gpuE4ELNS1_3repE0EEENS1_30default_config_static_selectorELNS0_4arch9wavefront6targetE1EEEvSP_,comdat
.Lfunc_end480:
	.size	_ZN7rocprim17ROCPRIM_400000_NS6detail17trampoline_kernelINS0_14default_configENS1_29binary_search_config_selectorItbEEZNS1_14transform_implILb0ES3_S5_N6thrust23THRUST_200600_302600_NS6detail15normal_iteratorINS8_10device_ptrItEEEENSA_INSB_IbEEEEZNS1_13binary_searchIS3_S5_SD_SD_SF_NS1_16binary_search_opENS9_16wrapped_functionINS0_4lessIvEEbEEEE10hipError_tPvRmT1_T2_T3_mmT4_T5_P12ihipStream_tbEUlRKtE_EESM_SQ_SR_mSS_SV_bEUlT_E_NS1_11comp_targetILNS1_3genE10ELNS1_11target_archE1200ELNS1_3gpuE4ELNS1_3repE0EEENS1_30default_config_static_selectorELNS0_4arch9wavefront6targetE1EEEvSP_, .Lfunc_end480-_ZN7rocprim17ROCPRIM_400000_NS6detail17trampoline_kernelINS0_14default_configENS1_29binary_search_config_selectorItbEEZNS1_14transform_implILb0ES3_S5_N6thrust23THRUST_200600_302600_NS6detail15normal_iteratorINS8_10device_ptrItEEEENSA_INSB_IbEEEEZNS1_13binary_searchIS3_S5_SD_SD_SF_NS1_16binary_search_opENS9_16wrapped_functionINS0_4lessIvEEbEEEE10hipError_tPvRmT1_T2_T3_mmT4_T5_P12ihipStream_tbEUlRKtE_EESM_SQ_SR_mSS_SV_bEUlT_E_NS1_11comp_targetILNS1_3genE10ELNS1_11target_archE1200ELNS1_3gpuE4ELNS1_3repE0EEENS1_30default_config_static_selectorELNS0_4arch9wavefront6targetE1EEEvSP_
                                        ; -- End function
	.section	.AMDGPU.csdata,"",@progbits
; Kernel info:
; codeLenInByte = 0
; NumSgprs: 4
; NumVgprs: 0
; NumAgprs: 0
; TotalNumVgprs: 0
; ScratchSize: 0
; MemoryBound: 0
; FloatMode: 240
; IeeeMode: 1
; LDSByteSize: 0 bytes/workgroup (compile time only)
; SGPRBlocks: 0
; VGPRBlocks: 0
; NumSGPRsForWavesPerEU: 4
; NumVGPRsForWavesPerEU: 1
; AccumOffset: 4
; Occupancy: 8
; WaveLimiterHint : 0
; COMPUTE_PGM_RSRC2:SCRATCH_EN: 0
; COMPUTE_PGM_RSRC2:USER_SGPR: 6
; COMPUTE_PGM_RSRC2:TRAP_HANDLER: 0
; COMPUTE_PGM_RSRC2:TGID_X_EN: 1
; COMPUTE_PGM_RSRC2:TGID_Y_EN: 0
; COMPUTE_PGM_RSRC2:TGID_Z_EN: 0
; COMPUTE_PGM_RSRC2:TIDIG_COMP_CNT: 0
; COMPUTE_PGM_RSRC3_GFX90A:ACCUM_OFFSET: 0
; COMPUTE_PGM_RSRC3_GFX90A:TG_SPLIT: 0
	.section	.text._ZN7rocprim17ROCPRIM_400000_NS6detail17trampoline_kernelINS0_14default_configENS1_29binary_search_config_selectorItbEEZNS1_14transform_implILb0ES3_S5_N6thrust23THRUST_200600_302600_NS6detail15normal_iteratorINS8_10device_ptrItEEEENSA_INSB_IbEEEEZNS1_13binary_searchIS3_S5_SD_SD_SF_NS1_16binary_search_opENS9_16wrapped_functionINS0_4lessIvEEbEEEE10hipError_tPvRmT1_T2_T3_mmT4_T5_P12ihipStream_tbEUlRKtE_EESM_SQ_SR_mSS_SV_bEUlT_E_NS1_11comp_targetILNS1_3genE9ELNS1_11target_archE1100ELNS1_3gpuE3ELNS1_3repE0EEENS1_30default_config_static_selectorELNS0_4arch9wavefront6targetE1EEEvSP_,"axG",@progbits,_ZN7rocprim17ROCPRIM_400000_NS6detail17trampoline_kernelINS0_14default_configENS1_29binary_search_config_selectorItbEEZNS1_14transform_implILb0ES3_S5_N6thrust23THRUST_200600_302600_NS6detail15normal_iteratorINS8_10device_ptrItEEEENSA_INSB_IbEEEEZNS1_13binary_searchIS3_S5_SD_SD_SF_NS1_16binary_search_opENS9_16wrapped_functionINS0_4lessIvEEbEEEE10hipError_tPvRmT1_T2_T3_mmT4_T5_P12ihipStream_tbEUlRKtE_EESM_SQ_SR_mSS_SV_bEUlT_E_NS1_11comp_targetILNS1_3genE9ELNS1_11target_archE1100ELNS1_3gpuE3ELNS1_3repE0EEENS1_30default_config_static_selectorELNS0_4arch9wavefront6targetE1EEEvSP_,comdat
	.protected	_ZN7rocprim17ROCPRIM_400000_NS6detail17trampoline_kernelINS0_14default_configENS1_29binary_search_config_selectorItbEEZNS1_14transform_implILb0ES3_S5_N6thrust23THRUST_200600_302600_NS6detail15normal_iteratorINS8_10device_ptrItEEEENSA_INSB_IbEEEEZNS1_13binary_searchIS3_S5_SD_SD_SF_NS1_16binary_search_opENS9_16wrapped_functionINS0_4lessIvEEbEEEE10hipError_tPvRmT1_T2_T3_mmT4_T5_P12ihipStream_tbEUlRKtE_EESM_SQ_SR_mSS_SV_bEUlT_E_NS1_11comp_targetILNS1_3genE9ELNS1_11target_archE1100ELNS1_3gpuE3ELNS1_3repE0EEENS1_30default_config_static_selectorELNS0_4arch9wavefront6targetE1EEEvSP_ ; -- Begin function _ZN7rocprim17ROCPRIM_400000_NS6detail17trampoline_kernelINS0_14default_configENS1_29binary_search_config_selectorItbEEZNS1_14transform_implILb0ES3_S5_N6thrust23THRUST_200600_302600_NS6detail15normal_iteratorINS8_10device_ptrItEEEENSA_INSB_IbEEEEZNS1_13binary_searchIS3_S5_SD_SD_SF_NS1_16binary_search_opENS9_16wrapped_functionINS0_4lessIvEEbEEEE10hipError_tPvRmT1_T2_T3_mmT4_T5_P12ihipStream_tbEUlRKtE_EESM_SQ_SR_mSS_SV_bEUlT_E_NS1_11comp_targetILNS1_3genE9ELNS1_11target_archE1100ELNS1_3gpuE3ELNS1_3repE0EEENS1_30default_config_static_selectorELNS0_4arch9wavefront6targetE1EEEvSP_
	.globl	_ZN7rocprim17ROCPRIM_400000_NS6detail17trampoline_kernelINS0_14default_configENS1_29binary_search_config_selectorItbEEZNS1_14transform_implILb0ES3_S5_N6thrust23THRUST_200600_302600_NS6detail15normal_iteratorINS8_10device_ptrItEEEENSA_INSB_IbEEEEZNS1_13binary_searchIS3_S5_SD_SD_SF_NS1_16binary_search_opENS9_16wrapped_functionINS0_4lessIvEEbEEEE10hipError_tPvRmT1_T2_T3_mmT4_T5_P12ihipStream_tbEUlRKtE_EESM_SQ_SR_mSS_SV_bEUlT_E_NS1_11comp_targetILNS1_3genE9ELNS1_11target_archE1100ELNS1_3gpuE3ELNS1_3repE0EEENS1_30default_config_static_selectorELNS0_4arch9wavefront6targetE1EEEvSP_
	.p2align	8
	.type	_ZN7rocprim17ROCPRIM_400000_NS6detail17trampoline_kernelINS0_14default_configENS1_29binary_search_config_selectorItbEEZNS1_14transform_implILb0ES3_S5_N6thrust23THRUST_200600_302600_NS6detail15normal_iteratorINS8_10device_ptrItEEEENSA_INSB_IbEEEEZNS1_13binary_searchIS3_S5_SD_SD_SF_NS1_16binary_search_opENS9_16wrapped_functionINS0_4lessIvEEbEEEE10hipError_tPvRmT1_T2_T3_mmT4_T5_P12ihipStream_tbEUlRKtE_EESM_SQ_SR_mSS_SV_bEUlT_E_NS1_11comp_targetILNS1_3genE9ELNS1_11target_archE1100ELNS1_3gpuE3ELNS1_3repE0EEENS1_30default_config_static_selectorELNS0_4arch9wavefront6targetE1EEEvSP_,@function
_ZN7rocprim17ROCPRIM_400000_NS6detail17trampoline_kernelINS0_14default_configENS1_29binary_search_config_selectorItbEEZNS1_14transform_implILb0ES3_S5_N6thrust23THRUST_200600_302600_NS6detail15normal_iteratorINS8_10device_ptrItEEEENSA_INSB_IbEEEEZNS1_13binary_searchIS3_S5_SD_SD_SF_NS1_16binary_search_opENS9_16wrapped_functionINS0_4lessIvEEbEEEE10hipError_tPvRmT1_T2_T3_mmT4_T5_P12ihipStream_tbEUlRKtE_EESM_SQ_SR_mSS_SV_bEUlT_E_NS1_11comp_targetILNS1_3genE9ELNS1_11target_archE1100ELNS1_3gpuE3ELNS1_3repE0EEENS1_30default_config_static_selectorELNS0_4arch9wavefront6targetE1EEEvSP_: ; @_ZN7rocprim17ROCPRIM_400000_NS6detail17trampoline_kernelINS0_14default_configENS1_29binary_search_config_selectorItbEEZNS1_14transform_implILb0ES3_S5_N6thrust23THRUST_200600_302600_NS6detail15normal_iteratorINS8_10device_ptrItEEEENSA_INSB_IbEEEEZNS1_13binary_searchIS3_S5_SD_SD_SF_NS1_16binary_search_opENS9_16wrapped_functionINS0_4lessIvEEbEEEE10hipError_tPvRmT1_T2_T3_mmT4_T5_P12ihipStream_tbEUlRKtE_EESM_SQ_SR_mSS_SV_bEUlT_E_NS1_11comp_targetILNS1_3genE9ELNS1_11target_archE1100ELNS1_3gpuE3ELNS1_3repE0EEENS1_30default_config_static_selectorELNS0_4arch9wavefront6targetE1EEEvSP_
; %bb.0:
	.section	.rodata,"a",@progbits
	.p2align	6, 0x0
	.amdhsa_kernel _ZN7rocprim17ROCPRIM_400000_NS6detail17trampoline_kernelINS0_14default_configENS1_29binary_search_config_selectorItbEEZNS1_14transform_implILb0ES3_S5_N6thrust23THRUST_200600_302600_NS6detail15normal_iteratorINS8_10device_ptrItEEEENSA_INSB_IbEEEEZNS1_13binary_searchIS3_S5_SD_SD_SF_NS1_16binary_search_opENS9_16wrapped_functionINS0_4lessIvEEbEEEE10hipError_tPvRmT1_T2_T3_mmT4_T5_P12ihipStream_tbEUlRKtE_EESM_SQ_SR_mSS_SV_bEUlT_E_NS1_11comp_targetILNS1_3genE9ELNS1_11target_archE1100ELNS1_3gpuE3ELNS1_3repE0EEENS1_30default_config_static_selectorELNS0_4arch9wavefront6targetE1EEEvSP_
		.amdhsa_group_segment_fixed_size 0
		.amdhsa_private_segment_fixed_size 0
		.amdhsa_kernarg_size 56
		.amdhsa_user_sgpr_count 6
		.amdhsa_user_sgpr_private_segment_buffer 1
		.amdhsa_user_sgpr_dispatch_ptr 0
		.amdhsa_user_sgpr_queue_ptr 0
		.amdhsa_user_sgpr_kernarg_segment_ptr 1
		.amdhsa_user_sgpr_dispatch_id 0
		.amdhsa_user_sgpr_flat_scratch_init 0
		.amdhsa_user_sgpr_kernarg_preload_length 0
		.amdhsa_user_sgpr_kernarg_preload_offset 0
		.amdhsa_user_sgpr_private_segment_size 0
		.amdhsa_uses_dynamic_stack 0
		.amdhsa_system_sgpr_private_segment_wavefront_offset 0
		.amdhsa_system_sgpr_workgroup_id_x 1
		.amdhsa_system_sgpr_workgroup_id_y 0
		.amdhsa_system_sgpr_workgroup_id_z 0
		.amdhsa_system_sgpr_workgroup_info 0
		.amdhsa_system_vgpr_workitem_id 0
		.amdhsa_next_free_vgpr 1
		.amdhsa_next_free_sgpr 0
		.amdhsa_accum_offset 4
		.amdhsa_reserve_vcc 0
		.amdhsa_reserve_flat_scratch 0
		.amdhsa_float_round_mode_32 0
		.amdhsa_float_round_mode_16_64 0
		.amdhsa_float_denorm_mode_32 3
		.amdhsa_float_denorm_mode_16_64 3
		.amdhsa_dx10_clamp 1
		.amdhsa_ieee_mode 1
		.amdhsa_fp16_overflow 0
		.amdhsa_tg_split 0
		.amdhsa_exception_fp_ieee_invalid_op 0
		.amdhsa_exception_fp_denorm_src 0
		.amdhsa_exception_fp_ieee_div_zero 0
		.amdhsa_exception_fp_ieee_overflow 0
		.amdhsa_exception_fp_ieee_underflow 0
		.amdhsa_exception_fp_ieee_inexact 0
		.amdhsa_exception_int_div_zero 0
	.end_amdhsa_kernel
	.section	.text._ZN7rocprim17ROCPRIM_400000_NS6detail17trampoline_kernelINS0_14default_configENS1_29binary_search_config_selectorItbEEZNS1_14transform_implILb0ES3_S5_N6thrust23THRUST_200600_302600_NS6detail15normal_iteratorINS8_10device_ptrItEEEENSA_INSB_IbEEEEZNS1_13binary_searchIS3_S5_SD_SD_SF_NS1_16binary_search_opENS9_16wrapped_functionINS0_4lessIvEEbEEEE10hipError_tPvRmT1_T2_T3_mmT4_T5_P12ihipStream_tbEUlRKtE_EESM_SQ_SR_mSS_SV_bEUlT_E_NS1_11comp_targetILNS1_3genE9ELNS1_11target_archE1100ELNS1_3gpuE3ELNS1_3repE0EEENS1_30default_config_static_selectorELNS0_4arch9wavefront6targetE1EEEvSP_,"axG",@progbits,_ZN7rocprim17ROCPRIM_400000_NS6detail17trampoline_kernelINS0_14default_configENS1_29binary_search_config_selectorItbEEZNS1_14transform_implILb0ES3_S5_N6thrust23THRUST_200600_302600_NS6detail15normal_iteratorINS8_10device_ptrItEEEENSA_INSB_IbEEEEZNS1_13binary_searchIS3_S5_SD_SD_SF_NS1_16binary_search_opENS9_16wrapped_functionINS0_4lessIvEEbEEEE10hipError_tPvRmT1_T2_T3_mmT4_T5_P12ihipStream_tbEUlRKtE_EESM_SQ_SR_mSS_SV_bEUlT_E_NS1_11comp_targetILNS1_3genE9ELNS1_11target_archE1100ELNS1_3gpuE3ELNS1_3repE0EEENS1_30default_config_static_selectorELNS0_4arch9wavefront6targetE1EEEvSP_,comdat
.Lfunc_end481:
	.size	_ZN7rocprim17ROCPRIM_400000_NS6detail17trampoline_kernelINS0_14default_configENS1_29binary_search_config_selectorItbEEZNS1_14transform_implILb0ES3_S5_N6thrust23THRUST_200600_302600_NS6detail15normal_iteratorINS8_10device_ptrItEEEENSA_INSB_IbEEEEZNS1_13binary_searchIS3_S5_SD_SD_SF_NS1_16binary_search_opENS9_16wrapped_functionINS0_4lessIvEEbEEEE10hipError_tPvRmT1_T2_T3_mmT4_T5_P12ihipStream_tbEUlRKtE_EESM_SQ_SR_mSS_SV_bEUlT_E_NS1_11comp_targetILNS1_3genE9ELNS1_11target_archE1100ELNS1_3gpuE3ELNS1_3repE0EEENS1_30default_config_static_selectorELNS0_4arch9wavefront6targetE1EEEvSP_, .Lfunc_end481-_ZN7rocprim17ROCPRIM_400000_NS6detail17trampoline_kernelINS0_14default_configENS1_29binary_search_config_selectorItbEEZNS1_14transform_implILb0ES3_S5_N6thrust23THRUST_200600_302600_NS6detail15normal_iteratorINS8_10device_ptrItEEEENSA_INSB_IbEEEEZNS1_13binary_searchIS3_S5_SD_SD_SF_NS1_16binary_search_opENS9_16wrapped_functionINS0_4lessIvEEbEEEE10hipError_tPvRmT1_T2_T3_mmT4_T5_P12ihipStream_tbEUlRKtE_EESM_SQ_SR_mSS_SV_bEUlT_E_NS1_11comp_targetILNS1_3genE9ELNS1_11target_archE1100ELNS1_3gpuE3ELNS1_3repE0EEENS1_30default_config_static_selectorELNS0_4arch9wavefront6targetE1EEEvSP_
                                        ; -- End function
	.section	.AMDGPU.csdata,"",@progbits
; Kernel info:
; codeLenInByte = 0
; NumSgprs: 4
; NumVgprs: 0
; NumAgprs: 0
; TotalNumVgprs: 0
; ScratchSize: 0
; MemoryBound: 0
; FloatMode: 240
; IeeeMode: 1
; LDSByteSize: 0 bytes/workgroup (compile time only)
; SGPRBlocks: 0
; VGPRBlocks: 0
; NumSGPRsForWavesPerEU: 4
; NumVGPRsForWavesPerEU: 1
; AccumOffset: 4
; Occupancy: 8
; WaveLimiterHint : 0
; COMPUTE_PGM_RSRC2:SCRATCH_EN: 0
; COMPUTE_PGM_RSRC2:USER_SGPR: 6
; COMPUTE_PGM_RSRC2:TRAP_HANDLER: 0
; COMPUTE_PGM_RSRC2:TGID_X_EN: 1
; COMPUTE_PGM_RSRC2:TGID_Y_EN: 0
; COMPUTE_PGM_RSRC2:TGID_Z_EN: 0
; COMPUTE_PGM_RSRC2:TIDIG_COMP_CNT: 0
; COMPUTE_PGM_RSRC3_GFX90A:ACCUM_OFFSET: 0
; COMPUTE_PGM_RSRC3_GFX90A:TG_SPLIT: 0
	.section	.text._ZN7rocprim17ROCPRIM_400000_NS6detail17trampoline_kernelINS0_14default_configENS1_29binary_search_config_selectorItbEEZNS1_14transform_implILb0ES3_S5_N6thrust23THRUST_200600_302600_NS6detail15normal_iteratorINS8_10device_ptrItEEEENSA_INSB_IbEEEEZNS1_13binary_searchIS3_S5_SD_SD_SF_NS1_16binary_search_opENS9_16wrapped_functionINS0_4lessIvEEbEEEE10hipError_tPvRmT1_T2_T3_mmT4_T5_P12ihipStream_tbEUlRKtE_EESM_SQ_SR_mSS_SV_bEUlT_E_NS1_11comp_targetILNS1_3genE8ELNS1_11target_archE1030ELNS1_3gpuE2ELNS1_3repE0EEENS1_30default_config_static_selectorELNS0_4arch9wavefront6targetE1EEEvSP_,"axG",@progbits,_ZN7rocprim17ROCPRIM_400000_NS6detail17trampoline_kernelINS0_14default_configENS1_29binary_search_config_selectorItbEEZNS1_14transform_implILb0ES3_S5_N6thrust23THRUST_200600_302600_NS6detail15normal_iteratorINS8_10device_ptrItEEEENSA_INSB_IbEEEEZNS1_13binary_searchIS3_S5_SD_SD_SF_NS1_16binary_search_opENS9_16wrapped_functionINS0_4lessIvEEbEEEE10hipError_tPvRmT1_T2_T3_mmT4_T5_P12ihipStream_tbEUlRKtE_EESM_SQ_SR_mSS_SV_bEUlT_E_NS1_11comp_targetILNS1_3genE8ELNS1_11target_archE1030ELNS1_3gpuE2ELNS1_3repE0EEENS1_30default_config_static_selectorELNS0_4arch9wavefront6targetE1EEEvSP_,comdat
	.protected	_ZN7rocprim17ROCPRIM_400000_NS6detail17trampoline_kernelINS0_14default_configENS1_29binary_search_config_selectorItbEEZNS1_14transform_implILb0ES3_S5_N6thrust23THRUST_200600_302600_NS6detail15normal_iteratorINS8_10device_ptrItEEEENSA_INSB_IbEEEEZNS1_13binary_searchIS3_S5_SD_SD_SF_NS1_16binary_search_opENS9_16wrapped_functionINS0_4lessIvEEbEEEE10hipError_tPvRmT1_T2_T3_mmT4_T5_P12ihipStream_tbEUlRKtE_EESM_SQ_SR_mSS_SV_bEUlT_E_NS1_11comp_targetILNS1_3genE8ELNS1_11target_archE1030ELNS1_3gpuE2ELNS1_3repE0EEENS1_30default_config_static_selectorELNS0_4arch9wavefront6targetE1EEEvSP_ ; -- Begin function _ZN7rocprim17ROCPRIM_400000_NS6detail17trampoline_kernelINS0_14default_configENS1_29binary_search_config_selectorItbEEZNS1_14transform_implILb0ES3_S5_N6thrust23THRUST_200600_302600_NS6detail15normal_iteratorINS8_10device_ptrItEEEENSA_INSB_IbEEEEZNS1_13binary_searchIS3_S5_SD_SD_SF_NS1_16binary_search_opENS9_16wrapped_functionINS0_4lessIvEEbEEEE10hipError_tPvRmT1_T2_T3_mmT4_T5_P12ihipStream_tbEUlRKtE_EESM_SQ_SR_mSS_SV_bEUlT_E_NS1_11comp_targetILNS1_3genE8ELNS1_11target_archE1030ELNS1_3gpuE2ELNS1_3repE0EEENS1_30default_config_static_selectorELNS0_4arch9wavefront6targetE1EEEvSP_
	.globl	_ZN7rocprim17ROCPRIM_400000_NS6detail17trampoline_kernelINS0_14default_configENS1_29binary_search_config_selectorItbEEZNS1_14transform_implILb0ES3_S5_N6thrust23THRUST_200600_302600_NS6detail15normal_iteratorINS8_10device_ptrItEEEENSA_INSB_IbEEEEZNS1_13binary_searchIS3_S5_SD_SD_SF_NS1_16binary_search_opENS9_16wrapped_functionINS0_4lessIvEEbEEEE10hipError_tPvRmT1_T2_T3_mmT4_T5_P12ihipStream_tbEUlRKtE_EESM_SQ_SR_mSS_SV_bEUlT_E_NS1_11comp_targetILNS1_3genE8ELNS1_11target_archE1030ELNS1_3gpuE2ELNS1_3repE0EEENS1_30default_config_static_selectorELNS0_4arch9wavefront6targetE1EEEvSP_
	.p2align	8
	.type	_ZN7rocprim17ROCPRIM_400000_NS6detail17trampoline_kernelINS0_14default_configENS1_29binary_search_config_selectorItbEEZNS1_14transform_implILb0ES3_S5_N6thrust23THRUST_200600_302600_NS6detail15normal_iteratorINS8_10device_ptrItEEEENSA_INSB_IbEEEEZNS1_13binary_searchIS3_S5_SD_SD_SF_NS1_16binary_search_opENS9_16wrapped_functionINS0_4lessIvEEbEEEE10hipError_tPvRmT1_T2_T3_mmT4_T5_P12ihipStream_tbEUlRKtE_EESM_SQ_SR_mSS_SV_bEUlT_E_NS1_11comp_targetILNS1_3genE8ELNS1_11target_archE1030ELNS1_3gpuE2ELNS1_3repE0EEENS1_30default_config_static_selectorELNS0_4arch9wavefront6targetE1EEEvSP_,@function
_ZN7rocprim17ROCPRIM_400000_NS6detail17trampoline_kernelINS0_14default_configENS1_29binary_search_config_selectorItbEEZNS1_14transform_implILb0ES3_S5_N6thrust23THRUST_200600_302600_NS6detail15normal_iteratorINS8_10device_ptrItEEEENSA_INSB_IbEEEEZNS1_13binary_searchIS3_S5_SD_SD_SF_NS1_16binary_search_opENS9_16wrapped_functionINS0_4lessIvEEbEEEE10hipError_tPvRmT1_T2_T3_mmT4_T5_P12ihipStream_tbEUlRKtE_EESM_SQ_SR_mSS_SV_bEUlT_E_NS1_11comp_targetILNS1_3genE8ELNS1_11target_archE1030ELNS1_3gpuE2ELNS1_3repE0EEENS1_30default_config_static_selectorELNS0_4arch9wavefront6targetE1EEEvSP_: ; @_ZN7rocprim17ROCPRIM_400000_NS6detail17trampoline_kernelINS0_14default_configENS1_29binary_search_config_selectorItbEEZNS1_14transform_implILb0ES3_S5_N6thrust23THRUST_200600_302600_NS6detail15normal_iteratorINS8_10device_ptrItEEEENSA_INSB_IbEEEEZNS1_13binary_searchIS3_S5_SD_SD_SF_NS1_16binary_search_opENS9_16wrapped_functionINS0_4lessIvEEbEEEE10hipError_tPvRmT1_T2_T3_mmT4_T5_P12ihipStream_tbEUlRKtE_EESM_SQ_SR_mSS_SV_bEUlT_E_NS1_11comp_targetILNS1_3genE8ELNS1_11target_archE1030ELNS1_3gpuE2ELNS1_3repE0EEENS1_30default_config_static_selectorELNS0_4arch9wavefront6targetE1EEEvSP_
; %bb.0:
	.section	.rodata,"a",@progbits
	.p2align	6, 0x0
	.amdhsa_kernel _ZN7rocprim17ROCPRIM_400000_NS6detail17trampoline_kernelINS0_14default_configENS1_29binary_search_config_selectorItbEEZNS1_14transform_implILb0ES3_S5_N6thrust23THRUST_200600_302600_NS6detail15normal_iteratorINS8_10device_ptrItEEEENSA_INSB_IbEEEEZNS1_13binary_searchIS3_S5_SD_SD_SF_NS1_16binary_search_opENS9_16wrapped_functionINS0_4lessIvEEbEEEE10hipError_tPvRmT1_T2_T3_mmT4_T5_P12ihipStream_tbEUlRKtE_EESM_SQ_SR_mSS_SV_bEUlT_E_NS1_11comp_targetILNS1_3genE8ELNS1_11target_archE1030ELNS1_3gpuE2ELNS1_3repE0EEENS1_30default_config_static_selectorELNS0_4arch9wavefront6targetE1EEEvSP_
		.amdhsa_group_segment_fixed_size 0
		.amdhsa_private_segment_fixed_size 0
		.amdhsa_kernarg_size 56
		.amdhsa_user_sgpr_count 6
		.amdhsa_user_sgpr_private_segment_buffer 1
		.amdhsa_user_sgpr_dispatch_ptr 0
		.amdhsa_user_sgpr_queue_ptr 0
		.amdhsa_user_sgpr_kernarg_segment_ptr 1
		.amdhsa_user_sgpr_dispatch_id 0
		.amdhsa_user_sgpr_flat_scratch_init 0
		.amdhsa_user_sgpr_kernarg_preload_length 0
		.amdhsa_user_sgpr_kernarg_preload_offset 0
		.amdhsa_user_sgpr_private_segment_size 0
		.amdhsa_uses_dynamic_stack 0
		.amdhsa_system_sgpr_private_segment_wavefront_offset 0
		.amdhsa_system_sgpr_workgroup_id_x 1
		.amdhsa_system_sgpr_workgroup_id_y 0
		.amdhsa_system_sgpr_workgroup_id_z 0
		.amdhsa_system_sgpr_workgroup_info 0
		.amdhsa_system_vgpr_workitem_id 0
		.amdhsa_next_free_vgpr 1
		.amdhsa_next_free_sgpr 0
		.amdhsa_accum_offset 4
		.amdhsa_reserve_vcc 0
		.amdhsa_reserve_flat_scratch 0
		.amdhsa_float_round_mode_32 0
		.amdhsa_float_round_mode_16_64 0
		.amdhsa_float_denorm_mode_32 3
		.amdhsa_float_denorm_mode_16_64 3
		.amdhsa_dx10_clamp 1
		.amdhsa_ieee_mode 1
		.amdhsa_fp16_overflow 0
		.amdhsa_tg_split 0
		.amdhsa_exception_fp_ieee_invalid_op 0
		.amdhsa_exception_fp_denorm_src 0
		.amdhsa_exception_fp_ieee_div_zero 0
		.amdhsa_exception_fp_ieee_overflow 0
		.amdhsa_exception_fp_ieee_underflow 0
		.amdhsa_exception_fp_ieee_inexact 0
		.amdhsa_exception_int_div_zero 0
	.end_amdhsa_kernel
	.section	.text._ZN7rocprim17ROCPRIM_400000_NS6detail17trampoline_kernelINS0_14default_configENS1_29binary_search_config_selectorItbEEZNS1_14transform_implILb0ES3_S5_N6thrust23THRUST_200600_302600_NS6detail15normal_iteratorINS8_10device_ptrItEEEENSA_INSB_IbEEEEZNS1_13binary_searchIS3_S5_SD_SD_SF_NS1_16binary_search_opENS9_16wrapped_functionINS0_4lessIvEEbEEEE10hipError_tPvRmT1_T2_T3_mmT4_T5_P12ihipStream_tbEUlRKtE_EESM_SQ_SR_mSS_SV_bEUlT_E_NS1_11comp_targetILNS1_3genE8ELNS1_11target_archE1030ELNS1_3gpuE2ELNS1_3repE0EEENS1_30default_config_static_selectorELNS0_4arch9wavefront6targetE1EEEvSP_,"axG",@progbits,_ZN7rocprim17ROCPRIM_400000_NS6detail17trampoline_kernelINS0_14default_configENS1_29binary_search_config_selectorItbEEZNS1_14transform_implILb0ES3_S5_N6thrust23THRUST_200600_302600_NS6detail15normal_iteratorINS8_10device_ptrItEEEENSA_INSB_IbEEEEZNS1_13binary_searchIS3_S5_SD_SD_SF_NS1_16binary_search_opENS9_16wrapped_functionINS0_4lessIvEEbEEEE10hipError_tPvRmT1_T2_T3_mmT4_T5_P12ihipStream_tbEUlRKtE_EESM_SQ_SR_mSS_SV_bEUlT_E_NS1_11comp_targetILNS1_3genE8ELNS1_11target_archE1030ELNS1_3gpuE2ELNS1_3repE0EEENS1_30default_config_static_selectorELNS0_4arch9wavefront6targetE1EEEvSP_,comdat
.Lfunc_end482:
	.size	_ZN7rocprim17ROCPRIM_400000_NS6detail17trampoline_kernelINS0_14default_configENS1_29binary_search_config_selectorItbEEZNS1_14transform_implILb0ES3_S5_N6thrust23THRUST_200600_302600_NS6detail15normal_iteratorINS8_10device_ptrItEEEENSA_INSB_IbEEEEZNS1_13binary_searchIS3_S5_SD_SD_SF_NS1_16binary_search_opENS9_16wrapped_functionINS0_4lessIvEEbEEEE10hipError_tPvRmT1_T2_T3_mmT4_T5_P12ihipStream_tbEUlRKtE_EESM_SQ_SR_mSS_SV_bEUlT_E_NS1_11comp_targetILNS1_3genE8ELNS1_11target_archE1030ELNS1_3gpuE2ELNS1_3repE0EEENS1_30default_config_static_selectorELNS0_4arch9wavefront6targetE1EEEvSP_, .Lfunc_end482-_ZN7rocprim17ROCPRIM_400000_NS6detail17trampoline_kernelINS0_14default_configENS1_29binary_search_config_selectorItbEEZNS1_14transform_implILb0ES3_S5_N6thrust23THRUST_200600_302600_NS6detail15normal_iteratorINS8_10device_ptrItEEEENSA_INSB_IbEEEEZNS1_13binary_searchIS3_S5_SD_SD_SF_NS1_16binary_search_opENS9_16wrapped_functionINS0_4lessIvEEbEEEE10hipError_tPvRmT1_T2_T3_mmT4_T5_P12ihipStream_tbEUlRKtE_EESM_SQ_SR_mSS_SV_bEUlT_E_NS1_11comp_targetILNS1_3genE8ELNS1_11target_archE1030ELNS1_3gpuE2ELNS1_3repE0EEENS1_30default_config_static_selectorELNS0_4arch9wavefront6targetE1EEEvSP_
                                        ; -- End function
	.section	.AMDGPU.csdata,"",@progbits
; Kernel info:
; codeLenInByte = 0
; NumSgprs: 4
; NumVgprs: 0
; NumAgprs: 0
; TotalNumVgprs: 0
; ScratchSize: 0
; MemoryBound: 0
; FloatMode: 240
; IeeeMode: 1
; LDSByteSize: 0 bytes/workgroup (compile time only)
; SGPRBlocks: 0
; VGPRBlocks: 0
; NumSGPRsForWavesPerEU: 4
; NumVGPRsForWavesPerEU: 1
; AccumOffset: 4
; Occupancy: 8
; WaveLimiterHint : 0
; COMPUTE_PGM_RSRC2:SCRATCH_EN: 0
; COMPUTE_PGM_RSRC2:USER_SGPR: 6
; COMPUTE_PGM_RSRC2:TRAP_HANDLER: 0
; COMPUTE_PGM_RSRC2:TGID_X_EN: 1
; COMPUTE_PGM_RSRC2:TGID_Y_EN: 0
; COMPUTE_PGM_RSRC2:TGID_Z_EN: 0
; COMPUTE_PGM_RSRC2:TIDIG_COMP_CNT: 0
; COMPUTE_PGM_RSRC3_GFX90A:ACCUM_OFFSET: 0
; COMPUTE_PGM_RSRC3_GFX90A:TG_SPLIT: 0
	.section	.text._ZN7rocprim17ROCPRIM_400000_NS6detail17trampoline_kernelINS0_14default_configENS1_29binary_search_config_selectorItiEEZNS1_14transform_implILb0ES3_S5_N6thrust23THRUST_200600_302600_NS6detail15normal_iteratorINS8_10device_ptrItEEEENSA_INSB_IiEEEEZNS1_13binary_searchIS3_S5_SD_SD_SF_NS1_16binary_search_opENS9_16wrapped_functionINS0_4lessIvEEbEEEE10hipError_tPvRmT1_T2_T3_mmT4_T5_P12ihipStream_tbEUlRKtE_EESM_SQ_SR_mSS_SV_bEUlT_E_NS1_11comp_targetILNS1_3genE0ELNS1_11target_archE4294967295ELNS1_3gpuE0ELNS1_3repE0EEENS1_30default_config_static_selectorELNS0_4arch9wavefront6targetE1EEEvSP_,"axG",@progbits,_ZN7rocprim17ROCPRIM_400000_NS6detail17trampoline_kernelINS0_14default_configENS1_29binary_search_config_selectorItiEEZNS1_14transform_implILb0ES3_S5_N6thrust23THRUST_200600_302600_NS6detail15normal_iteratorINS8_10device_ptrItEEEENSA_INSB_IiEEEEZNS1_13binary_searchIS3_S5_SD_SD_SF_NS1_16binary_search_opENS9_16wrapped_functionINS0_4lessIvEEbEEEE10hipError_tPvRmT1_T2_T3_mmT4_T5_P12ihipStream_tbEUlRKtE_EESM_SQ_SR_mSS_SV_bEUlT_E_NS1_11comp_targetILNS1_3genE0ELNS1_11target_archE4294967295ELNS1_3gpuE0ELNS1_3repE0EEENS1_30default_config_static_selectorELNS0_4arch9wavefront6targetE1EEEvSP_,comdat
	.protected	_ZN7rocprim17ROCPRIM_400000_NS6detail17trampoline_kernelINS0_14default_configENS1_29binary_search_config_selectorItiEEZNS1_14transform_implILb0ES3_S5_N6thrust23THRUST_200600_302600_NS6detail15normal_iteratorINS8_10device_ptrItEEEENSA_INSB_IiEEEEZNS1_13binary_searchIS3_S5_SD_SD_SF_NS1_16binary_search_opENS9_16wrapped_functionINS0_4lessIvEEbEEEE10hipError_tPvRmT1_T2_T3_mmT4_T5_P12ihipStream_tbEUlRKtE_EESM_SQ_SR_mSS_SV_bEUlT_E_NS1_11comp_targetILNS1_3genE0ELNS1_11target_archE4294967295ELNS1_3gpuE0ELNS1_3repE0EEENS1_30default_config_static_selectorELNS0_4arch9wavefront6targetE1EEEvSP_ ; -- Begin function _ZN7rocprim17ROCPRIM_400000_NS6detail17trampoline_kernelINS0_14default_configENS1_29binary_search_config_selectorItiEEZNS1_14transform_implILb0ES3_S5_N6thrust23THRUST_200600_302600_NS6detail15normal_iteratorINS8_10device_ptrItEEEENSA_INSB_IiEEEEZNS1_13binary_searchIS3_S5_SD_SD_SF_NS1_16binary_search_opENS9_16wrapped_functionINS0_4lessIvEEbEEEE10hipError_tPvRmT1_T2_T3_mmT4_T5_P12ihipStream_tbEUlRKtE_EESM_SQ_SR_mSS_SV_bEUlT_E_NS1_11comp_targetILNS1_3genE0ELNS1_11target_archE4294967295ELNS1_3gpuE0ELNS1_3repE0EEENS1_30default_config_static_selectorELNS0_4arch9wavefront6targetE1EEEvSP_
	.globl	_ZN7rocprim17ROCPRIM_400000_NS6detail17trampoline_kernelINS0_14default_configENS1_29binary_search_config_selectorItiEEZNS1_14transform_implILb0ES3_S5_N6thrust23THRUST_200600_302600_NS6detail15normal_iteratorINS8_10device_ptrItEEEENSA_INSB_IiEEEEZNS1_13binary_searchIS3_S5_SD_SD_SF_NS1_16binary_search_opENS9_16wrapped_functionINS0_4lessIvEEbEEEE10hipError_tPvRmT1_T2_T3_mmT4_T5_P12ihipStream_tbEUlRKtE_EESM_SQ_SR_mSS_SV_bEUlT_E_NS1_11comp_targetILNS1_3genE0ELNS1_11target_archE4294967295ELNS1_3gpuE0ELNS1_3repE0EEENS1_30default_config_static_selectorELNS0_4arch9wavefront6targetE1EEEvSP_
	.p2align	8
	.type	_ZN7rocprim17ROCPRIM_400000_NS6detail17trampoline_kernelINS0_14default_configENS1_29binary_search_config_selectorItiEEZNS1_14transform_implILb0ES3_S5_N6thrust23THRUST_200600_302600_NS6detail15normal_iteratorINS8_10device_ptrItEEEENSA_INSB_IiEEEEZNS1_13binary_searchIS3_S5_SD_SD_SF_NS1_16binary_search_opENS9_16wrapped_functionINS0_4lessIvEEbEEEE10hipError_tPvRmT1_T2_T3_mmT4_T5_P12ihipStream_tbEUlRKtE_EESM_SQ_SR_mSS_SV_bEUlT_E_NS1_11comp_targetILNS1_3genE0ELNS1_11target_archE4294967295ELNS1_3gpuE0ELNS1_3repE0EEENS1_30default_config_static_selectorELNS0_4arch9wavefront6targetE1EEEvSP_,@function
_ZN7rocprim17ROCPRIM_400000_NS6detail17trampoline_kernelINS0_14default_configENS1_29binary_search_config_selectorItiEEZNS1_14transform_implILb0ES3_S5_N6thrust23THRUST_200600_302600_NS6detail15normal_iteratorINS8_10device_ptrItEEEENSA_INSB_IiEEEEZNS1_13binary_searchIS3_S5_SD_SD_SF_NS1_16binary_search_opENS9_16wrapped_functionINS0_4lessIvEEbEEEE10hipError_tPvRmT1_T2_T3_mmT4_T5_P12ihipStream_tbEUlRKtE_EESM_SQ_SR_mSS_SV_bEUlT_E_NS1_11comp_targetILNS1_3genE0ELNS1_11target_archE4294967295ELNS1_3gpuE0ELNS1_3repE0EEENS1_30default_config_static_selectorELNS0_4arch9wavefront6targetE1EEEvSP_: ; @_ZN7rocprim17ROCPRIM_400000_NS6detail17trampoline_kernelINS0_14default_configENS1_29binary_search_config_selectorItiEEZNS1_14transform_implILb0ES3_S5_N6thrust23THRUST_200600_302600_NS6detail15normal_iteratorINS8_10device_ptrItEEEENSA_INSB_IiEEEEZNS1_13binary_searchIS3_S5_SD_SD_SF_NS1_16binary_search_opENS9_16wrapped_functionINS0_4lessIvEEbEEEE10hipError_tPvRmT1_T2_T3_mmT4_T5_P12ihipStream_tbEUlRKtE_EESM_SQ_SR_mSS_SV_bEUlT_E_NS1_11comp_targetILNS1_3genE0ELNS1_11target_archE4294967295ELNS1_3gpuE0ELNS1_3repE0EEENS1_30default_config_static_selectorELNS0_4arch9wavefront6targetE1EEEvSP_
; %bb.0:
	.section	.rodata,"a",@progbits
	.p2align	6, 0x0
	.amdhsa_kernel _ZN7rocprim17ROCPRIM_400000_NS6detail17trampoline_kernelINS0_14default_configENS1_29binary_search_config_selectorItiEEZNS1_14transform_implILb0ES3_S5_N6thrust23THRUST_200600_302600_NS6detail15normal_iteratorINS8_10device_ptrItEEEENSA_INSB_IiEEEEZNS1_13binary_searchIS3_S5_SD_SD_SF_NS1_16binary_search_opENS9_16wrapped_functionINS0_4lessIvEEbEEEE10hipError_tPvRmT1_T2_T3_mmT4_T5_P12ihipStream_tbEUlRKtE_EESM_SQ_SR_mSS_SV_bEUlT_E_NS1_11comp_targetILNS1_3genE0ELNS1_11target_archE4294967295ELNS1_3gpuE0ELNS1_3repE0EEENS1_30default_config_static_selectorELNS0_4arch9wavefront6targetE1EEEvSP_
		.amdhsa_group_segment_fixed_size 0
		.amdhsa_private_segment_fixed_size 0
		.amdhsa_kernarg_size 56
		.amdhsa_user_sgpr_count 6
		.amdhsa_user_sgpr_private_segment_buffer 1
		.amdhsa_user_sgpr_dispatch_ptr 0
		.amdhsa_user_sgpr_queue_ptr 0
		.amdhsa_user_sgpr_kernarg_segment_ptr 1
		.amdhsa_user_sgpr_dispatch_id 0
		.amdhsa_user_sgpr_flat_scratch_init 0
		.amdhsa_user_sgpr_kernarg_preload_length 0
		.amdhsa_user_sgpr_kernarg_preload_offset 0
		.amdhsa_user_sgpr_private_segment_size 0
		.amdhsa_uses_dynamic_stack 0
		.amdhsa_system_sgpr_private_segment_wavefront_offset 0
		.amdhsa_system_sgpr_workgroup_id_x 1
		.amdhsa_system_sgpr_workgroup_id_y 0
		.amdhsa_system_sgpr_workgroup_id_z 0
		.amdhsa_system_sgpr_workgroup_info 0
		.amdhsa_system_vgpr_workitem_id 0
		.amdhsa_next_free_vgpr 1
		.amdhsa_next_free_sgpr 0
		.amdhsa_accum_offset 4
		.amdhsa_reserve_vcc 0
		.amdhsa_reserve_flat_scratch 0
		.amdhsa_float_round_mode_32 0
		.amdhsa_float_round_mode_16_64 0
		.amdhsa_float_denorm_mode_32 3
		.amdhsa_float_denorm_mode_16_64 3
		.amdhsa_dx10_clamp 1
		.amdhsa_ieee_mode 1
		.amdhsa_fp16_overflow 0
		.amdhsa_tg_split 0
		.amdhsa_exception_fp_ieee_invalid_op 0
		.amdhsa_exception_fp_denorm_src 0
		.amdhsa_exception_fp_ieee_div_zero 0
		.amdhsa_exception_fp_ieee_overflow 0
		.amdhsa_exception_fp_ieee_underflow 0
		.amdhsa_exception_fp_ieee_inexact 0
		.amdhsa_exception_int_div_zero 0
	.end_amdhsa_kernel
	.section	.text._ZN7rocprim17ROCPRIM_400000_NS6detail17trampoline_kernelINS0_14default_configENS1_29binary_search_config_selectorItiEEZNS1_14transform_implILb0ES3_S5_N6thrust23THRUST_200600_302600_NS6detail15normal_iteratorINS8_10device_ptrItEEEENSA_INSB_IiEEEEZNS1_13binary_searchIS3_S5_SD_SD_SF_NS1_16binary_search_opENS9_16wrapped_functionINS0_4lessIvEEbEEEE10hipError_tPvRmT1_T2_T3_mmT4_T5_P12ihipStream_tbEUlRKtE_EESM_SQ_SR_mSS_SV_bEUlT_E_NS1_11comp_targetILNS1_3genE0ELNS1_11target_archE4294967295ELNS1_3gpuE0ELNS1_3repE0EEENS1_30default_config_static_selectorELNS0_4arch9wavefront6targetE1EEEvSP_,"axG",@progbits,_ZN7rocprim17ROCPRIM_400000_NS6detail17trampoline_kernelINS0_14default_configENS1_29binary_search_config_selectorItiEEZNS1_14transform_implILb0ES3_S5_N6thrust23THRUST_200600_302600_NS6detail15normal_iteratorINS8_10device_ptrItEEEENSA_INSB_IiEEEEZNS1_13binary_searchIS3_S5_SD_SD_SF_NS1_16binary_search_opENS9_16wrapped_functionINS0_4lessIvEEbEEEE10hipError_tPvRmT1_T2_T3_mmT4_T5_P12ihipStream_tbEUlRKtE_EESM_SQ_SR_mSS_SV_bEUlT_E_NS1_11comp_targetILNS1_3genE0ELNS1_11target_archE4294967295ELNS1_3gpuE0ELNS1_3repE0EEENS1_30default_config_static_selectorELNS0_4arch9wavefront6targetE1EEEvSP_,comdat
.Lfunc_end483:
	.size	_ZN7rocprim17ROCPRIM_400000_NS6detail17trampoline_kernelINS0_14default_configENS1_29binary_search_config_selectorItiEEZNS1_14transform_implILb0ES3_S5_N6thrust23THRUST_200600_302600_NS6detail15normal_iteratorINS8_10device_ptrItEEEENSA_INSB_IiEEEEZNS1_13binary_searchIS3_S5_SD_SD_SF_NS1_16binary_search_opENS9_16wrapped_functionINS0_4lessIvEEbEEEE10hipError_tPvRmT1_T2_T3_mmT4_T5_P12ihipStream_tbEUlRKtE_EESM_SQ_SR_mSS_SV_bEUlT_E_NS1_11comp_targetILNS1_3genE0ELNS1_11target_archE4294967295ELNS1_3gpuE0ELNS1_3repE0EEENS1_30default_config_static_selectorELNS0_4arch9wavefront6targetE1EEEvSP_, .Lfunc_end483-_ZN7rocprim17ROCPRIM_400000_NS6detail17trampoline_kernelINS0_14default_configENS1_29binary_search_config_selectorItiEEZNS1_14transform_implILb0ES3_S5_N6thrust23THRUST_200600_302600_NS6detail15normal_iteratorINS8_10device_ptrItEEEENSA_INSB_IiEEEEZNS1_13binary_searchIS3_S5_SD_SD_SF_NS1_16binary_search_opENS9_16wrapped_functionINS0_4lessIvEEbEEEE10hipError_tPvRmT1_T2_T3_mmT4_T5_P12ihipStream_tbEUlRKtE_EESM_SQ_SR_mSS_SV_bEUlT_E_NS1_11comp_targetILNS1_3genE0ELNS1_11target_archE4294967295ELNS1_3gpuE0ELNS1_3repE0EEENS1_30default_config_static_selectorELNS0_4arch9wavefront6targetE1EEEvSP_
                                        ; -- End function
	.section	.AMDGPU.csdata,"",@progbits
; Kernel info:
; codeLenInByte = 0
; NumSgprs: 4
; NumVgprs: 0
; NumAgprs: 0
; TotalNumVgprs: 0
; ScratchSize: 0
; MemoryBound: 0
; FloatMode: 240
; IeeeMode: 1
; LDSByteSize: 0 bytes/workgroup (compile time only)
; SGPRBlocks: 0
; VGPRBlocks: 0
; NumSGPRsForWavesPerEU: 4
; NumVGPRsForWavesPerEU: 1
; AccumOffset: 4
; Occupancy: 8
; WaveLimiterHint : 0
; COMPUTE_PGM_RSRC2:SCRATCH_EN: 0
; COMPUTE_PGM_RSRC2:USER_SGPR: 6
; COMPUTE_PGM_RSRC2:TRAP_HANDLER: 0
; COMPUTE_PGM_RSRC2:TGID_X_EN: 1
; COMPUTE_PGM_RSRC2:TGID_Y_EN: 0
; COMPUTE_PGM_RSRC2:TGID_Z_EN: 0
; COMPUTE_PGM_RSRC2:TIDIG_COMP_CNT: 0
; COMPUTE_PGM_RSRC3_GFX90A:ACCUM_OFFSET: 0
; COMPUTE_PGM_RSRC3_GFX90A:TG_SPLIT: 0
	.section	.text._ZN7rocprim17ROCPRIM_400000_NS6detail17trampoline_kernelINS0_14default_configENS1_29binary_search_config_selectorItiEEZNS1_14transform_implILb0ES3_S5_N6thrust23THRUST_200600_302600_NS6detail15normal_iteratorINS8_10device_ptrItEEEENSA_INSB_IiEEEEZNS1_13binary_searchIS3_S5_SD_SD_SF_NS1_16binary_search_opENS9_16wrapped_functionINS0_4lessIvEEbEEEE10hipError_tPvRmT1_T2_T3_mmT4_T5_P12ihipStream_tbEUlRKtE_EESM_SQ_SR_mSS_SV_bEUlT_E_NS1_11comp_targetILNS1_3genE5ELNS1_11target_archE942ELNS1_3gpuE9ELNS1_3repE0EEENS1_30default_config_static_selectorELNS0_4arch9wavefront6targetE1EEEvSP_,"axG",@progbits,_ZN7rocprim17ROCPRIM_400000_NS6detail17trampoline_kernelINS0_14default_configENS1_29binary_search_config_selectorItiEEZNS1_14transform_implILb0ES3_S5_N6thrust23THRUST_200600_302600_NS6detail15normal_iteratorINS8_10device_ptrItEEEENSA_INSB_IiEEEEZNS1_13binary_searchIS3_S5_SD_SD_SF_NS1_16binary_search_opENS9_16wrapped_functionINS0_4lessIvEEbEEEE10hipError_tPvRmT1_T2_T3_mmT4_T5_P12ihipStream_tbEUlRKtE_EESM_SQ_SR_mSS_SV_bEUlT_E_NS1_11comp_targetILNS1_3genE5ELNS1_11target_archE942ELNS1_3gpuE9ELNS1_3repE0EEENS1_30default_config_static_selectorELNS0_4arch9wavefront6targetE1EEEvSP_,comdat
	.protected	_ZN7rocprim17ROCPRIM_400000_NS6detail17trampoline_kernelINS0_14default_configENS1_29binary_search_config_selectorItiEEZNS1_14transform_implILb0ES3_S5_N6thrust23THRUST_200600_302600_NS6detail15normal_iteratorINS8_10device_ptrItEEEENSA_INSB_IiEEEEZNS1_13binary_searchIS3_S5_SD_SD_SF_NS1_16binary_search_opENS9_16wrapped_functionINS0_4lessIvEEbEEEE10hipError_tPvRmT1_T2_T3_mmT4_T5_P12ihipStream_tbEUlRKtE_EESM_SQ_SR_mSS_SV_bEUlT_E_NS1_11comp_targetILNS1_3genE5ELNS1_11target_archE942ELNS1_3gpuE9ELNS1_3repE0EEENS1_30default_config_static_selectorELNS0_4arch9wavefront6targetE1EEEvSP_ ; -- Begin function _ZN7rocprim17ROCPRIM_400000_NS6detail17trampoline_kernelINS0_14default_configENS1_29binary_search_config_selectorItiEEZNS1_14transform_implILb0ES3_S5_N6thrust23THRUST_200600_302600_NS6detail15normal_iteratorINS8_10device_ptrItEEEENSA_INSB_IiEEEEZNS1_13binary_searchIS3_S5_SD_SD_SF_NS1_16binary_search_opENS9_16wrapped_functionINS0_4lessIvEEbEEEE10hipError_tPvRmT1_T2_T3_mmT4_T5_P12ihipStream_tbEUlRKtE_EESM_SQ_SR_mSS_SV_bEUlT_E_NS1_11comp_targetILNS1_3genE5ELNS1_11target_archE942ELNS1_3gpuE9ELNS1_3repE0EEENS1_30default_config_static_selectorELNS0_4arch9wavefront6targetE1EEEvSP_
	.globl	_ZN7rocprim17ROCPRIM_400000_NS6detail17trampoline_kernelINS0_14default_configENS1_29binary_search_config_selectorItiEEZNS1_14transform_implILb0ES3_S5_N6thrust23THRUST_200600_302600_NS6detail15normal_iteratorINS8_10device_ptrItEEEENSA_INSB_IiEEEEZNS1_13binary_searchIS3_S5_SD_SD_SF_NS1_16binary_search_opENS9_16wrapped_functionINS0_4lessIvEEbEEEE10hipError_tPvRmT1_T2_T3_mmT4_T5_P12ihipStream_tbEUlRKtE_EESM_SQ_SR_mSS_SV_bEUlT_E_NS1_11comp_targetILNS1_3genE5ELNS1_11target_archE942ELNS1_3gpuE9ELNS1_3repE0EEENS1_30default_config_static_selectorELNS0_4arch9wavefront6targetE1EEEvSP_
	.p2align	8
	.type	_ZN7rocprim17ROCPRIM_400000_NS6detail17trampoline_kernelINS0_14default_configENS1_29binary_search_config_selectorItiEEZNS1_14transform_implILb0ES3_S5_N6thrust23THRUST_200600_302600_NS6detail15normal_iteratorINS8_10device_ptrItEEEENSA_INSB_IiEEEEZNS1_13binary_searchIS3_S5_SD_SD_SF_NS1_16binary_search_opENS9_16wrapped_functionINS0_4lessIvEEbEEEE10hipError_tPvRmT1_T2_T3_mmT4_T5_P12ihipStream_tbEUlRKtE_EESM_SQ_SR_mSS_SV_bEUlT_E_NS1_11comp_targetILNS1_3genE5ELNS1_11target_archE942ELNS1_3gpuE9ELNS1_3repE0EEENS1_30default_config_static_selectorELNS0_4arch9wavefront6targetE1EEEvSP_,@function
_ZN7rocprim17ROCPRIM_400000_NS6detail17trampoline_kernelINS0_14default_configENS1_29binary_search_config_selectorItiEEZNS1_14transform_implILb0ES3_S5_N6thrust23THRUST_200600_302600_NS6detail15normal_iteratorINS8_10device_ptrItEEEENSA_INSB_IiEEEEZNS1_13binary_searchIS3_S5_SD_SD_SF_NS1_16binary_search_opENS9_16wrapped_functionINS0_4lessIvEEbEEEE10hipError_tPvRmT1_T2_T3_mmT4_T5_P12ihipStream_tbEUlRKtE_EESM_SQ_SR_mSS_SV_bEUlT_E_NS1_11comp_targetILNS1_3genE5ELNS1_11target_archE942ELNS1_3gpuE9ELNS1_3repE0EEENS1_30default_config_static_selectorELNS0_4arch9wavefront6targetE1EEEvSP_: ; @_ZN7rocprim17ROCPRIM_400000_NS6detail17trampoline_kernelINS0_14default_configENS1_29binary_search_config_selectorItiEEZNS1_14transform_implILb0ES3_S5_N6thrust23THRUST_200600_302600_NS6detail15normal_iteratorINS8_10device_ptrItEEEENSA_INSB_IiEEEEZNS1_13binary_searchIS3_S5_SD_SD_SF_NS1_16binary_search_opENS9_16wrapped_functionINS0_4lessIvEEbEEEE10hipError_tPvRmT1_T2_T3_mmT4_T5_P12ihipStream_tbEUlRKtE_EESM_SQ_SR_mSS_SV_bEUlT_E_NS1_11comp_targetILNS1_3genE5ELNS1_11target_archE942ELNS1_3gpuE9ELNS1_3repE0EEENS1_30default_config_static_selectorELNS0_4arch9wavefront6targetE1EEEvSP_
; %bb.0:
	.section	.rodata,"a",@progbits
	.p2align	6, 0x0
	.amdhsa_kernel _ZN7rocprim17ROCPRIM_400000_NS6detail17trampoline_kernelINS0_14default_configENS1_29binary_search_config_selectorItiEEZNS1_14transform_implILb0ES3_S5_N6thrust23THRUST_200600_302600_NS6detail15normal_iteratorINS8_10device_ptrItEEEENSA_INSB_IiEEEEZNS1_13binary_searchIS3_S5_SD_SD_SF_NS1_16binary_search_opENS9_16wrapped_functionINS0_4lessIvEEbEEEE10hipError_tPvRmT1_T2_T3_mmT4_T5_P12ihipStream_tbEUlRKtE_EESM_SQ_SR_mSS_SV_bEUlT_E_NS1_11comp_targetILNS1_3genE5ELNS1_11target_archE942ELNS1_3gpuE9ELNS1_3repE0EEENS1_30default_config_static_selectorELNS0_4arch9wavefront6targetE1EEEvSP_
		.amdhsa_group_segment_fixed_size 0
		.amdhsa_private_segment_fixed_size 0
		.amdhsa_kernarg_size 56
		.amdhsa_user_sgpr_count 6
		.amdhsa_user_sgpr_private_segment_buffer 1
		.amdhsa_user_sgpr_dispatch_ptr 0
		.amdhsa_user_sgpr_queue_ptr 0
		.amdhsa_user_sgpr_kernarg_segment_ptr 1
		.amdhsa_user_sgpr_dispatch_id 0
		.amdhsa_user_sgpr_flat_scratch_init 0
		.amdhsa_user_sgpr_kernarg_preload_length 0
		.amdhsa_user_sgpr_kernarg_preload_offset 0
		.amdhsa_user_sgpr_private_segment_size 0
		.amdhsa_uses_dynamic_stack 0
		.amdhsa_system_sgpr_private_segment_wavefront_offset 0
		.amdhsa_system_sgpr_workgroup_id_x 1
		.amdhsa_system_sgpr_workgroup_id_y 0
		.amdhsa_system_sgpr_workgroup_id_z 0
		.amdhsa_system_sgpr_workgroup_info 0
		.amdhsa_system_vgpr_workitem_id 0
		.amdhsa_next_free_vgpr 1
		.amdhsa_next_free_sgpr 0
		.amdhsa_accum_offset 4
		.amdhsa_reserve_vcc 0
		.amdhsa_reserve_flat_scratch 0
		.amdhsa_float_round_mode_32 0
		.amdhsa_float_round_mode_16_64 0
		.amdhsa_float_denorm_mode_32 3
		.amdhsa_float_denorm_mode_16_64 3
		.amdhsa_dx10_clamp 1
		.amdhsa_ieee_mode 1
		.amdhsa_fp16_overflow 0
		.amdhsa_tg_split 0
		.amdhsa_exception_fp_ieee_invalid_op 0
		.amdhsa_exception_fp_denorm_src 0
		.amdhsa_exception_fp_ieee_div_zero 0
		.amdhsa_exception_fp_ieee_overflow 0
		.amdhsa_exception_fp_ieee_underflow 0
		.amdhsa_exception_fp_ieee_inexact 0
		.amdhsa_exception_int_div_zero 0
	.end_amdhsa_kernel
	.section	.text._ZN7rocprim17ROCPRIM_400000_NS6detail17trampoline_kernelINS0_14default_configENS1_29binary_search_config_selectorItiEEZNS1_14transform_implILb0ES3_S5_N6thrust23THRUST_200600_302600_NS6detail15normal_iteratorINS8_10device_ptrItEEEENSA_INSB_IiEEEEZNS1_13binary_searchIS3_S5_SD_SD_SF_NS1_16binary_search_opENS9_16wrapped_functionINS0_4lessIvEEbEEEE10hipError_tPvRmT1_T2_T3_mmT4_T5_P12ihipStream_tbEUlRKtE_EESM_SQ_SR_mSS_SV_bEUlT_E_NS1_11comp_targetILNS1_3genE5ELNS1_11target_archE942ELNS1_3gpuE9ELNS1_3repE0EEENS1_30default_config_static_selectorELNS0_4arch9wavefront6targetE1EEEvSP_,"axG",@progbits,_ZN7rocprim17ROCPRIM_400000_NS6detail17trampoline_kernelINS0_14default_configENS1_29binary_search_config_selectorItiEEZNS1_14transform_implILb0ES3_S5_N6thrust23THRUST_200600_302600_NS6detail15normal_iteratorINS8_10device_ptrItEEEENSA_INSB_IiEEEEZNS1_13binary_searchIS3_S5_SD_SD_SF_NS1_16binary_search_opENS9_16wrapped_functionINS0_4lessIvEEbEEEE10hipError_tPvRmT1_T2_T3_mmT4_T5_P12ihipStream_tbEUlRKtE_EESM_SQ_SR_mSS_SV_bEUlT_E_NS1_11comp_targetILNS1_3genE5ELNS1_11target_archE942ELNS1_3gpuE9ELNS1_3repE0EEENS1_30default_config_static_selectorELNS0_4arch9wavefront6targetE1EEEvSP_,comdat
.Lfunc_end484:
	.size	_ZN7rocprim17ROCPRIM_400000_NS6detail17trampoline_kernelINS0_14default_configENS1_29binary_search_config_selectorItiEEZNS1_14transform_implILb0ES3_S5_N6thrust23THRUST_200600_302600_NS6detail15normal_iteratorINS8_10device_ptrItEEEENSA_INSB_IiEEEEZNS1_13binary_searchIS3_S5_SD_SD_SF_NS1_16binary_search_opENS9_16wrapped_functionINS0_4lessIvEEbEEEE10hipError_tPvRmT1_T2_T3_mmT4_T5_P12ihipStream_tbEUlRKtE_EESM_SQ_SR_mSS_SV_bEUlT_E_NS1_11comp_targetILNS1_3genE5ELNS1_11target_archE942ELNS1_3gpuE9ELNS1_3repE0EEENS1_30default_config_static_selectorELNS0_4arch9wavefront6targetE1EEEvSP_, .Lfunc_end484-_ZN7rocprim17ROCPRIM_400000_NS6detail17trampoline_kernelINS0_14default_configENS1_29binary_search_config_selectorItiEEZNS1_14transform_implILb0ES3_S5_N6thrust23THRUST_200600_302600_NS6detail15normal_iteratorINS8_10device_ptrItEEEENSA_INSB_IiEEEEZNS1_13binary_searchIS3_S5_SD_SD_SF_NS1_16binary_search_opENS9_16wrapped_functionINS0_4lessIvEEbEEEE10hipError_tPvRmT1_T2_T3_mmT4_T5_P12ihipStream_tbEUlRKtE_EESM_SQ_SR_mSS_SV_bEUlT_E_NS1_11comp_targetILNS1_3genE5ELNS1_11target_archE942ELNS1_3gpuE9ELNS1_3repE0EEENS1_30default_config_static_selectorELNS0_4arch9wavefront6targetE1EEEvSP_
                                        ; -- End function
	.section	.AMDGPU.csdata,"",@progbits
; Kernel info:
; codeLenInByte = 0
; NumSgprs: 4
; NumVgprs: 0
; NumAgprs: 0
; TotalNumVgprs: 0
; ScratchSize: 0
; MemoryBound: 0
; FloatMode: 240
; IeeeMode: 1
; LDSByteSize: 0 bytes/workgroup (compile time only)
; SGPRBlocks: 0
; VGPRBlocks: 0
; NumSGPRsForWavesPerEU: 4
; NumVGPRsForWavesPerEU: 1
; AccumOffset: 4
; Occupancy: 8
; WaveLimiterHint : 0
; COMPUTE_PGM_RSRC2:SCRATCH_EN: 0
; COMPUTE_PGM_RSRC2:USER_SGPR: 6
; COMPUTE_PGM_RSRC2:TRAP_HANDLER: 0
; COMPUTE_PGM_RSRC2:TGID_X_EN: 1
; COMPUTE_PGM_RSRC2:TGID_Y_EN: 0
; COMPUTE_PGM_RSRC2:TGID_Z_EN: 0
; COMPUTE_PGM_RSRC2:TIDIG_COMP_CNT: 0
; COMPUTE_PGM_RSRC3_GFX90A:ACCUM_OFFSET: 0
; COMPUTE_PGM_RSRC3_GFX90A:TG_SPLIT: 0
	.section	.text._ZN7rocprim17ROCPRIM_400000_NS6detail17trampoline_kernelINS0_14default_configENS1_29binary_search_config_selectorItiEEZNS1_14transform_implILb0ES3_S5_N6thrust23THRUST_200600_302600_NS6detail15normal_iteratorINS8_10device_ptrItEEEENSA_INSB_IiEEEEZNS1_13binary_searchIS3_S5_SD_SD_SF_NS1_16binary_search_opENS9_16wrapped_functionINS0_4lessIvEEbEEEE10hipError_tPvRmT1_T2_T3_mmT4_T5_P12ihipStream_tbEUlRKtE_EESM_SQ_SR_mSS_SV_bEUlT_E_NS1_11comp_targetILNS1_3genE4ELNS1_11target_archE910ELNS1_3gpuE8ELNS1_3repE0EEENS1_30default_config_static_selectorELNS0_4arch9wavefront6targetE1EEEvSP_,"axG",@progbits,_ZN7rocprim17ROCPRIM_400000_NS6detail17trampoline_kernelINS0_14default_configENS1_29binary_search_config_selectorItiEEZNS1_14transform_implILb0ES3_S5_N6thrust23THRUST_200600_302600_NS6detail15normal_iteratorINS8_10device_ptrItEEEENSA_INSB_IiEEEEZNS1_13binary_searchIS3_S5_SD_SD_SF_NS1_16binary_search_opENS9_16wrapped_functionINS0_4lessIvEEbEEEE10hipError_tPvRmT1_T2_T3_mmT4_T5_P12ihipStream_tbEUlRKtE_EESM_SQ_SR_mSS_SV_bEUlT_E_NS1_11comp_targetILNS1_3genE4ELNS1_11target_archE910ELNS1_3gpuE8ELNS1_3repE0EEENS1_30default_config_static_selectorELNS0_4arch9wavefront6targetE1EEEvSP_,comdat
	.protected	_ZN7rocprim17ROCPRIM_400000_NS6detail17trampoline_kernelINS0_14default_configENS1_29binary_search_config_selectorItiEEZNS1_14transform_implILb0ES3_S5_N6thrust23THRUST_200600_302600_NS6detail15normal_iteratorINS8_10device_ptrItEEEENSA_INSB_IiEEEEZNS1_13binary_searchIS3_S5_SD_SD_SF_NS1_16binary_search_opENS9_16wrapped_functionINS0_4lessIvEEbEEEE10hipError_tPvRmT1_T2_T3_mmT4_T5_P12ihipStream_tbEUlRKtE_EESM_SQ_SR_mSS_SV_bEUlT_E_NS1_11comp_targetILNS1_3genE4ELNS1_11target_archE910ELNS1_3gpuE8ELNS1_3repE0EEENS1_30default_config_static_selectorELNS0_4arch9wavefront6targetE1EEEvSP_ ; -- Begin function _ZN7rocprim17ROCPRIM_400000_NS6detail17trampoline_kernelINS0_14default_configENS1_29binary_search_config_selectorItiEEZNS1_14transform_implILb0ES3_S5_N6thrust23THRUST_200600_302600_NS6detail15normal_iteratorINS8_10device_ptrItEEEENSA_INSB_IiEEEEZNS1_13binary_searchIS3_S5_SD_SD_SF_NS1_16binary_search_opENS9_16wrapped_functionINS0_4lessIvEEbEEEE10hipError_tPvRmT1_T2_T3_mmT4_T5_P12ihipStream_tbEUlRKtE_EESM_SQ_SR_mSS_SV_bEUlT_E_NS1_11comp_targetILNS1_3genE4ELNS1_11target_archE910ELNS1_3gpuE8ELNS1_3repE0EEENS1_30default_config_static_selectorELNS0_4arch9wavefront6targetE1EEEvSP_
	.globl	_ZN7rocprim17ROCPRIM_400000_NS6detail17trampoline_kernelINS0_14default_configENS1_29binary_search_config_selectorItiEEZNS1_14transform_implILb0ES3_S5_N6thrust23THRUST_200600_302600_NS6detail15normal_iteratorINS8_10device_ptrItEEEENSA_INSB_IiEEEEZNS1_13binary_searchIS3_S5_SD_SD_SF_NS1_16binary_search_opENS9_16wrapped_functionINS0_4lessIvEEbEEEE10hipError_tPvRmT1_T2_T3_mmT4_T5_P12ihipStream_tbEUlRKtE_EESM_SQ_SR_mSS_SV_bEUlT_E_NS1_11comp_targetILNS1_3genE4ELNS1_11target_archE910ELNS1_3gpuE8ELNS1_3repE0EEENS1_30default_config_static_selectorELNS0_4arch9wavefront6targetE1EEEvSP_
	.p2align	8
	.type	_ZN7rocprim17ROCPRIM_400000_NS6detail17trampoline_kernelINS0_14default_configENS1_29binary_search_config_selectorItiEEZNS1_14transform_implILb0ES3_S5_N6thrust23THRUST_200600_302600_NS6detail15normal_iteratorINS8_10device_ptrItEEEENSA_INSB_IiEEEEZNS1_13binary_searchIS3_S5_SD_SD_SF_NS1_16binary_search_opENS9_16wrapped_functionINS0_4lessIvEEbEEEE10hipError_tPvRmT1_T2_T3_mmT4_T5_P12ihipStream_tbEUlRKtE_EESM_SQ_SR_mSS_SV_bEUlT_E_NS1_11comp_targetILNS1_3genE4ELNS1_11target_archE910ELNS1_3gpuE8ELNS1_3repE0EEENS1_30default_config_static_selectorELNS0_4arch9wavefront6targetE1EEEvSP_,@function
_ZN7rocprim17ROCPRIM_400000_NS6detail17trampoline_kernelINS0_14default_configENS1_29binary_search_config_selectorItiEEZNS1_14transform_implILb0ES3_S5_N6thrust23THRUST_200600_302600_NS6detail15normal_iteratorINS8_10device_ptrItEEEENSA_INSB_IiEEEEZNS1_13binary_searchIS3_S5_SD_SD_SF_NS1_16binary_search_opENS9_16wrapped_functionINS0_4lessIvEEbEEEE10hipError_tPvRmT1_T2_T3_mmT4_T5_P12ihipStream_tbEUlRKtE_EESM_SQ_SR_mSS_SV_bEUlT_E_NS1_11comp_targetILNS1_3genE4ELNS1_11target_archE910ELNS1_3gpuE8ELNS1_3repE0EEENS1_30default_config_static_selectorELNS0_4arch9wavefront6targetE1EEEvSP_: ; @_ZN7rocprim17ROCPRIM_400000_NS6detail17trampoline_kernelINS0_14default_configENS1_29binary_search_config_selectorItiEEZNS1_14transform_implILb0ES3_S5_N6thrust23THRUST_200600_302600_NS6detail15normal_iteratorINS8_10device_ptrItEEEENSA_INSB_IiEEEEZNS1_13binary_searchIS3_S5_SD_SD_SF_NS1_16binary_search_opENS9_16wrapped_functionINS0_4lessIvEEbEEEE10hipError_tPvRmT1_T2_T3_mmT4_T5_P12ihipStream_tbEUlRKtE_EESM_SQ_SR_mSS_SV_bEUlT_E_NS1_11comp_targetILNS1_3genE4ELNS1_11target_archE910ELNS1_3gpuE8ELNS1_3repE0EEENS1_30default_config_static_selectorELNS0_4arch9wavefront6targetE1EEEvSP_
; %bb.0:
	s_load_dwordx4 s[16:19], s[4:5], 0x0
	s_load_dwordx4 s[0:3], s[4:5], 0x18
	s_load_dwordx2 s[10:11], s[4:5], 0x28
	s_load_dword s15, s[4:5], 0x38
	s_waitcnt lgkmcnt(0)
	s_lshl_b64 s[8:9], s[18:19], 1
	s_add_u32 s7, s16, s8
	s_addc_u32 s14, s17, s9
	s_lshl_b64 s[8:9], s[18:19], 2
	s_add_u32 s12, s0, s8
	s_addc_u32 s13, s1, s9
	s_lshl_b32 s8, s6, 8
	s_add_i32 s15, s15, -1
	s_mov_b32 s9, 0
	s_cmp_lg_u32 s6, s15
	s_mov_b64 s[0:1], -1
	s_cbranch_scc0 .LBB485_8
; %bb.1:
	s_lshl_b64 s[0:1], s[8:9], 1
	s_add_u32 s0, s7, s0
	s_addc_u32 s1, s14, s1
	v_lshlrev_b32_e32 v1, 1, v0
	v_mov_b32_e32 v3, s1
	v_add_co_u32_e32 v2, vcc, s0, v1
	v_addc_co_u32_e32 v3, vcc, 0, v3, vcc
	flat_load_ushort v1, v[2:3]
	s_mov_b64 s[0:1], 0
	s_cmp_eq_u64 s[10:11], 0
	v_pk_mov_b32 v[2:3], 0, 0
	s_cbranch_scc1 .LBB485_5
; %bb.2:
	v_pk_mov_b32 v[2:3], 0, 0
	v_pk_mov_b32 v[4:5], s[10:11], s[10:11] op_sel:[0,1]
	v_mov_b32_e32 v6, s3
.LBB485_3:                              ; =>This Inner Loop Header: Depth=1
	v_sub_co_u32_e32 v8, vcc, v4, v2
	v_subb_co_u32_e32 v9, vcc, v5, v3, vcc
	v_lshrrev_b64 v[10:11], 1, v[8:9]
	v_add_co_u32_e32 v7, vcc, v10, v2
	v_lshrrev_b64 v[8:9], 6, v[8:9]
	v_addc_co_u32_e32 v10, vcc, v11, v3, vcc
	v_add_co_u32_e32 v8, vcc, v7, v8
	v_addc_co_u32_e32 v9, vcc, v10, v9, vcc
	v_lshlrev_b64 v[10:11], 1, v[8:9]
	v_add_co_u32_e32 v10, vcc, s2, v10
	v_addc_co_u32_e32 v11, vcc, v6, v11, vcc
	global_load_ushort v7, v[10:11], off
	v_add_co_u32_e32 v10, vcc, 1, v8
	v_addc_co_u32_e32 v11, vcc, 0, v9, vcc
	s_waitcnt vmcnt(0) lgkmcnt(0)
	v_cmp_lt_u16_e32 vcc, v7, v1
	v_cndmask_b32_e32 v5, v9, v5, vcc
	v_cndmask_b32_e32 v4, v8, v4, vcc
	;; [unrolled: 1-line block ×4, first 2 shown]
	v_cmp_ge_u64_e32 vcc, v[2:3], v[4:5]
	s_or_b64 s[0:1], vcc, s[0:1]
	s_andn2_b64 exec, exec, s[0:1]
	s_cbranch_execnz .LBB485_3
; %bb.4:
	s_or_b64 exec, exec, s[0:1]
.LBB485_5:
	v_cmp_ne_u64_e32 vcc, s[10:11], v[2:3]
	v_mov_b32_e32 v4, 0
	s_and_saveexec_b64 s[0:1], vcc
	s_cbranch_execz .LBB485_7
; %bb.6:
	v_lshlrev_b64 v[2:3], 1, v[2:3]
	v_mov_b32_e32 v4, s3
	v_add_co_u32_e32 v2, vcc, s2, v2
	v_addc_co_u32_e32 v3, vcc, v4, v3, vcc
	global_load_ushort v2, v[2:3], off
	s_waitcnt vmcnt(0) lgkmcnt(0)
	v_cmp_le_u16_e32 vcc, v2, v1
	v_cndmask_b32_e64 v4, 0, 1, vcc
.LBB485_7:
	s_or_b64 exec, exec, s[0:1]
	s_lshl_b64 s[0:1], s[8:9], 2
	s_add_u32 s0, s12, s0
	s_addc_u32 s1, s13, s1
	s_waitcnt vmcnt(0) lgkmcnt(0)
	v_lshlrev_b32_e32 v1, 2, v0
	v_mov_b32_e32 v3, s1
	v_add_co_u32_e32 v2, vcc, s0, v1
	v_addc_co_u32_e32 v3, vcc, 0, v3, vcc
	s_mov_b64 s[0:1], 0
	flat_store_dword v[2:3], v4
.LBB485_8:
	s_and_b64 vcc, exec, s[0:1]
	s_cbranch_vccz .LBB485_13
; %bb.9:
	s_load_dword s0, s[4:5], 0x10
                                        ; implicit-def: $vgpr1
	s_waitcnt lgkmcnt(0)
	s_sub_i32 s0, s0, s8
	v_cmp_gt_u32_e32 vcc, s0, v0
	s_and_saveexec_b64 s[4:5], vcc
	s_cbranch_execnz .LBB485_14
; %bb.10:
	s_or_b64 exec, exec, s[4:5]
                                        ; implicit-def: $vgpr4
	s_and_saveexec_b64 s[4:5], vcc
	s_cbranch_execnz .LBB485_15
.LBB485_11:
	s_or_b64 exec, exec, s[4:5]
	s_and_saveexec_b64 s[0:1], vcc
	s_cbranch_execz .LBB485_13
.LBB485_12:
	s_lshl_b64 s[0:1], s[8:9], 2
	s_add_u32 s0, s12, s0
	s_addc_u32 s1, s13, s1
	v_lshlrev_b32_e32 v0, 2, v0
	s_waitcnt vmcnt(0) lgkmcnt(0)
	v_mov_b32_e32 v1, s1
	v_add_co_u32_e32 v0, vcc, s0, v0
	v_addc_co_u32_e32 v1, vcc, 0, v1, vcc
	flat_store_dword v[0:1], v4
.LBB485_13:
	s_endpgm
.LBB485_14:
	s_lshl_b64 s[0:1], s[8:9], 1
	s_add_u32 s0, s7, s0
	s_addc_u32 s1, s14, s1
	v_lshlrev_b32_e32 v1, 1, v0
	v_mov_b32_e32 v3, s1
	v_add_co_u32_e64 v2, s[0:1], s0, v1
	v_addc_co_u32_e64 v3, s[0:1], 0, v3, s[0:1]
	flat_load_ushort v1, v[2:3]
	s_or_b64 exec, exec, s[4:5]
                                        ; implicit-def: $vgpr4
	s_and_saveexec_b64 s[4:5], vcc
	s_cbranch_execz .LBB485_11
.LBB485_15:
	s_mov_b64 s[6:7], 0
	s_cmp_eq_u64 s[10:11], 0
	v_pk_mov_b32 v[2:3], 0, 0
	s_cbranch_scc1 .LBB485_19
; %bb.16:
	v_pk_mov_b32 v[2:3], 0, 0
	v_pk_mov_b32 v[4:5], s[10:11], s[10:11] op_sel:[0,1]
	v_mov_b32_e32 v6, s3
.LBB485_17:                             ; =>This Inner Loop Header: Depth=1
	v_sub_co_u32_e64 v8, s[0:1], v4, v2
	v_subb_co_u32_e64 v9, s[0:1], v5, v3, s[0:1]
	v_lshrrev_b64 v[10:11], 1, v[8:9]
	v_add_co_u32_e64 v7, s[0:1], v10, v2
	v_lshrrev_b64 v[8:9], 6, v[8:9]
	v_addc_co_u32_e64 v10, s[0:1], v11, v3, s[0:1]
	v_add_co_u32_e64 v8, s[0:1], v7, v8
	v_addc_co_u32_e64 v9, s[0:1], v10, v9, s[0:1]
	v_lshlrev_b64 v[10:11], 1, v[8:9]
	v_add_co_u32_e64 v10, s[0:1], s2, v10
	v_addc_co_u32_e64 v11, s[0:1], v6, v11, s[0:1]
	global_load_ushort v7, v[10:11], off
	v_add_co_u32_e64 v10, s[0:1], 1, v8
	v_addc_co_u32_e64 v11, s[0:1], 0, v9, s[0:1]
	s_waitcnt vmcnt(0) lgkmcnt(0)
	v_cmp_lt_u16_e64 s[0:1], v7, v1
	v_cndmask_b32_e64 v5, v9, v5, s[0:1]
	v_cndmask_b32_e64 v4, v8, v4, s[0:1]
	;; [unrolled: 1-line block ×4, first 2 shown]
	v_cmp_ge_u64_e64 s[0:1], v[2:3], v[4:5]
	s_or_b64 s[6:7], s[0:1], s[6:7]
	s_andn2_b64 exec, exec, s[6:7]
	s_cbranch_execnz .LBB485_17
; %bb.18:
	s_or_b64 exec, exec, s[6:7]
.LBB485_19:
	v_cmp_ne_u64_e64 s[0:1], s[10:11], v[2:3]
	v_mov_b32_e32 v4, 0
	s_and_saveexec_b64 s[6:7], s[0:1]
	s_cbranch_execz .LBB485_21
; %bb.20:
	v_lshlrev_b64 v[2:3], 1, v[2:3]
	v_mov_b32_e32 v4, s3
	v_add_co_u32_e64 v2, s[0:1], s2, v2
	v_addc_co_u32_e64 v3, s[0:1], v4, v3, s[0:1]
	global_load_ushort v2, v[2:3], off
	s_waitcnt vmcnt(0) lgkmcnt(0)
	v_cmp_le_u16_e64 s[0:1], v2, v1
	v_cndmask_b32_e64 v4, 0, 1, s[0:1]
.LBB485_21:
	s_or_b64 exec, exec, s[6:7]
	s_or_b64 exec, exec, s[4:5]
	s_and_saveexec_b64 s[0:1], vcc
	s_cbranch_execnz .LBB485_12
	s_branch .LBB485_13
	.section	.rodata,"a",@progbits
	.p2align	6, 0x0
	.amdhsa_kernel _ZN7rocprim17ROCPRIM_400000_NS6detail17trampoline_kernelINS0_14default_configENS1_29binary_search_config_selectorItiEEZNS1_14transform_implILb0ES3_S5_N6thrust23THRUST_200600_302600_NS6detail15normal_iteratorINS8_10device_ptrItEEEENSA_INSB_IiEEEEZNS1_13binary_searchIS3_S5_SD_SD_SF_NS1_16binary_search_opENS9_16wrapped_functionINS0_4lessIvEEbEEEE10hipError_tPvRmT1_T2_T3_mmT4_T5_P12ihipStream_tbEUlRKtE_EESM_SQ_SR_mSS_SV_bEUlT_E_NS1_11comp_targetILNS1_3genE4ELNS1_11target_archE910ELNS1_3gpuE8ELNS1_3repE0EEENS1_30default_config_static_selectorELNS0_4arch9wavefront6targetE1EEEvSP_
		.amdhsa_group_segment_fixed_size 0
		.amdhsa_private_segment_fixed_size 0
		.amdhsa_kernarg_size 312
		.amdhsa_user_sgpr_count 6
		.amdhsa_user_sgpr_private_segment_buffer 1
		.amdhsa_user_sgpr_dispatch_ptr 0
		.amdhsa_user_sgpr_queue_ptr 0
		.amdhsa_user_sgpr_kernarg_segment_ptr 1
		.amdhsa_user_sgpr_dispatch_id 0
		.amdhsa_user_sgpr_flat_scratch_init 0
		.amdhsa_user_sgpr_kernarg_preload_length 0
		.amdhsa_user_sgpr_kernarg_preload_offset 0
		.amdhsa_user_sgpr_private_segment_size 0
		.amdhsa_uses_dynamic_stack 0
		.amdhsa_system_sgpr_private_segment_wavefront_offset 0
		.amdhsa_system_sgpr_workgroup_id_x 1
		.amdhsa_system_sgpr_workgroup_id_y 0
		.amdhsa_system_sgpr_workgroup_id_z 0
		.amdhsa_system_sgpr_workgroup_info 0
		.amdhsa_system_vgpr_workitem_id 0
		.amdhsa_next_free_vgpr 12
		.amdhsa_next_free_sgpr 20
		.amdhsa_accum_offset 12
		.amdhsa_reserve_vcc 1
		.amdhsa_reserve_flat_scratch 0
		.amdhsa_float_round_mode_32 0
		.amdhsa_float_round_mode_16_64 0
		.amdhsa_float_denorm_mode_32 3
		.amdhsa_float_denorm_mode_16_64 3
		.amdhsa_dx10_clamp 1
		.amdhsa_ieee_mode 1
		.amdhsa_fp16_overflow 0
		.amdhsa_tg_split 0
		.amdhsa_exception_fp_ieee_invalid_op 0
		.amdhsa_exception_fp_denorm_src 0
		.amdhsa_exception_fp_ieee_div_zero 0
		.amdhsa_exception_fp_ieee_overflow 0
		.amdhsa_exception_fp_ieee_underflow 0
		.amdhsa_exception_fp_ieee_inexact 0
		.amdhsa_exception_int_div_zero 0
	.end_amdhsa_kernel
	.section	.text._ZN7rocprim17ROCPRIM_400000_NS6detail17trampoline_kernelINS0_14default_configENS1_29binary_search_config_selectorItiEEZNS1_14transform_implILb0ES3_S5_N6thrust23THRUST_200600_302600_NS6detail15normal_iteratorINS8_10device_ptrItEEEENSA_INSB_IiEEEEZNS1_13binary_searchIS3_S5_SD_SD_SF_NS1_16binary_search_opENS9_16wrapped_functionINS0_4lessIvEEbEEEE10hipError_tPvRmT1_T2_T3_mmT4_T5_P12ihipStream_tbEUlRKtE_EESM_SQ_SR_mSS_SV_bEUlT_E_NS1_11comp_targetILNS1_3genE4ELNS1_11target_archE910ELNS1_3gpuE8ELNS1_3repE0EEENS1_30default_config_static_selectorELNS0_4arch9wavefront6targetE1EEEvSP_,"axG",@progbits,_ZN7rocprim17ROCPRIM_400000_NS6detail17trampoline_kernelINS0_14default_configENS1_29binary_search_config_selectorItiEEZNS1_14transform_implILb0ES3_S5_N6thrust23THRUST_200600_302600_NS6detail15normal_iteratorINS8_10device_ptrItEEEENSA_INSB_IiEEEEZNS1_13binary_searchIS3_S5_SD_SD_SF_NS1_16binary_search_opENS9_16wrapped_functionINS0_4lessIvEEbEEEE10hipError_tPvRmT1_T2_T3_mmT4_T5_P12ihipStream_tbEUlRKtE_EESM_SQ_SR_mSS_SV_bEUlT_E_NS1_11comp_targetILNS1_3genE4ELNS1_11target_archE910ELNS1_3gpuE8ELNS1_3repE0EEENS1_30default_config_static_selectorELNS0_4arch9wavefront6targetE1EEEvSP_,comdat
.Lfunc_end485:
	.size	_ZN7rocprim17ROCPRIM_400000_NS6detail17trampoline_kernelINS0_14default_configENS1_29binary_search_config_selectorItiEEZNS1_14transform_implILb0ES3_S5_N6thrust23THRUST_200600_302600_NS6detail15normal_iteratorINS8_10device_ptrItEEEENSA_INSB_IiEEEEZNS1_13binary_searchIS3_S5_SD_SD_SF_NS1_16binary_search_opENS9_16wrapped_functionINS0_4lessIvEEbEEEE10hipError_tPvRmT1_T2_T3_mmT4_T5_P12ihipStream_tbEUlRKtE_EESM_SQ_SR_mSS_SV_bEUlT_E_NS1_11comp_targetILNS1_3genE4ELNS1_11target_archE910ELNS1_3gpuE8ELNS1_3repE0EEENS1_30default_config_static_selectorELNS0_4arch9wavefront6targetE1EEEvSP_, .Lfunc_end485-_ZN7rocprim17ROCPRIM_400000_NS6detail17trampoline_kernelINS0_14default_configENS1_29binary_search_config_selectorItiEEZNS1_14transform_implILb0ES3_S5_N6thrust23THRUST_200600_302600_NS6detail15normal_iteratorINS8_10device_ptrItEEEENSA_INSB_IiEEEEZNS1_13binary_searchIS3_S5_SD_SD_SF_NS1_16binary_search_opENS9_16wrapped_functionINS0_4lessIvEEbEEEE10hipError_tPvRmT1_T2_T3_mmT4_T5_P12ihipStream_tbEUlRKtE_EESM_SQ_SR_mSS_SV_bEUlT_E_NS1_11comp_targetILNS1_3genE4ELNS1_11target_archE910ELNS1_3gpuE8ELNS1_3repE0EEENS1_30default_config_static_selectorELNS0_4arch9wavefront6targetE1EEEvSP_
                                        ; -- End function
	.section	.AMDGPU.csdata,"",@progbits
; Kernel info:
; codeLenInByte = 860
; NumSgprs: 24
; NumVgprs: 12
; NumAgprs: 0
; TotalNumVgprs: 12
; ScratchSize: 0
; MemoryBound: 0
; FloatMode: 240
; IeeeMode: 1
; LDSByteSize: 0 bytes/workgroup (compile time only)
; SGPRBlocks: 2
; VGPRBlocks: 1
; NumSGPRsForWavesPerEU: 24
; NumVGPRsForWavesPerEU: 12
; AccumOffset: 12
; Occupancy: 8
; WaveLimiterHint : 0
; COMPUTE_PGM_RSRC2:SCRATCH_EN: 0
; COMPUTE_PGM_RSRC2:USER_SGPR: 6
; COMPUTE_PGM_RSRC2:TRAP_HANDLER: 0
; COMPUTE_PGM_RSRC2:TGID_X_EN: 1
; COMPUTE_PGM_RSRC2:TGID_Y_EN: 0
; COMPUTE_PGM_RSRC2:TGID_Z_EN: 0
; COMPUTE_PGM_RSRC2:TIDIG_COMP_CNT: 0
; COMPUTE_PGM_RSRC3_GFX90A:ACCUM_OFFSET: 2
; COMPUTE_PGM_RSRC3_GFX90A:TG_SPLIT: 0
	.section	.text._ZN7rocprim17ROCPRIM_400000_NS6detail17trampoline_kernelINS0_14default_configENS1_29binary_search_config_selectorItiEEZNS1_14transform_implILb0ES3_S5_N6thrust23THRUST_200600_302600_NS6detail15normal_iteratorINS8_10device_ptrItEEEENSA_INSB_IiEEEEZNS1_13binary_searchIS3_S5_SD_SD_SF_NS1_16binary_search_opENS9_16wrapped_functionINS0_4lessIvEEbEEEE10hipError_tPvRmT1_T2_T3_mmT4_T5_P12ihipStream_tbEUlRKtE_EESM_SQ_SR_mSS_SV_bEUlT_E_NS1_11comp_targetILNS1_3genE3ELNS1_11target_archE908ELNS1_3gpuE7ELNS1_3repE0EEENS1_30default_config_static_selectorELNS0_4arch9wavefront6targetE1EEEvSP_,"axG",@progbits,_ZN7rocprim17ROCPRIM_400000_NS6detail17trampoline_kernelINS0_14default_configENS1_29binary_search_config_selectorItiEEZNS1_14transform_implILb0ES3_S5_N6thrust23THRUST_200600_302600_NS6detail15normal_iteratorINS8_10device_ptrItEEEENSA_INSB_IiEEEEZNS1_13binary_searchIS3_S5_SD_SD_SF_NS1_16binary_search_opENS9_16wrapped_functionINS0_4lessIvEEbEEEE10hipError_tPvRmT1_T2_T3_mmT4_T5_P12ihipStream_tbEUlRKtE_EESM_SQ_SR_mSS_SV_bEUlT_E_NS1_11comp_targetILNS1_3genE3ELNS1_11target_archE908ELNS1_3gpuE7ELNS1_3repE0EEENS1_30default_config_static_selectorELNS0_4arch9wavefront6targetE1EEEvSP_,comdat
	.protected	_ZN7rocprim17ROCPRIM_400000_NS6detail17trampoline_kernelINS0_14default_configENS1_29binary_search_config_selectorItiEEZNS1_14transform_implILb0ES3_S5_N6thrust23THRUST_200600_302600_NS6detail15normal_iteratorINS8_10device_ptrItEEEENSA_INSB_IiEEEEZNS1_13binary_searchIS3_S5_SD_SD_SF_NS1_16binary_search_opENS9_16wrapped_functionINS0_4lessIvEEbEEEE10hipError_tPvRmT1_T2_T3_mmT4_T5_P12ihipStream_tbEUlRKtE_EESM_SQ_SR_mSS_SV_bEUlT_E_NS1_11comp_targetILNS1_3genE3ELNS1_11target_archE908ELNS1_3gpuE7ELNS1_3repE0EEENS1_30default_config_static_selectorELNS0_4arch9wavefront6targetE1EEEvSP_ ; -- Begin function _ZN7rocprim17ROCPRIM_400000_NS6detail17trampoline_kernelINS0_14default_configENS1_29binary_search_config_selectorItiEEZNS1_14transform_implILb0ES3_S5_N6thrust23THRUST_200600_302600_NS6detail15normal_iteratorINS8_10device_ptrItEEEENSA_INSB_IiEEEEZNS1_13binary_searchIS3_S5_SD_SD_SF_NS1_16binary_search_opENS9_16wrapped_functionINS0_4lessIvEEbEEEE10hipError_tPvRmT1_T2_T3_mmT4_T5_P12ihipStream_tbEUlRKtE_EESM_SQ_SR_mSS_SV_bEUlT_E_NS1_11comp_targetILNS1_3genE3ELNS1_11target_archE908ELNS1_3gpuE7ELNS1_3repE0EEENS1_30default_config_static_selectorELNS0_4arch9wavefront6targetE1EEEvSP_
	.globl	_ZN7rocprim17ROCPRIM_400000_NS6detail17trampoline_kernelINS0_14default_configENS1_29binary_search_config_selectorItiEEZNS1_14transform_implILb0ES3_S5_N6thrust23THRUST_200600_302600_NS6detail15normal_iteratorINS8_10device_ptrItEEEENSA_INSB_IiEEEEZNS1_13binary_searchIS3_S5_SD_SD_SF_NS1_16binary_search_opENS9_16wrapped_functionINS0_4lessIvEEbEEEE10hipError_tPvRmT1_T2_T3_mmT4_T5_P12ihipStream_tbEUlRKtE_EESM_SQ_SR_mSS_SV_bEUlT_E_NS1_11comp_targetILNS1_3genE3ELNS1_11target_archE908ELNS1_3gpuE7ELNS1_3repE0EEENS1_30default_config_static_selectorELNS0_4arch9wavefront6targetE1EEEvSP_
	.p2align	8
	.type	_ZN7rocprim17ROCPRIM_400000_NS6detail17trampoline_kernelINS0_14default_configENS1_29binary_search_config_selectorItiEEZNS1_14transform_implILb0ES3_S5_N6thrust23THRUST_200600_302600_NS6detail15normal_iteratorINS8_10device_ptrItEEEENSA_INSB_IiEEEEZNS1_13binary_searchIS3_S5_SD_SD_SF_NS1_16binary_search_opENS9_16wrapped_functionINS0_4lessIvEEbEEEE10hipError_tPvRmT1_T2_T3_mmT4_T5_P12ihipStream_tbEUlRKtE_EESM_SQ_SR_mSS_SV_bEUlT_E_NS1_11comp_targetILNS1_3genE3ELNS1_11target_archE908ELNS1_3gpuE7ELNS1_3repE0EEENS1_30default_config_static_selectorELNS0_4arch9wavefront6targetE1EEEvSP_,@function
_ZN7rocprim17ROCPRIM_400000_NS6detail17trampoline_kernelINS0_14default_configENS1_29binary_search_config_selectorItiEEZNS1_14transform_implILb0ES3_S5_N6thrust23THRUST_200600_302600_NS6detail15normal_iteratorINS8_10device_ptrItEEEENSA_INSB_IiEEEEZNS1_13binary_searchIS3_S5_SD_SD_SF_NS1_16binary_search_opENS9_16wrapped_functionINS0_4lessIvEEbEEEE10hipError_tPvRmT1_T2_T3_mmT4_T5_P12ihipStream_tbEUlRKtE_EESM_SQ_SR_mSS_SV_bEUlT_E_NS1_11comp_targetILNS1_3genE3ELNS1_11target_archE908ELNS1_3gpuE7ELNS1_3repE0EEENS1_30default_config_static_selectorELNS0_4arch9wavefront6targetE1EEEvSP_: ; @_ZN7rocprim17ROCPRIM_400000_NS6detail17trampoline_kernelINS0_14default_configENS1_29binary_search_config_selectorItiEEZNS1_14transform_implILb0ES3_S5_N6thrust23THRUST_200600_302600_NS6detail15normal_iteratorINS8_10device_ptrItEEEENSA_INSB_IiEEEEZNS1_13binary_searchIS3_S5_SD_SD_SF_NS1_16binary_search_opENS9_16wrapped_functionINS0_4lessIvEEbEEEE10hipError_tPvRmT1_T2_T3_mmT4_T5_P12ihipStream_tbEUlRKtE_EESM_SQ_SR_mSS_SV_bEUlT_E_NS1_11comp_targetILNS1_3genE3ELNS1_11target_archE908ELNS1_3gpuE7ELNS1_3repE0EEENS1_30default_config_static_selectorELNS0_4arch9wavefront6targetE1EEEvSP_
; %bb.0:
	.section	.rodata,"a",@progbits
	.p2align	6, 0x0
	.amdhsa_kernel _ZN7rocprim17ROCPRIM_400000_NS6detail17trampoline_kernelINS0_14default_configENS1_29binary_search_config_selectorItiEEZNS1_14transform_implILb0ES3_S5_N6thrust23THRUST_200600_302600_NS6detail15normal_iteratorINS8_10device_ptrItEEEENSA_INSB_IiEEEEZNS1_13binary_searchIS3_S5_SD_SD_SF_NS1_16binary_search_opENS9_16wrapped_functionINS0_4lessIvEEbEEEE10hipError_tPvRmT1_T2_T3_mmT4_T5_P12ihipStream_tbEUlRKtE_EESM_SQ_SR_mSS_SV_bEUlT_E_NS1_11comp_targetILNS1_3genE3ELNS1_11target_archE908ELNS1_3gpuE7ELNS1_3repE0EEENS1_30default_config_static_selectorELNS0_4arch9wavefront6targetE1EEEvSP_
		.amdhsa_group_segment_fixed_size 0
		.amdhsa_private_segment_fixed_size 0
		.amdhsa_kernarg_size 56
		.amdhsa_user_sgpr_count 6
		.amdhsa_user_sgpr_private_segment_buffer 1
		.amdhsa_user_sgpr_dispatch_ptr 0
		.amdhsa_user_sgpr_queue_ptr 0
		.amdhsa_user_sgpr_kernarg_segment_ptr 1
		.amdhsa_user_sgpr_dispatch_id 0
		.amdhsa_user_sgpr_flat_scratch_init 0
		.amdhsa_user_sgpr_kernarg_preload_length 0
		.amdhsa_user_sgpr_kernarg_preload_offset 0
		.amdhsa_user_sgpr_private_segment_size 0
		.amdhsa_uses_dynamic_stack 0
		.amdhsa_system_sgpr_private_segment_wavefront_offset 0
		.amdhsa_system_sgpr_workgroup_id_x 1
		.amdhsa_system_sgpr_workgroup_id_y 0
		.amdhsa_system_sgpr_workgroup_id_z 0
		.amdhsa_system_sgpr_workgroup_info 0
		.amdhsa_system_vgpr_workitem_id 0
		.amdhsa_next_free_vgpr 1
		.amdhsa_next_free_sgpr 0
		.amdhsa_accum_offset 4
		.amdhsa_reserve_vcc 0
		.amdhsa_reserve_flat_scratch 0
		.amdhsa_float_round_mode_32 0
		.amdhsa_float_round_mode_16_64 0
		.amdhsa_float_denorm_mode_32 3
		.amdhsa_float_denorm_mode_16_64 3
		.amdhsa_dx10_clamp 1
		.amdhsa_ieee_mode 1
		.amdhsa_fp16_overflow 0
		.amdhsa_tg_split 0
		.amdhsa_exception_fp_ieee_invalid_op 0
		.amdhsa_exception_fp_denorm_src 0
		.amdhsa_exception_fp_ieee_div_zero 0
		.amdhsa_exception_fp_ieee_overflow 0
		.amdhsa_exception_fp_ieee_underflow 0
		.amdhsa_exception_fp_ieee_inexact 0
		.amdhsa_exception_int_div_zero 0
	.end_amdhsa_kernel
	.section	.text._ZN7rocprim17ROCPRIM_400000_NS6detail17trampoline_kernelINS0_14default_configENS1_29binary_search_config_selectorItiEEZNS1_14transform_implILb0ES3_S5_N6thrust23THRUST_200600_302600_NS6detail15normal_iteratorINS8_10device_ptrItEEEENSA_INSB_IiEEEEZNS1_13binary_searchIS3_S5_SD_SD_SF_NS1_16binary_search_opENS9_16wrapped_functionINS0_4lessIvEEbEEEE10hipError_tPvRmT1_T2_T3_mmT4_T5_P12ihipStream_tbEUlRKtE_EESM_SQ_SR_mSS_SV_bEUlT_E_NS1_11comp_targetILNS1_3genE3ELNS1_11target_archE908ELNS1_3gpuE7ELNS1_3repE0EEENS1_30default_config_static_selectorELNS0_4arch9wavefront6targetE1EEEvSP_,"axG",@progbits,_ZN7rocprim17ROCPRIM_400000_NS6detail17trampoline_kernelINS0_14default_configENS1_29binary_search_config_selectorItiEEZNS1_14transform_implILb0ES3_S5_N6thrust23THRUST_200600_302600_NS6detail15normal_iteratorINS8_10device_ptrItEEEENSA_INSB_IiEEEEZNS1_13binary_searchIS3_S5_SD_SD_SF_NS1_16binary_search_opENS9_16wrapped_functionINS0_4lessIvEEbEEEE10hipError_tPvRmT1_T2_T3_mmT4_T5_P12ihipStream_tbEUlRKtE_EESM_SQ_SR_mSS_SV_bEUlT_E_NS1_11comp_targetILNS1_3genE3ELNS1_11target_archE908ELNS1_3gpuE7ELNS1_3repE0EEENS1_30default_config_static_selectorELNS0_4arch9wavefront6targetE1EEEvSP_,comdat
.Lfunc_end486:
	.size	_ZN7rocprim17ROCPRIM_400000_NS6detail17trampoline_kernelINS0_14default_configENS1_29binary_search_config_selectorItiEEZNS1_14transform_implILb0ES3_S5_N6thrust23THRUST_200600_302600_NS6detail15normal_iteratorINS8_10device_ptrItEEEENSA_INSB_IiEEEEZNS1_13binary_searchIS3_S5_SD_SD_SF_NS1_16binary_search_opENS9_16wrapped_functionINS0_4lessIvEEbEEEE10hipError_tPvRmT1_T2_T3_mmT4_T5_P12ihipStream_tbEUlRKtE_EESM_SQ_SR_mSS_SV_bEUlT_E_NS1_11comp_targetILNS1_3genE3ELNS1_11target_archE908ELNS1_3gpuE7ELNS1_3repE0EEENS1_30default_config_static_selectorELNS0_4arch9wavefront6targetE1EEEvSP_, .Lfunc_end486-_ZN7rocprim17ROCPRIM_400000_NS6detail17trampoline_kernelINS0_14default_configENS1_29binary_search_config_selectorItiEEZNS1_14transform_implILb0ES3_S5_N6thrust23THRUST_200600_302600_NS6detail15normal_iteratorINS8_10device_ptrItEEEENSA_INSB_IiEEEEZNS1_13binary_searchIS3_S5_SD_SD_SF_NS1_16binary_search_opENS9_16wrapped_functionINS0_4lessIvEEbEEEE10hipError_tPvRmT1_T2_T3_mmT4_T5_P12ihipStream_tbEUlRKtE_EESM_SQ_SR_mSS_SV_bEUlT_E_NS1_11comp_targetILNS1_3genE3ELNS1_11target_archE908ELNS1_3gpuE7ELNS1_3repE0EEENS1_30default_config_static_selectorELNS0_4arch9wavefront6targetE1EEEvSP_
                                        ; -- End function
	.section	.AMDGPU.csdata,"",@progbits
; Kernel info:
; codeLenInByte = 0
; NumSgprs: 4
; NumVgprs: 0
; NumAgprs: 0
; TotalNumVgprs: 0
; ScratchSize: 0
; MemoryBound: 0
; FloatMode: 240
; IeeeMode: 1
; LDSByteSize: 0 bytes/workgroup (compile time only)
; SGPRBlocks: 0
; VGPRBlocks: 0
; NumSGPRsForWavesPerEU: 4
; NumVGPRsForWavesPerEU: 1
; AccumOffset: 4
; Occupancy: 8
; WaveLimiterHint : 0
; COMPUTE_PGM_RSRC2:SCRATCH_EN: 0
; COMPUTE_PGM_RSRC2:USER_SGPR: 6
; COMPUTE_PGM_RSRC2:TRAP_HANDLER: 0
; COMPUTE_PGM_RSRC2:TGID_X_EN: 1
; COMPUTE_PGM_RSRC2:TGID_Y_EN: 0
; COMPUTE_PGM_RSRC2:TGID_Z_EN: 0
; COMPUTE_PGM_RSRC2:TIDIG_COMP_CNT: 0
; COMPUTE_PGM_RSRC3_GFX90A:ACCUM_OFFSET: 0
; COMPUTE_PGM_RSRC3_GFX90A:TG_SPLIT: 0
	.section	.text._ZN7rocprim17ROCPRIM_400000_NS6detail17trampoline_kernelINS0_14default_configENS1_29binary_search_config_selectorItiEEZNS1_14transform_implILb0ES3_S5_N6thrust23THRUST_200600_302600_NS6detail15normal_iteratorINS8_10device_ptrItEEEENSA_INSB_IiEEEEZNS1_13binary_searchIS3_S5_SD_SD_SF_NS1_16binary_search_opENS9_16wrapped_functionINS0_4lessIvEEbEEEE10hipError_tPvRmT1_T2_T3_mmT4_T5_P12ihipStream_tbEUlRKtE_EESM_SQ_SR_mSS_SV_bEUlT_E_NS1_11comp_targetILNS1_3genE2ELNS1_11target_archE906ELNS1_3gpuE6ELNS1_3repE0EEENS1_30default_config_static_selectorELNS0_4arch9wavefront6targetE1EEEvSP_,"axG",@progbits,_ZN7rocprim17ROCPRIM_400000_NS6detail17trampoline_kernelINS0_14default_configENS1_29binary_search_config_selectorItiEEZNS1_14transform_implILb0ES3_S5_N6thrust23THRUST_200600_302600_NS6detail15normal_iteratorINS8_10device_ptrItEEEENSA_INSB_IiEEEEZNS1_13binary_searchIS3_S5_SD_SD_SF_NS1_16binary_search_opENS9_16wrapped_functionINS0_4lessIvEEbEEEE10hipError_tPvRmT1_T2_T3_mmT4_T5_P12ihipStream_tbEUlRKtE_EESM_SQ_SR_mSS_SV_bEUlT_E_NS1_11comp_targetILNS1_3genE2ELNS1_11target_archE906ELNS1_3gpuE6ELNS1_3repE0EEENS1_30default_config_static_selectorELNS0_4arch9wavefront6targetE1EEEvSP_,comdat
	.protected	_ZN7rocprim17ROCPRIM_400000_NS6detail17trampoline_kernelINS0_14default_configENS1_29binary_search_config_selectorItiEEZNS1_14transform_implILb0ES3_S5_N6thrust23THRUST_200600_302600_NS6detail15normal_iteratorINS8_10device_ptrItEEEENSA_INSB_IiEEEEZNS1_13binary_searchIS3_S5_SD_SD_SF_NS1_16binary_search_opENS9_16wrapped_functionINS0_4lessIvEEbEEEE10hipError_tPvRmT1_T2_T3_mmT4_T5_P12ihipStream_tbEUlRKtE_EESM_SQ_SR_mSS_SV_bEUlT_E_NS1_11comp_targetILNS1_3genE2ELNS1_11target_archE906ELNS1_3gpuE6ELNS1_3repE0EEENS1_30default_config_static_selectorELNS0_4arch9wavefront6targetE1EEEvSP_ ; -- Begin function _ZN7rocprim17ROCPRIM_400000_NS6detail17trampoline_kernelINS0_14default_configENS1_29binary_search_config_selectorItiEEZNS1_14transform_implILb0ES3_S5_N6thrust23THRUST_200600_302600_NS6detail15normal_iteratorINS8_10device_ptrItEEEENSA_INSB_IiEEEEZNS1_13binary_searchIS3_S5_SD_SD_SF_NS1_16binary_search_opENS9_16wrapped_functionINS0_4lessIvEEbEEEE10hipError_tPvRmT1_T2_T3_mmT4_T5_P12ihipStream_tbEUlRKtE_EESM_SQ_SR_mSS_SV_bEUlT_E_NS1_11comp_targetILNS1_3genE2ELNS1_11target_archE906ELNS1_3gpuE6ELNS1_3repE0EEENS1_30default_config_static_selectorELNS0_4arch9wavefront6targetE1EEEvSP_
	.globl	_ZN7rocprim17ROCPRIM_400000_NS6detail17trampoline_kernelINS0_14default_configENS1_29binary_search_config_selectorItiEEZNS1_14transform_implILb0ES3_S5_N6thrust23THRUST_200600_302600_NS6detail15normal_iteratorINS8_10device_ptrItEEEENSA_INSB_IiEEEEZNS1_13binary_searchIS3_S5_SD_SD_SF_NS1_16binary_search_opENS9_16wrapped_functionINS0_4lessIvEEbEEEE10hipError_tPvRmT1_T2_T3_mmT4_T5_P12ihipStream_tbEUlRKtE_EESM_SQ_SR_mSS_SV_bEUlT_E_NS1_11comp_targetILNS1_3genE2ELNS1_11target_archE906ELNS1_3gpuE6ELNS1_3repE0EEENS1_30default_config_static_selectorELNS0_4arch9wavefront6targetE1EEEvSP_
	.p2align	8
	.type	_ZN7rocprim17ROCPRIM_400000_NS6detail17trampoline_kernelINS0_14default_configENS1_29binary_search_config_selectorItiEEZNS1_14transform_implILb0ES3_S5_N6thrust23THRUST_200600_302600_NS6detail15normal_iteratorINS8_10device_ptrItEEEENSA_INSB_IiEEEEZNS1_13binary_searchIS3_S5_SD_SD_SF_NS1_16binary_search_opENS9_16wrapped_functionINS0_4lessIvEEbEEEE10hipError_tPvRmT1_T2_T3_mmT4_T5_P12ihipStream_tbEUlRKtE_EESM_SQ_SR_mSS_SV_bEUlT_E_NS1_11comp_targetILNS1_3genE2ELNS1_11target_archE906ELNS1_3gpuE6ELNS1_3repE0EEENS1_30default_config_static_selectorELNS0_4arch9wavefront6targetE1EEEvSP_,@function
_ZN7rocprim17ROCPRIM_400000_NS6detail17trampoline_kernelINS0_14default_configENS1_29binary_search_config_selectorItiEEZNS1_14transform_implILb0ES3_S5_N6thrust23THRUST_200600_302600_NS6detail15normal_iteratorINS8_10device_ptrItEEEENSA_INSB_IiEEEEZNS1_13binary_searchIS3_S5_SD_SD_SF_NS1_16binary_search_opENS9_16wrapped_functionINS0_4lessIvEEbEEEE10hipError_tPvRmT1_T2_T3_mmT4_T5_P12ihipStream_tbEUlRKtE_EESM_SQ_SR_mSS_SV_bEUlT_E_NS1_11comp_targetILNS1_3genE2ELNS1_11target_archE906ELNS1_3gpuE6ELNS1_3repE0EEENS1_30default_config_static_selectorELNS0_4arch9wavefront6targetE1EEEvSP_: ; @_ZN7rocprim17ROCPRIM_400000_NS6detail17trampoline_kernelINS0_14default_configENS1_29binary_search_config_selectorItiEEZNS1_14transform_implILb0ES3_S5_N6thrust23THRUST_200600_302600_NS6detail15normal_iteratorINS8_10device_ptrItEEEENSA_INSB_IiEEEEZNS1_13binary_searchIS3_S5_SD_SD_SF_NS1_16binary_search_opENS9_16wrapped_functionINS0_4lessIvEEbEEEE10hipError_tPvRmT1_T2_T3_mmT4_T5_P12ihipStream_tbEUlRKtE_EESM_SQ_SR_mSS_SV_bEUlT_E_NS1_11comp_targetILNS1_3genE2ELNS1_11target_archE906ELNS1_3gpuE6ELNS1_3repE0EEENS1_30default_config_static_selectorELNS0_4arch9wavefront6targetE1EEEvSP_
; %bb.0:
	.section	.rodata,"a",@progbits
	.p2align	6, 0x0
	.amdhsa_kernel _ZN7rocprim17ROCPRIM_400000_NS6detail17trampoline_kernelINS0_14default_configENS1_29binary_search_config_selectorItiEEZNS1_14transform_implILb0ES3_S5_N6thrust23THRUST_200600_302600_NS6detail15normal_iteratorINS8_10device_ptrItEEEENSA_INSB_IiEEEEZNS1_13binary_searchIS3_S5_SD_SD_SF_NS1_16binary_search_opENS9_16wrapped_functionINS0_4lessIvEEbEEEE10hipError_tPvRmT1_T2_T3_mmT4_T5_P12ihipStream_tbEUlRKtE_EESM_SQ_SR_mSS_SV_bEUlT_E_NS1_11comp_targetILNS1_3genE2ELNS1_11target_archE906ELNS1_3gpuE6ELNS1_3repE0EEENS1_30default_config_static_selectorELNS0_4arch9wavefront6targetE1EEEvSP_
		.amdhsa_group_segment_fixed_size 0
		.amdhsa_private_segment_fixed_size 0
		.amdhsa_kernarg_size 56
		.amdhsa_user_sgpr_count 6
		.amdhsa_user_sgpr_private_segment_buffer 1
		.amdhsa_user_sgpr_dispatch_ptr 0
		.amdhsa_user_sgpr_queue_ptr 0
		.amdhsa_user_sgpr_kernarg_segment_ptr 1
		.amdhsa_user_sgpr_dispatch_id 0
		.amdhsa_user_sgpr_flat_scratch_init 0
		.amdhsa_user_sgpr_kernarg_preload_length 0
		.amdhsa_user_sgpr_kernarg_preload_offset 0
		.amdhsa_user_sgpr_private_segment_size 0
		.amdhsa_uses_dynamic_stack 0
		.amdhsa_system_sgpr_private_segment_wavefront_offset 0
		.amdhsa_system_sgpr_workgroup_id_x 1
		.amdhsa_system_sgpr_workgroup_id_y 0
		.amdhsa_system_sgpr_workgroup_id_z 0
		.amdhsa_system_sgpr_workgroup_info 0
		.amdhsa_system_vgpr_workitem_id 0
		.amdhsa_next_free_vgpr 1
		.amdhsa_next_free_sgpr 0
		.amdhsa_accum_offset 4
		.amdhsa_reserve_vcc 0
		.amdhsa_reserve_flat_scratch 0
		.amdhsa_float_round_mode_32 0
		.amdhsa_float_round_mode_16_64 0
		.amdhsa_float_denorm_mode_32 3
		.amdhsa_float_denorm_mode_16_64 3
		.amdhsa_dx10_clamp 1
		.amdhsa_ieee_mode 1
		.amdhsa_fp16_overflow 0
		.amdhsa_tg_split 0
		.amdhsa_exception_fp_ieee_invalid_op 0
		.amdhsa_exception_fp_denorm_src 0
		.amdhsa_exception_fp_ieee_div_zero 0
		.amdhsa_exception_fp_ieee_overflow 0
		.amdhsa_exception_fp_ieee_underflow 0
		.amdhsa_exception_fp_ieee_inexact 0
		.amdhsa_exception_int_div_zero 0
	.end_amdhsa_kernel
	.section	.text._ZN7rocprim17ROCPRIM_400000_NS6detail17trampoline_kernelINS0_14default_configENS1_29binary_search_config_selectorItiEEZNS1_14transform_implILb0ES3_S5_N6thrust23THRUST_200600_302600_NS6detail15normal_iteratorINS8_10device_ptrItEEEENSA_INSB_IiEEEEZNS1_13binary_searchIS3_S5_SD_SD_SF_NS1_16binary_search_opENS9_16wrapped_functionINS0_4lessIvEEbEEEE10hipError_tPvRmT1_T2_T3_mmT4_T5_P12ihipStream_tbEUlRKtE_EESM_SQ_SR_mSS_SV_bEUlT_E_NS1_11comp_targetILNS1_3genE2ELNS1_11target_archE906ELNS1_3gpuE6ELNS1_3repE0EEENS1_30default_config_static_selectorELNS0_4arch9wavefront6targetE1EEEvSP_,"axG",@progbits,_ZN7rocprim17ROCPRIM_400000_NS6detail17trampoline_kernelINS0_14default_configENS1_29binary_search_config_selectorItiEEZNS1_14transform_implILb0ES3_S5_N6thrust23THRUST_200600_302600_NS6detail15normal_iteratorINS8_10device_ptrItEEEENSA_INSB_IiEEEEZNS1_13binary_searchIS3_S5_SD_SD_SF_NS1_16binary_search_opENS9_16wrapped_functionINS0_4lessIvEEbEEEE10hipError_tPvRmT1_T2_T3_mmT4_T5_P12ihipStream_tbEUlRKtE_EESM_SQ_SR_mSS_SV_bEUlT_E_NS1_11comp_targetILNS1_3genE2ELNS1_11target_archE906ELNS1_3gpuE6ELNS1_3repE0EEENS1_30default_config_static_selectorELNS0_4arch9wavefront6targetE1EEEvSP_,comdat
.Lfunc_end487:
	.size	_ZN7rocprim17ROCPRIM_400000_NS6detail17trampoline_kernelINS0_14default_configENS1_29binary_search_config_selectorItiEEZNS1_14transform_implILb0ES3_S5_N6thrust23THRUST_200600_302600_NS6detail15normal_iteratorINS8_10device_ptrItEEEENSA_INSB_IiEEEEZNS1_13binary_searchIS3_S5_SD_SD_SF_NS1_16binary_search_opENS9_16wrapped_functionINS0_4lessIvEEbEEEE10hipError_tPvRmT1_T2_T3_mmT4_T5_P12ihipStream_tbEUlRKtE_EESM_SQ_SR_mSS_SV_bEUlT_E_NS1_11comp_targetILNS1_3genE2ELNS1_11target_archE906ELNS1_3gpuE6ELNS1_3repE0EEENS1_30default_config_static_selectorELNS0_4arch9wavefront6targetE1EEEvSP_, .Lfunc_end487-_ZN7rocprim17ROCPRIM_400000_NS6detail17trampoline_kernelINS0_14default_configENS1_29binary_search_config_selectorItiEEZNS1_14transform_implILb0ES3_S5_N6thrust23THRUST_200600_302600_NS6detail15normal_iteratorINS8_10device_ptrItEEEENSA_INSB_IiEEEEZNS1_13binary_searchIS3_S5_SD_SD_SF_NS1_16binary_search_opENS9_16wrapped_functionINS0_4lessIvEEbEEEE10hipError_tPvRmT1_T2_T3_mmT4_T5_P12ihipStream_tbEUlRKtE_EESM_SQ_SR_mSS_SV_bEUlT_E_NS1_11comp_targetILNS1_3genE2ELNS1_11target_archE906ELNS1_3gpuE6ELNS1_3repE0EEENS1_30default_config_static_selectorELNS0_4arch9wavefront6targetE1EEEvSP_
                                        ; -- End function
	.section	.AMDGPU.csdata,"",@progbits
; Kernel info:
; codeLenInByte = 0
; NumSgprs: 4
; NumVgprs: 0
; NumAgprs: 0
; TotalNumVgprs: 0
; ScratchSize: 0
; MemoryBound: 0
; FloatMode: 240
; IeeeMode: 1
; LDSByteSize: 0 bytes/workgroup (compile time only)
; SGPRBlocks: 0
; VGPRBlocks: 0
; NumSGPRsForWavesPerEU: 4
; NumVGPRsForWavesPerEU: 1
; AccumOffset: 4
; Occupancy: 8
; WaveLimiterHint : 0
; COMPUTE_PGM_RSRC2:SCRATCH_EN: 0
; COMPUTE_PGM_RSRC2:USER_SGPR: 6
; COMPUTE_PGM_RSRC2:TRAP_HANDLER: 0
; COMPUTE_PGM_RSRC2:TGID_X_EN: 1
; COMPUTE_PGM_RSRC2:TGID_Y_EN: 0
; COMPUTE_PGM_RSRC2:TGID_Z_EN: 0
; COMPUTE_PGM_RSRC2:TIDIG_COMP_CNT: 0
; COMPUTE_PGM_RSRC3_GFX90A:ACCUM_OFFSET: 0
; COMPUTE_PGM_RSRC3_GFX90A:TG_SPLIT: 0
	.section	.text._ZN7rocprim17ROCPRIM_400000_NS6detail17trampoline_kernelINS0_14default_configENS1_29binary_search_config_selectorItiEEZNS1_14transform_implILb0ES3_S5_N6thrust23THRUST_200600_302600_NS6detail15normal_iteratorINS8_10device_ptrItEEEENSA_INSB_IiEEEEZNS1_13binary_searchIS3_S5_SD_SD_SF_NS1_16binary_search_opENS9_16wrapped_functionINS0_4lessIvEEbEEEE10hipError_tPvRmT1_T2_T3_mmT4_T5_P12ihipStream_tbEUlRKtE_EESM_SQ_SR_mSS_SV_bEUlT_E_NS1_11comp_targetILNS1_3genE10ELNS1_11target_archE1201ELNS1_3gpuE5ELNS1_3repE0EEENS1_30default_config_static_selectorELNS0_4arch9wavefront6targetE1EEEvSP_,"axG",@progbits,_ZN7rocprim17ROCPRIM_400000_NS6detail17trampoline_kernelINS0_14default_configENS1_29binary_search_config_selectorItiEEZNS1_14transform_implILb0ES3_S5_N6thrust23THRUST_200600_302600_NS6detail15normal_iteratorINS8_10device_ptrItEEEENSA_INSB_IiEEEEZNS1_13binary_searchIS3_S5_SD_SD_SF_NS1_16binary_search_opENS9_16wrapped_functionINS0_4lessIvEEbEEEE10hipError_tPvRmT1_T2_T3_mmT4_T5_P12ihipStream_tbEUlRKtE_EESM_SQ_SR_mSS_SV_bEUlT_E_NS1_11comp_targetILNS1_3genE10ELNS1_11target_archE1201ELNS1_3gpuE5ELNS1_3repE0EEENS1_30default_config_static_selectorELNS0_4arch9wavefront6targetE1EEEvSP_,comdat
	.protected	_ZN7rocprim17ROCPRIM_400000_NS6detail17trampoline_kernelINS0_14default_configENS1_29binary_search_config_selectorItiEEZNS1_14transform_implILb0ES3_S5_N6thrust23THRUST_200600_302600_NS6detail15normal_iteratorINS8_10device_ptrItEEEENSA_INSB_IiEEEEZNS1_13binary_searchIS3_S5_SD_SD_SF_NS1_16binary_search_opENS9_16wrapped_functionINS0_4lessIvEEbEEEE10hipError_tPvRmT1_T2_T3_mmT4_T5_P12ihipStream_tbEUlRKtE_EESM_SQ_SR_mSS_SV_bEUlT_E_NS1_11comp_targetILNS1_3genE10ELNS1_11target_archE1201ELNS1_3gpuE5ELNS1_3repE0EEENS1_30default_config_static_selectorELNS0_4arch9wavefront6targetE1EEEvSP_ ; -- Begin function _ZN7rocprim17ROCPRIM_400000_NS6detail17trampoline_kernelINS0_14default_configENS1_29binary_search_config_selectorItiEEZNS1_14transform_implILb0ES3_S5_N6thrust23THRUST_200600_302600_NS6detail15normal_iteratorINS8_10device_ptrItEEEENSA_INSB_IiEEEEZNS1_13binary_searchIS3_S5_SD_SD_SF_NS1_16binary_search_opENS9_16wrapped_functionINS0_4lessIvEEbEEEE10hipError_tPvRmT1_T2_T3_mmT4_T5_P12ihipStream_tbEUlRKtE_EESM_SQ_SR_mSS_SV_bEUlT_E_NS1_11comp_targetILNS1_3genE10ELNS1_11target_archE1201ELNS1_3gpuE5ELNS1_3repE0EEENS1_30default_config_static_selectorELNS0_4arch9wavefront6targetE1EEEvSP_
	.globl	_ZN7rocprim17ROCPRIM_400000_NS6detail17trampoline_kernelINS0_14default_configENS1_29binary_search_config_selectorItiEEZNS1_14transform_implILb0ES3_S5_N6thrust23THRUST_200600_302600_NS6detail15normal_iteratorINS8_10device_ptrItEEEENSA_INSB_IiEEEEZNS1_13binary_searchIS3_S5_SD_SD_SF_NS1_16binary_search_opENS9_16wrapped_functionINS0_4lessIvEEbEEEE10hipError_tPvRmT1_T2_T3_mmT4_T5_P12ihipStream_tbEUlRKtE_EESM_SQ_SR_mSS_SV_bEUlT_E_NS1_11comp_targetILNS1_3genE10ELNS1_11target_archE1201ELNS1_3gpuE5ELNS1_3repE0EEENS1_30default_config_static_selectorELNS0_4arch9wavefront6targetE1EEEvSP_
	.p2align	8
	.type	_ZN7rocprim17ROCPRIM_400000_NS6detail17trampoline_kernelINS0_14default_configENS1_29binary_search_config_selectorItiEEZNS1_14transform_implILb0ES3_S5_N6thrust23THRUST_200600_302600_NS6detail15normal_iteratorINS8_10device_ptrItEEEENSA_INSB_IiEEEEZNS1_13binary_searchIS3_S5_SD_SD_SF_NS1_16binary_search_opENS9_16wrapped_functionINS0_4lessIvEEbEEEE10hipError_tPvRmT1_T2_T3_mmT4_T5_P12ihipStream_tbEUlRKtE_EESM_SQ_SR_mSS_SV_bEUlT_E_NS1_11comp_targetILNS1_3genE10ELNS1_11target_archE1201ELNS1_3gpuE5ELNS1_3repE0EEENS1_30default_config_static_selectorELNS0_4arch9wavefront6targetE1EEEvSP_,@function
_ZN7rocprim17ROCPRIM_400000_NS6detail17trampoline_kernelINS0_14default_configENS1_29binary_search_config_selectorItiEEZNS1_14transform_implILb0ES3_S5_N6thrust23THRUST_200600_302600_NS6detail15normal_iteratorINS8_10device_ptrItEEEENSA_INSB_IiEEEEZNS1_13binary_searchIS3_S5_SD_SD_SF_NS1_16binary_search_opENS9_16wrapped_functionINS0_4lessIvEEbEEEE10hipError_tPvRmT1_T2_T3_mmT4_T5_P12ihipStream_tbEUlRKtE_EESM_SQ_SR_mSS_SV_bEUlT_E_NS1_11comp_targetILNS1_3genE10ELNS1_11target_archE1201ELNS1_3gpuE5ELNS1_3repE0EEENS1_30default_config_static_selectorELNS0_4arch9wavefront6targetE1EEEvSP_: ; @_ZN7rocprim17ROCPRIM_400000_NS6detail17trampoline_kernelINS0_14default_configENS1_29binary_search_config_selectorItiEEZNS1_14transform_implILb0ES3_S5_N6thrust23THRUST_200600_302600_NS6detail15normal_iteratorINS8_10device_ptrItEEEENSA_INSB_IiEEEEZNS1_13binary_searchIS3_S5_SD_SD_SF_NS1_16binary_search_opENS9_16wrapped_functionINS0_4lessIvEEbEEEE10hipError_tPvRmT1_T2_T3_mmT4_T5_P12ihipStream_tbEUlRKtE_EESM_SQ_SR_mSS_SV_bEUlT_E_NS1_11comp_targetILNS1_3genE10ELNS1_11target_archE1201ELNS1_3gpuE5ELNS1_3repE0EEENS1_30default_config_static_selectorELNS0_4arch9wavefront6targetE1EEEvSP_
; %bb.0:
	.section	.rodata,"a",@progbits
	.p2align	6, 0x0
	.amdhsa_kernel _ZN7rocprim17ROCPRIM_400000_NS6detail17trampoline_kernelINS0_14default_configENS1_29binary_search_config_selectorItiEEZNS1_14transform_implILb0ES3_S5_N6thrust23THRUST_200600_302600_NS6detail15normal_iteratorINS8_10device_ptrItEEEENSA_INSB_IiEEEEZNS1_13binary_searchIS3_S5_SD_SD_SF_NS1_16binary_search_opENS9_16wrapped_functionINS0_4lessIvEEbEEEE10hipError_tPvRmT1_T2_T3_mmT4_T5_P12ihipStream_tbEUlRKtE_EESM_SQ_SR_mSS_SV_bEUlT_E_NS1_11comp_targetILNS1_3genE10ELNS1_11target_archE1201ELNS1_3gpuE5ELNS1_3repE0EEENS1_30default_config_static_selectorELNS0_4arch9wavefront6targetE1EEEvSP_
		.amdhsa_group_segment_fixed_size 0
		.amdhsa_private_segment_fixed_size 0
		.amdhsa_kernarg_size 56
		.amdhsa_user_sgpr_count 6
		.amdhsa_user_sgpr_private_segment_buffer 1
		.amdhsa_user_sgpr_dispatch_ptr 0
		.amdhsa_user_sgpr_queue_ptr 0
		.amdhsa_user_sgpr_kernarg_segment_ptr 1
		.amdhsa_user_sgpr_dispatch_id 0
		.amdhsa_user_sgpr_flat_scratch_init 0
		.amdhsa_user_sgpr_kernarg_preload_length 0
		.amdhsa_user_sgpr_kernarg_preload_offset 0
		.amdhsa_user_sgpr_private_segment_size 0
		.amdhsa_uses_dynamic_stack 0
		.amdhsa_system_sgpr_private_segment_wavefront_offset 0
		.amdhsa_system_sgpr_workgroup_id_x 1
		.amdhsa_system_sgpr_workgroup_id_y 0
		.amdhsa_system_sgpr_workgroup_id_z 0
		.amdhsa_system_sgpr_workgroup_info 0
		.amdhsa_system_vgpr_workitem_id 0
		.amdhsa_next_free_vgpr 1
		.amdhsa_next_free_sgpr 0
		.amdhsa_accum_offset 4
		.amdhsa_reserve_vcc 0
		.amdhsa_reserve_flat_scratch 0
		.amdhsa_float_round_mode_32 0
		.amdhsa_float_round_mode_16_64 0
		.amdhsa_float_denorm_mode_32 3
		.amdhsa_float_denorm_mode_16_64 3
		.amdhsa_dx10_clamp 1
		.amdhsa_ieee_mode 1
		.amdhsa_fp16_overflow 0
		.amdhsa_tg_split 0
		.amdhsa_exception_fp_ieee_invalid_op 0
		.amdhsa_exception_fp_denorm_src 0
		.amdhsa_exception_fp_ieee_div_zero 0
		.amdhsa_exception_fp_ieee_overflow 0
		.amdhsa_exception_fp_ieee_underflow 0
		.amdhsa_exception_fp_ieee_inexact 0
		.amdhsa_exception_int_div_zero 0
	.end_amdhsa_kernel
	.section	.text._ZN7rocprim17ROCPRIM_400000_NS6detail17trampoline_kernelINS0_14default_configENS1_29binary_search_config_selectorItiEEZNS1_14transform_implILb0ES3_S5_N6thrust23THRUST_200600_302600_NS6detail15normal_iteratorINS8_10device_ptrItEEEENSA_INSB_IiEEEEZNS1_13binary_searchIS3_S5_SD_SD_SF_NS1_16binary_search_opENS9_16wrapped_functionINS0_4lessIvEEbEEEE10hipError_tPvRmT1_T2_T3_mmT4_T5_P12ihipStream_tbEUlRKtE_EESM_SQ_SR_mSS_SV_bEUlT_E_NS1_11comp_targetILNS1_3genE10ELNS1_11target_archE1201ELNS1_3gpuE5ELNS1_3repE0EEENS1_30default_config_static_selectorELNS0_4arch9wavefront6targetE1EEEvSP_,"axG",@progbits,_ZN7rocprim17ROCPRIM_400000_NS6detail17trampoline_kernelINS0_14default_configENS1_29binary_search_config_selectorItiEEZNS1_14transform_implILb0ES3_S5_N6thrust23THRUST_200600_302600_NS6detail15normal_iteratorINS8_10device_ptrItEEEENSA_INSB_IiEEEEZNS1_13binary_searchIS3_S5_SD_SD_SF_NS1_16binary_search_opENS9_16wrapped_functionINS0_4lessIvEEbEEEE10hipError_tPvRmT1_T2_T3_mmT4_T5_P12ihipStream_tbEUlRKtE_EESM_SQ_SR_mSS_SV_bEUlT_E_NS1_11comp_targetILNS1_3genE10ELNS1_11target_archE1201ELNS1_3gpuE5ELNS1_3repE0EEENS1_30default_config_static_selectorELNS0_4arch9wavefront6targetE1EEEvSP_,comdat
.Lfunc_end488:
	.size	_ZN7rocprim17ROCPRIM_400000_NS6detail17trampoline_kernelINS0_14default_configENS1_29binary_search_config_selectorItiEEZNS1_14transform_implILb0ES3_S5_N6thrust23THRUST_200600_302600_NS6detail15normal_iteratorINS8_10device_ptrItEEEENSA_INSB_IiEEEEZNS1_13binary_searchIS3_S5_SD_SD_SF_NS1_16binary_search_opENS9_16wrapped_functionINS0_4lessIvEEbEEEE10hipError_tPvRmT1_T2_T3_mmT4_T5_P12ihipStream_tbEUlRKtE_EESM_SQ_SR_mSS_SV_bEUlT_E_NS1_11comp_targetILNS1_3genE10ELNS1_11target_archE1201ELNS1_3gpuE5ELNS1_3repE0EEENS1_30default_config_static_selectorELNS0_4arch9wavefront6targetE1EEEvSP_, .Lfunc_end488-_ZN7rocprim17ROCPRIM_400000_NS6detail17trampoline_kernelINS0_14default_configENS1_29binary_search_config_selectorItiEEZNS1_14transform_implILb0ES3_S5_N6thrust23THRUST_200600_302600_NS6detail15normal_iteratorINS8_10device_ptrItEEEENSA_INSB_IiEEEEZNS1_13binary_searchIS3_S5_SD_SD_SF_NS1_16binary_search_opENS9_16wrapped_functionINS0_4lessIvEEbEEEE10hipError_tPvRmT1_T2_T3_mmT4_T5_P12ihipStream_tbEUlRKtE_EESM_SQ_SR_mSS_SV_bEUlT_E_NS1_11comp_targetILNS1_3genE10ELNS1_11target_archE1201ELNS1_3gpuE5ELNS1_3repE0EEENS1_30default_config_static_selectorELNS0_4arch9wavefront6targetE1EEEvSP_
                                        ; -- End function
	.section	.AMDGPU.csdata,"",@progbits
; Kernel info:
; codeLenInByte = 0
; NumSgprs: 4
; NumVgprs: 0
; NumAgprs: 0
; TotalNumVgprs: 0
; ScratchSize: 0
; MemoryBound: 0
; FloatMode: 240
; IeeeMode: 1
; LDSByteSize: 0 bytes/workgroup (compile time only)
; SGPRBlocks: 0
; VGPRBlocks: 0
; NumSGPRsForWavesPerEU: 4
; NumVGPRsForWavesPerEU: 1
; AccumOffset: 4
; Occupancy: 8
; WaveLimiterHint : 0
; COMPUTE_PGM_RSRC2:SCRATCH_EN: 0
; COMPUTE_PGM_RSRC2:USER_SGPR: 6
; COMPUTE_PGM_RSRC2:TRAP_HANDLER: 0
; COMPUTE_PGM_RSRC2:TGID_X_EN: 1
; COMPUTE_PGM_RSRC2:TGID_Y_EN: 0
; COMPUTE_PGM_RSRC2:TGID_Z_EN: 0
; COMPUTE_PGM_RSRC2:TIDIG_COMP_CNT: 0
; COMPUTE_PGM_RSRC3_GFX90A:ACCUM_OFFSET: 0
; COMPUTE_PGM_RSRC3_GFX90A:TG_SPLIT: 0
	.section	.text._ZN7rocprim17ROCPRIM_400000_NS6detail17trampoline_kernelINS0_14default_configENS1_29binary_search_config_selectorItiEEZNS1_14transform_implILb0ES3_S5_N6thrust23THRUST_200600_302600_NS6detail15normal_iteratorINS8_10device_ptrItEEEENSA_INSB_IiEEEEZNS1_13binary_searchIS3_S5_SD_SD_SF_NS1_16binary_search_opENS9_16wrapped_functionINS0_4lessIvEEbEEEE10hipError_tPvRmT1_T2_T3_mmT4_T5_P12ihipStream_tbEUlRKtE_EESM_SQ_SR_mSS_SV_bEUlT_E_NS1_11comp_targetILNS1_3genE10ELNS1_11target_archE1200ELNS1_3gpuE4ELNS1_3repE0EEENS1_30default_config_static_selectorELNS0_4arch9wavefront6targetE1EEEvSP_,"axG",@progbits,_ZN7rocprim17ROCPRIM_400000_NS6detail17trampoline_kernelINS0_14default_configENS1_29binary_search_config_selectorItiEEZNS1_14transform_implILb0ES3_S5_N6thrust23THRUST_200600_302600_NS6detail15normal_iteratorINS8_10device_ptrItEEEENSA_INSB_IiEEEEZNS1_13binary_searchIS3_S5_SD_SD_SF_NS1_16binary_search_opENS9_16wrapped_functionINS0_4lessIvEEbEEEE10hipError_tPvRmT1_T2_T3_mmT4_T5_P12ihipStream_tbEUlRKtE_EESM_SQ_SR_mSS_SV_bEUlT_E_NS1_11comp_targetILNS1_3genE10ELNS1_11target_archE1200ELNS1_3gpuE4ELNS1_3repE0EEENS1_30default_config_static_selectorELNS0_4arch9wavefront6targetE1EEEvSP_,comdat
	.protected	_ZN7rocprim17ROCPRIM_400000_NS6detail17trampoline_kernelINS0_14default_configENS1_29binary_search_config_selectorItiEEZNS1_14transform_implILb0ES3_S5_N6thrust23THRUST_200600_302600_NS6detail15normal_iteratorINS8_10device_ptrItEEEENSA_INSB_IiEEEEZNS1_13binary_searchIS3_S5_SD_SD_SF_NS1_16binary_search_opENS9_16wrapped_functionINS0_4lessIvEEbEEEE10hipError_tPvRmT1_T2_T3_mmT4_T5_P12ihipStream_tbEUlRKtE_EESM_SQ_SR_mSS_SV_bEUlT_E_NS1_11comp_targetILNS1_3genE10ELNS1_11target_archE1200ELNS1_3gpuE4ELNS1_3repE0EEENS1_30default_config_static_selectorELNS0_4arch9wavefront6targetE1EEEvSP_ ; -- Begin function _ZN7rocprim17ROCPRIM_400000_NS6detail17trampoline_kernelINS0_14default_configENS1_29binary_search_config_selectorItiEEZNS1_14transform_implILb0ES3_S5_N6thrust23THRUST_200600_302600_NS6detail15normal_iteratorINS8_10device_ptrItEEEENSA_INSB_IiEEEEZNS1_13binary_searchIS3_S5_SD_SD_SF_NS1_16binary_search_opENS9_16wrapped_functionINS0_4lessIvEEbEEEE10hipError_tPvRmT1_T2_T3_mmT4_T5_P12ihipStream_tbEUlRKtE_EESM_SQ_SR_mSS_SV_bEUlT_E_NS1_11comp_targetILNS1_3genE10ELNS1_11target_archE1200ELNS1_3gpuE4ELNS1_3repE0EEENS1_30default_config_static_selectorELNS0_4arch9wavefront6targetE1EEEvSP_
	.globl	_ZN7rocprim17ROCPRIM_400000_NS6detail17trampoline_kernelINS0_14default_configENS1_29binary_search_config_selectorItiEEZNS1_14transform_implILb0ES3_S5_N6thrust23THRUST_200600_302600_NS6detail15normal_iteratorINS8_10device_ptrItEEEENSA_INSB_IiEEEEZNS1_13binary_searchIS3_S5_SD_SD_SF_NS1_16binary_search_opENS9_16wrapped_functionINS0_4lessIvEEbEEEE10hipError_tPvRmT1_T2_T3_mmT4_T5_P12ihipStream_tbEUlRKtE_EESM_SQ_SR_mSS_SV_bEUlT_E_NS1_11comp_targetILNS1_3genE10ELNS1_11target_archE1200ELNS1_3gpuE4ELNS1_3repE0EEENS1_30default_config_static_selectorELNS0_4arch9wavefront6targetE1EEEvSP_
	.p2align	8
	.type	_ZN7rocprim17ROCPRIM_400000_NS6detail17trampoline_kernelINS0_14default_configENS1_29binary_search_config_selectorItiEEZNS1_14transform_implILb0ES3_S5_N6thrust23THRUST_200600_302600_NS6detail15normal_iteratorINS8_10device_ptrItEEEENSA_INSB_IiEEEEZNS1_13binary_searchIS3_S5_SD_SD_SF_NS1_16binary_search_opENS9_16wrapped_functionINS0_4lessIvEEbEEEE10hipError_tPvRmT1_T2_T3_mmT4_T5_P12ihipStream_tbEUlRKtE_EESM_SQ_SR_mSS_SV_bEUlT_E_NS1_11comp_targetILNS1_3genE10ELNS1_11target_archE1200ELNS1_3gpuE4ELNS1_3repE0EEENS1_30default_config_static_selectorELNS0_4arch9wavefront6targetE1EEEvSP_,@function
_ZN7rocprim17ROCPRIM_400000_NS6detail17trampoline_kernelINS0_14default_configENS1_29binary_search_config_selectorItiEEZNS1_14transform_implILb0ES3_S5_N6thrust23THRUST_200600_302600_NS6detail15normal_iteratorINS8_10device_ptrItEEEENSA_INSB_IiEEEEZNS1_13binary_searchIS3_S5_SD_SD_SF_NS1_16binary_search_opENS9_16wrapped_functionINS0_4lessIvEEbEEEE10hipError_tPvRmT1_T2_T3_mmT4_T5_P12ihipStream_tbEUlRKtE_EESM_SQ_SR_mSS_SV_bEUlT_E_NS1_11comp_targetILNS1_3genE10ELNS1_11target_archE1200ELNS1_3gpuE4ELNS1_3repE0EEENS1_30default_config_static_selectorELNS0_4arch9wavefront6targetE1EEEvSP_: ; @_ZN7rocprim17ROCPRIM_400000_NS6detail17trampoline_kernelINS0_14default_configENS1_29binary_search_config_selectorItiEEZNS1_14transform_implILb0ES3_S5_N6thrust23THRUST_200600_302600_NS6detail15normal_iteratorINS8_10device_ptrItEEEENSA_INSB_IiEEEEZNS1_13binary_searchIS3_S5_SD_SD_SF_NS1_16binary_search_opENS9_16wrapped_functionINS0_4lessIvEEbEEEE10hipError_tPvRmT1_T2_T3_mmT4_T5_P12ihipStream_tbEUlRKtE_EESM_SQ_SR_mSS_SV_bEUlT_E_NS1_11comp_targetILNS1_3genE10ELNS1_11target_archE1200ELNS1_3gpuE4ELNS1_3repE0EEENS1_30default_config_static_selectorELNS0_4arch9wavefront6targetE1EEEvSP_
; %bb.0:
	.section	.rodata,"a",@progbits
	.p2align	6, 0x0
	.amdhsa_kernel _ZN7rocprim17ROCPRIM_400000_NS6detail17trampoline_kernelINS0_14default_configENS1_29binary_search_config_selectorItiEEZNS1_14transform_implILb0ES3_S5_N6thrust23THRUST_200600_302600_NS6detail15normal_iteratorINS8_10device_ptrItEEEENSA_INSB_IiEEEEZNS1_13binary_searchIS3_S5_SD_SD_SF_NS1_16binary_search_opENS9_16wrapped_functionINS0_4lessIvEEbEEEE10hipError_tPvRmT1_T2_T3_mmT4_T5_P12ihipStream_tbEUlRKtE_EESM_SQ_SR_mSS_SV_bEUlT_E_NS1_11comp_targetILNS1_3genE10ELNS1_11target_archE1200ELNS1_3gpuE4ELNS1_3repE0EEENS1_30default_config_static_selectorELNS0_4arch9wavefront6targetE1EEEvSP_
		.amdhsa_group_segment_fixed_size 0
		.amdhsa_private_segment_fixed_size 0
		.amdhsa_kernarg_size 56
		.amdhsa_user_sgpr_count 6
		.amdhsa_user_sgpr_private_segment_buffer 1
		.amdhsa_user_sgpr_dispatch_ptr 0
		.amdhsa_user_sgpr_queue_ptr 0
		.amdhsa_user_sgpr_kernarg_segment_ptr 1
		.amdhsa_user_sgpr_dispatch_id 0
		.amdhsa_user_sgpr_flat_scratch_init 0
		.amdhsa_user_sgpr_kernarg_preload_length 0
		.amdhsa_user_sgpr_kernarg_preload_offset 0
		.amdhsa_user_sgpr_private_segment_size 0
		.amdhsa_uses_dynamic_stack 0
		.amdhsa_system_sgpr_private_segment_wavefront_offset 0
		.amdhsa_system_sgpr_workgroup_id_x 1
		.amdhsa_system_sgpr_workgroup_id_y 0
		.amdhsa_system_sgpr_workgroup_id_z 0
		.amdhsa_system_sgpr_workgroup_info 0
		.amdhsa_system_vgpr_workitem_id 0
		.amdhsa_next_free_vgpr 1
		.amdhsa_next_free_sgpr 0
		.amdhsa_accum_offset 4
		.amdhsa_reserve_vcc 0
		.amdhsa_reserve_flat_scratch 0
		.amdhsa_float_round_mode_32 0
		.amdhsa_float_round_mode_16_64 0
		.amdhsa_float_denorm_mode_32 3
		.amdhsa_float_denorm_mode_16_64 3
		.amdhsa_dx10_clamp 1
		.amdhsa_ieee_mode 1
		.amdhsa_fp16_overflow 0
		.amdhsa_tg_split 0
		.amdhsa_exception_fp_ieee_invalid_op 0
		.amdhsa_exception_fp_denorm_src 0
		.amdhsa_exception_fp_ieee_div_zero 0
		.amdhsa_exception_fp_ieee_overflow 0
		.amdhsa_exception_fp_ieee_underflow 0
		.amdhsa_exception_fp_ieee_inexact 0
		.amdhsa_exception_int_div_zero 0
	.end_amdhsa_kernel
	.section	.text._ZN7rocprim17ROCPRIM_400000_NS6detail17trampoline_kernelINS0_14default_configENS1_29binary_search_config_selectorItiEEZNS1_14transform_implILb0ES3_S5_N6thrust23THRUST_200600_302600_NS6detail15normal_iteratorINS8_10device_ptrItEEEENSA_INSB_IiEEEEZNS1_13binary_searchIS3_S5_SD_SD_SF_NS1_16binary_search_opENS9_16wrapped_functionINS0_4lessIvEEbEEEE10hipError_tPvRmT1_T2_T3_mmT4_T5_P12ihipStream_tbEUlRKtE_EESM_SQ_SR_mSS_SV_bEUlT_E_NS1_11comp_targetILNS1_3genE10ELNS1_11target_archE1200ELNS1_3gpuE4ELNS1_3repE0EEENS1_30default_config_static_selectorELNS0_4arch9wavefront6targetE1EEEvSP_,"axG",@progbits,_ZN7rocprim17ROCPRIM_400000_NS6detail17trampoline_kernelINS0_14default_configENS1_29binary_search_config_selectorItiEEZNS1_14transform_implILb0ES3_S5_N6thrust23THRUST_200600_302600_NS6detail15normal_iteratorINS8_10device_ptrItEEEENSA_INSB_IiEEEEZNS1_13binary_searchIS3_S5_SD_SD_SF_NS1_16binary_search_opENS9_16wrapped_functionINS0_4lessIvEEbEEEE10hipError_tPvRmT1_T2_T3_mmT4_T5_P12ihipStream_tbEUlRKtE_EESM_SQ_SR_mSS_SV_bEUlT_E_NS1_11comp_targetILNS1_3genE10ELNS1_11target_archE1200ELNS1_3gpuE4ELNS1_3repE0EEENS1_30default_config_static_selectorELNS0_4arch9wavefront6targetE1EEEvSP_,comdat
.Lfunc_end489:
	.size	_ZN7rocprim17ROCPRIM_400000_NS6detail17trampoline_kernelINS0_14default_configENS1_29binary_search_config_selectorItiEEZNS1_14transform_implILb0ES3_S5_N6thrust23THRUST_200600_302600_NS6detail15normal_iteratorINS8_10device_ptrItEEEENSA_INSB_IiEEEEZNS1_13binary_searchIS3_S5_SD_SD_SF_NS1_16binary_search_opENS9_16wrapped_functionINS0_4lessIvEEbEEEE10hipError_tPvRmT1_T2_T3_mmT4_T5_P12ihipStream_tbEUlRKtE_EESM_SQ_SR_mSS_SV_bEUlT_E_NS1_11comp_targetILNS1_3genE10ELNS1_11target_archE1200ELNS1_3gpuE4ELNS1_3repE0EEENS1_30default_config_static_selectorELNS0_4arch9wavefront6targetE1EEEvSP_, .Lfunc_end489-_ZN7rocprim17ROCPRIM_400000_NS6detail17trampoline_kernelINS0_14default_configENS1_29binary_search_config_selectorItiEEZNS1_14transform_implILb0ES3_S5_N6thrust23THRUST_200600_302600_NS6detail15normal_iteratorINS8_10device_ptrItEEEENSA_INSB_IiEEEEZNS1_13binary_searchIS3_S5_SD_SD_SF_NS1_16binary_search_opENS9_16wrapped_functionINS0_4lessIvEEbEEEE10hipError_tPvRmT1_T2_T3_mmT4_T5_P12ihipStream_tbEUlRKtE_EESM_SQ_SR_mSS_SV_bEUlT_E_NS1_11comp_targetILNS1_3genE10ELNS1_11target_archE1200ELNS1_3gpuE4ELNS1_3repE0EEENS1_30default_config_static_selectorELNS0_4arch9wavefront6targetE1EEEvSP_
                                        ; -- End function
	.section	.AMDGPU.csdata,"",@progbits
; Kernel info:
; codeLenInByte = 0
; NumSgprs: 4
; NumVgprs: 0
; NumAgprs: 0
; TotalNumVgprs: 0
; ScratchSize: 0
; MemoryBound: 0
; FloatMode: 240
; IeeeMode: 1
; LDSByteSize: 0 bytes/workgroup (compile time only)
; SGPRBlocks: 0
; VGPRBlocks: 0
; NumSGPRsForWavesPerEU: 4
; NumVGPRsForWavesPerEU: 1
; AccumOffset: 4
; Occupancy: 8
; WaveLimiterHint : 0
; COMPUTE_PGM_RSRC2:SCRATCH_EN: 0
; COMPUTE_PGM_RSRC2:USER_SGPR: 6
; COMPUTE_PGM_RSRC2:TRAP_HANDLER: 0
; COMPUTE_PGM_RSRC2:TGID_X_EN: 1
; COMPUTE_PGM_RSRC2:TGID_Y_EN: 0
; COMPUTE_PGM_RSRC2:TGID_Z_EN: 0
; COMPUTE_PGM_RSRC2:TIDIG_COMP_CNT: 0
; COMPUTE_PGM_RSRC3_GFX90A:ACCUM_OFFSET: 0
; COMPUTE_PGM_RSRC3_GFX90A:TG_SPLIT: 0
	.section	.text._ZN7rocprim17ROCPRIM_400000_NS6detail17trampoline_kernelINS0_14default_configENS1_29binary_search_config_selectorItiEEZNS1_14transform_implILb0ES3_S5_N6thrust23THRUST_200600_302600_NS6detail15normal_iteratorINS8_10device_ptrItEEEENSA_INSB_IiEEEEZNS1_13binary_searchIS3_S5_SD_SD_SF_NS1_16binary_search_opENS9_16wrapped_functionINS0_4lessIvEEbEEEE10hipError_tPvRmT1_T2_T3_mmT4_T5_P12ihipStream_tbEUlRKtE_EESM_SQ_SR_mSS_SV_bEUlT_E_NS1_11comp_targetILNS1_3genE9ELNS1_11target_archE1100ELNS1_3gpuE3ELNS1_3repE0EEENS1_30default_config_static_selectorELNS0_4arch9wavefront6targetE1EEEvSP_,"axG",@progbits,_ZN7rocprim17ROCPRIM_400000_NS6detail17trampoline_kernelINS0_14default_configENS1_29binary_search_config_selectorItiEEZNS1_14transform_implILb0ES3_S5_N6thrust23THRUST_200600_302600_NS6detail15normal_iteratorINS8_10device_ptrItEEEENSA_INSB_IiEEEEZNS1_13binary_searchIS3_S5_SD_SD_SF_NS1_16binary_search_opENS9_16wrapped_functionINS0_4lessIvEEbEEEE10hipError_tPvRmT1_T2_T3_mmT4_T5_P12ihipStream_tbEUlRKtE_EESM_SQ_SR_mSS_SV_bEUlT_E_NS1_11comp_targetILNS1_3genE9ELNS1_11target_archE1100ELNS1_3gpuE3ELNS1_3repE0EEENS1_30default_config_static_selectorELNS0_4arch9wavefront6targetE1EEEvSP_,comdat
	.protected	_ZN7rocprim17ROCPRIM_400000_NS6detail17trampoline_kernelINS0_14default_configENS1_29binary_search_config_selectorItiEEZNS1_14transform_implILb0ES3_S5_N6thrust23THRUST_200600_302600_NS6detail15normal_iteratorINS8_10device_ptrItEEEENSA_INSB_IiEEEEZNS1_13binary_searchIS3_S5_SD_SD_SF_NS1_16binary_search_opENS9_16wrapped_functionINS0_4lessIvEEbEEEE10hipError_tPvRmT1_T2_T3_mmT4_T5_P12ihipStream_tbEUlRKtE_EESM_SQ_SR_mSS_SV_bEUlT_E_NS1_11comp_targetILNS1_3genE9ELNS1_11target_archE1100ELNS1_3gpuE3ELNS1_3repE0EEENS1_30default_config_static_selectorELNS0_4arch9wavefront6targetE1EEEvSP_ ; -- Begin function _ZN7rocprim17ROCPRIM_400000_NS6detail17trampoline_kernelINS0_14default_configENS1_29binary_search_config_selectorItiEEZNS1_14transform_implILb0ES3_S5_N6thrust23THRUST_200600_302600_NS6detail15normal_iteratorINS8_10device_ptrItEEEENSA_INSB_IiEEEEZNS1_13binary_searchIS3_S5_SD_SD_SF_NS1_16binary_search_opENS9_16wrapped_functionINS0_4lessIvEEbEEEE10hipError_tPvRmT1_T2_T3_mmT4_T5_P12ihipStream_tbEUlRKtE_EESM_SQ_SR_mSS_SV_bEUlT_E_NS1_11comp_targetILNS1_3genE9ELNS1_11target_archE1100ELNS1_3gpuE3ELNS1_3repE0EEENS1_30default_config_static_selectorELNS0_4arch9wavefront6targetE1EEEvSP_
	.globl	_ZN7rocprim17ROCPRIM_400000_NS6detail17trampoline_kernelINS0_14default_configENS1_29binary_search_config_selectorItiEEZNS1_14transform_implILb0ES3_S5_N6thrust23THRUST_200600_302600_NS6detail15normal_iteratorINS8_10device_ptrItEEEENSA_INSB_IiEEEEZNS1_13binary_searchIS3_S5_SD_SD_SF_NS1_16binary_search_opENS9_16wrapped_functionINS0_4lessIvEEbEEEE10hipError_tPvRmT1_T2_T3_mmT4_T5_P12ihipStream_tbEUlRKtE_EESM_SQ_SR_mSS_SV_bEUlT_E_NS1_11comp_targetILNS1_3genE9ELNS1_11target_archE1100ELNS1_3gpuE3ELNS1_3repE0EEENS1_30default_config_static_selectorELNS0_4arch9wavefront6targetE1EEEvSP_
	.p2align	8
	.type	_ZN7rocprim17ROCPRIM_400000_NS6detail17trampoline_kernelINS0_14default_configENS1_29binary_search_config_selectorItiEEZNS1_14transform_implILb0ES3_S5_N6thrust23THRUST_200600_302600_NS6detail15normal_iteratorINS8_10device_ptrItEEEENSA_INSB_IiEEEEZNS1_13binary_searchIS3_S5_SD_SD_SF_NS1_16binary_search_opENS9_16wrapped_functionINS0_4lessIvEEbEEEE10hipError_tPvRmT1_T2_T3_mmT4_T5_P12ihipStream_tbEUlRKtE_EESM_SQ_SR_mSS_SV_bEUlT_E_NS1_11comp_targetILNS1_3genE9ELNS1_11target_archE1100ELNS1_3gpuE3ELNS1_3repE0EEENS1_30default_config_static_selectorELNS0_4arch9wavefront6targetE1EEEvSP_,@function
_ZN7rocprim17ROCPRIM_400000_NS6detail17trampoline_kernelINS0_14default_configENS1_29binary_search_config_selectorItiEEZNS1_14transform_implILb0ES3_S5_N6thrust23THRUST_200600_302600_NS6detail15normal_iteratorINS8_10device_ptrItEEEENSA_INSB_IiEEEEZNS1_13binary_searchIS3_S5_SD_SD_SF_NS1_16binary_search_opENS9_16wrapped_functionINS0_4lessIvEEbEEEE10hipError_tPvRmT1_T2_T3_mmT4_T5_P12ihipStream_tbEUlRKtE_EESM_SQ_SR_mSS_SV_bEUlT_E_NS1_11comp_targetILNS1_3genE9ELNS1_11target_archE1100ELNS1_3gpuE3ELNS1_3repE0EEENS1_30default_config_static_selectorELNS0_4arch9wavefront6targetE1EEEvSP_: ; @_ZN7rocprim17ROCPRIM_400000_NS6detail17trampoline_kernelINS0_14default_configENS1_29binary_search_config_selectorItiEEZNS1_14transform_implILb0ES3_S5_N6thrust23THRUST_200600_302600_NS6detail15normal_iteratorINS8_10device_ptrItEEEENSA_INSB_IiEEEEZNS1_13binary_searchIS3_S5_SD_SD_SF_NS1_16binary_search_opENS9_16wrapped_functionINS0_4lessIvEEbEEEE10hipError_tPvRmT1_T2_T3_mmT4_T5_P12ihipStream_tbEUlRKtE_EESM_SQ_SR_mSS_SV_bEUlT_E_NS1_11comp_targetILNS1_3genE9ELNS1_11target_archE1100ELNS1_3gpuE3ELNS1_3repE0EEENS1_30default_config_static_selectorELNS0_4arch9wavefront6targetE1EEEvSP_
; %bb.0:
	.section	.rodata,"a",@progbits
	.p2align	6, 0x0
	.amdhsa_kernel _ZN7rocprim17ROCPRIM_400000_NS6detail17trampoline_kernelINS0_14default_configENS1_29binary_search_config_selectorItiEEZNS1_14transform_implILb0ES3_S5_N6thrust23THRUST_200600_302600_NS6detail15normal_iteratorINS8_10device_ptrItEEEENSA_INSB_IiEEEEZNS1_13binary_searchIS3_S5_SD_SD_SF_NS1_16binary_search_opENS9_16wrapped_functionINS0_4lessIvEEbEEEE10hipError_tPvRmT1_T2_T3_mmT4_T5_P12ihipStream_tbEUlRKtE_EESM_SQ_SR_mSS_SV_bEUlT_E_NS1_11comp_targetILNS1_3genE9ELNS1_11target_archE1100ELNS1_3gpuE3ELNS1_3repE0EEENS1_30default_config_static_selectorELNS0_4arch9wavefront6targetE1EEEvSP_
		.amdhsa_group_segment_fixed_size 0
		.amdhsa_private_segment_fixed_size 0
		.amdhsa_kernarg_size 56
		.amdhsa_user_sgpr_count 6
		.amdhsa_user_sgpr_private_segment_buffer 1
		.amdhsa_user_sgpr_dispatch_ptr 0
		.amdhsa_user_sgpr_queue_ptr 0
		.amdhsa_user_sgpr_kernarg_segment_ptr 1
		.amdhsa_user_sgpr_dispatch_id 0
		.amdhsa_user_sgpr_flat_scratch_init 0
		.amdhsa_user_sgpr_kernarg_preload_length 0
		.amdhsa_user_sgpr_kernarg_preload_offset 0
		.amdhsa_user_sgpr_private_segment_size 0
		.amdhsa_uses_dynamic_stack 0
		.amdhsa_system_sgpr_private_segment_wavefront_offset 0
		.amdhsa_system_sgpr_workgroup_id_x 1
		.amdhsa_system_sgpr_workgroup_id_y 0
		.amdhsa_system_sgpr_workgroup_id_z 0
		.amdhsa_system_sgpr_workgroup_info 0
		.amdhsa_system_vgpr_workitem_id 0
		.amdhsa_next_free_vgpr 1
		.amdhsa_next_free_sgpr 0
		.amdhsa_accum_offset 4
		.amdhsa_reserve_vcc 0
		.amdhsa_reserve_flat_scratch 0
		.amdhsa_float_round_mode_32 0
		.amdhsa_float_round_mode_16_64 0
		.amdhsa_float_denorm_mode_32 3
		.amdhsa_float_denorm_mode_16_64 3
		.amdhsa_dx10_clamp 1
		.amdhsa_ieee_mode 1
		.amdhsa_fp16_overflow 0
		.amdhsa_tg_split 0
		.amdhsa_exception_fp_ieee_invalid_op 0
		.amdhsa_exception_fp_denorm_src 0
		.amdhsa_exception_fp_ieee_div_zero 0
		.amdhsa_exception_fp_ieee_overflow 0
		.amdhsa_exception_fp_ieee_underflow 0
		.amdhsa_exception_fp_ieee_inexact 0
		.amdhsa_exception_int_div_zero 0
	.end_amdhsa_kernel
	.section	.text._ZN7rocprim17ROCPRIM_400000_NS6detail17trampoline_kernelINS0_14default_configENS1_29binary_search_config_selectorItiEEZNS1_14transform_implILb0ES3_S5_N6thrust23THRUST_200600_302600_NS6detail15normal_iteratorINS8_10device_ptrItEEEENSA_INSB_IiEEEEZNS1_13binary_searchIS3_S5_SD_SD_SF_NS1_16binary_search_opENS9_16wrapped_functionINS0_4lessIvEEbEEEE10hipError_tPvRmT1_T2_T3_mmT4_T5_P12ihipStream_tbEUlRKtE_EESM_SQ_SR_mSS_SV_bEUlT_E_NS1_11comp_targetILNS1_3genE9ELNS1_11target_archE1100ELNS1_3gpuE3ELNS1_3repE0EEENS1_30default_config_static_selectorELNS0_4arch9wavefront6targetE1EEEvSP_,"axG",@progbits,_ZN7rocprim17ROCPRIM_400000_NS6detail17trampoline_kernelINS0_14default_configENS1_29binary_search_config_selectorItiEEZNS1_14transform_implILb0ES3_S5_N6thrust23THRUST_200600_302600_NS6detail15normal_iteratorINS8_10device_ptrItEEEENSA_INSB_IiEEEEZNS1_13binary_searchIS3_S5_SD_SD_SF_NS1_16binary_search_opENS9_16wrapped_functionINS0_4lessIvEEbEEEE10hipError_tPvRmT1_T2_T3_mmT4_T5_P12ihipStream_tbEUlRKtE_EESM_SQ_SR_mSS_SV_bEUlT_E_NS1_11comp_targetILNS1_3genE9ELNS1_11target_archE1100ELNS1_3gpuE3ELNS1_3repE0EEENS1_30default_config_static_selectorELNS0_4arch9wavefront6targetE1EEEvSP_,comdat
.Lfunc_end490:
	.size	_ZN7rocprim17ROCPRIM_400000_NS6detail17trampoline_kernelINS0_14default_configENS1_29binary_search_config_selectorItiEEZNS1_14transform_implILb0ES3_S5_N6thrust23THRUST_200600_302600_NS6detail15normal_iteratorINS8_10device_ptrItEEEENSA_INSB_IiEEEEZNS1_13binary_searchIS3_S5_SD_SD_SF_NS1_16binary_search_opENS9_16wrapped_functionINS0_4lessIvEEbEEEE10hipError_tPvRmT1_T2_T3_mmT4_T5_P12ihipStream_tbEUlRKtE_EESM_SQ_SR_mSS_SV_bEUlT_E_NS1_11comp_targetILNS1_3genE9ELNS1_11target_archE1100ELNS1_3gpuE3ELNS1_3repE0EEENS1_30default_config_static_selectorELNS0_4arch9wavefront6targetE1EEEvSP_, .Lfunc_end490-_ZN7rocprim17ROCPRIM_400000_NS6detail17trampoline_kernelINS0_14default_configENS1_29binary_search_config_selectorItiEEZNS1_14transform_implILb0ES3_S5_N6thrust23THRUST_200600_302600_NS6detail15normal_iteratorINS8_10device_ptrItEEEENSA_INSB_IiEEEEZNS1_13binary_searchIS3_S5_SD_SD_SF_NS1_16binary_search_opENS9_16wrapped_functionINS0_4lessIvEEbEEEE10hipError_tPvRmT1_T2_T3_mmT4_T5_P12ihipStream_tbEUlRKtE_EESM_SQ_SR_mSS_SV_bEUlT_E_NS1_11comp_targetILNS1_3genE9ELNS1_11target_archE1100ELNS1_3gpuE3ELNS1_3repE0EEENS1_30default_config_static_selectorELNS0_4arch9wavefront6targetE1EEEvSP_
                                        ; -- End function
	.section	.AMDGPU.csdata,"",@progbits
; Kernel info:
; codeLenInByte = 0
; NumSgprs: 4
; NumVgprs: 0
; NumAgprs: 0
; TotalNumVgprs: 0
; ScratchSize: 0
; MemoryBound: 0
; FloatMode: 240
; IeeeMode: 1
; LDSByteSize: 0 bytes/workgroup (compile time only)
; SGPRBlocks: 0
; VGPRBlocks: 0
; NumSGPRsForWavesPerEU: 4
; NumVGPRsForWavesPerEU: 1
; AccumOffset: 4
; Occupancy: 8
; WaveLimiterHint : 0
; COMPUTE_PGM_RSRC2:SCRATCH_EN: 0
; COMPUTE_PGM_RSRC2:USER_SGPR: 6
; COMPUTE_PGM_RSRC2:TRAP_HANDLER: 0
; COMPUTE_PGM_RSRC2:TGID_X_EN: 1
; COMPUTE_PGM_RSRC2:TGID_Y_EN: 0
; COMPUTE_PGM_RSRC2:TGID_Z_EN: 0
; COMPUTE_PGM_RSRC2:TIDIG_COMP_CNT: 0
; COMPUTE_PGM_RSRC3_GFX90A:ACCUM_OFFSET: 0
; COMPUTE_PGM_RSRC3_GFX90A:TG_SPLIT: 0
	.section	.text._ZN7rocprim17ROCPRIM_400000_NS6detail17trampoline_kernelINS0_14default_configENS1_29binary_search_config_selectorItiEEZNS1_14transform_implILb0ES3_S5_N6thrust23THRUST_200600_302600_NS6detail15normal_iteratorINS8_10device_ptrItEEEENSA_INSB_IiEEEEZNS1_13binary_searchIS3_S5_SD_SD_SF_NS1_16binary_search_opENS9_16wrapped_functionINS0_4lessIvEEbEEEE10hipError_tPvRmT1_T2_T3_mmT4_T5_P12ihipStream_tbEUlRKtE_EESM_SQ_SR_mSS_SV_bEUlT_E_NS1_11comp_targetILNS1_3genE8ELNS1_11target_archE1030ELNS1_3gpuE2ELNS1_3repE0EEENS1_30default_config_static_selectorELNS0_4arch9wavefront6targetE1EEEvSP_,"axG",@progbits,_ZN7rocprim17ROCPRIM_400000_NS6detail17trampoline_kernelINS0_14default_configENS1_29binary_search_config_selectorItiEEZNS1_14transform_implILb0ES3_S5_N6thrust23THRUST_200600_302600_NS6detail15normal_iteratorINS8_10device_ptrItEEEENSA_INSB_IiEEEEZNS1_13binary_searchIS3_S5_SD_SD_SF_NS1_16binary_search_opENS9_16wrapped_functionINS0_4lessIvEEbEEEE10hipError_tPvRmT1_T2_T3_mmT4_T5_P12ihipStream_tbEUlRKtE_EESM_SQ_SR_mSS_SV_bEUlT_E_NS1_11comp_targetILNS1_3genE8ELNS1_11target_archE1030ELNS1_3gpuE2ELNS1_3repE0EEENS1_30default_config_static_selectorELNS0_4arch9wavefront6targetE1EEEvSP_,comdat
	.protected	_ZN7rocprim17ROCPRIM_400000_NS6detail17trampoline_kernelINS0_14default_configENS1_29binary_search_config_selectorItiEEZNS1_14transform_implILb0ES3_S5_N6thrust23THRUST_200600_302600_NS6detail15normal_iteratorINS8_10device_ptrItEEEENSA_INSB_IiEEEEZNS1_13binary_searchIS3_S5_SD_SD_SF_NS1_16binary_search_opENS9_16wrapped_functionINS0_4lessIvEEbEEEE10hipError_tPvRmT1_T2_T3_mmT4_T5_P12ihipStream_tbEUlRKtE_EESM_SQ_SR_mSS_SV_bEUlT_E_NS1_11comp_targetILNS1_3genE8ELNS1_11target_archE1030ELNS1_3gpuE2ELNS1_3repE0EEENS1_30default_config_static_selectorELNS0_4arch9wavefront6targetE1EEEvSP_ ; -- Begin function _ZN7rocprim17ROCPRIM_400000_NS6detail17trampoline_kernelINS0_14default_configENS1_29binary_search_config_selectorItiEEZNS1_14transform_implILb0ES3_S5_N6thrust23THRUST_200600_302600_NS6detail15normal_iteratorINS8_10device_ptrItEEEENSA_INSB_IiEEEEZNS1_13binary_searchIS3_S5_SD_SD_SF_NS1_16binary_search_opENS9_16wrapped_functionINS0_4lessIvEEbEEEE10hipError_tPvRmT1_T2_T3_mmT4_T5_P12ihipStream_tbEUlRKtE_EESM_SQ_SR_mSS_SV_bEUlT_E_NS1_11comp_targetILNS1_3genE8ELNS1_11target_archE1030ELNS1_3gpuE2ELNS1_3repE0EEENS1_30default_config_static_selectorELNS0_4arch9wavefront6targetE1EEEvSP_
	.globl	_ZN7rocprim17ROCPRIM_400000_NS6detail17trampoline_kernelINS0_14default_configENS1_29binary_search_config_selectorItiEEZNS1_14transform_implILb0ES3_S5_N6thrust23THRUST_200600_302600_NS6detail15normal_iteratorINS8_10device_ptrItEEEENSA_INSB_IiEEEEZNS1_13binary_searchIS3_S5_SD_SD_SF_NS1_16binary_search_opENS9_16wrapped_functionINS0_4lessIvEEbEEEE10hipError_tPvRmT1_T2_T3_mmT4_T5_P12ihipStream_tbEUlRKtE_EESM_SQ_SR_mSS_SV_bEUlT_E_NS1_11comp_targetILNS1_3genE8ELNS1_11target_archE1030ELNS1_3gpuE2ELNS1_3repE0EEENS1_30default_config_static_selectorELNS0_4arch9wavefront6targetE1EEEvSP_
	.p2align	8
	.type	_ZN7rocprim17ROCPRIM_400000_NS6detail17trampoline_kernelINS0_14default_configENS1_29binary_search_config_selectorItiEEZNS1_14transform_implILb0ES3_S5_N6thrust23THRUST_200600_302600_NS6detail15normal_iteratorINS8_10device_ptrItEEEENSA_INSB_IiEEEEZNS1_13binary_searchIS3_S5_SD_SD_SF_NS1_16binary_search_opENS9_16wrapped_functionINS0_4lessIvEEbEEEE10hipError_tPvRmT1_T2_T3_mmT4_T5_P12ihipStream_tbEUlRKtE_EESM_SQ_SR_mSS_SV_bEUlT_E_NS1_11comp_targetILNS1_3genE8ELNS1_11target_archE1030ELNS1_3gpuE2ELNS1_3repE0EEENS1_30default_config_static_selectorELNS0_4arch9wavefront6targetE1EEEvSP_,@function
_ZN7rocprim17ROCPRIM_400000_NS6detail17trampoline_kernelINS0_14default_configENS1_29binary_search_config_selectorItiEEZNS1_14transform_implILb0ES3_S5_N6thrust23THRUST_200600_302600_NS6detail15normal_iteratorINS8_10device_ptrItEEEENSA_INSB_IiEEEEZNS1_13binary_searchIS3_S5_SD_SD_SF_NS1_16binary_search_opENS9_16wrapped_functionINS0_4lessIvEEbEEEE10hipError_tPvRmT1_T2_T3_mmT4_T5_P12ihipStream_tbEUlRKtE_EESM_SQ_SR_mSS_SV_bEUlT_E_NS1_11comp_targetILNS1_3genE8ELNS1_11target_archE1030ELNS1_3gpuE2ELNS1_3repE0EEENS1_30default_config_static_selectorELNS0_4arch9wavefront6targetE1EEEvSP_: ; @_ZN7rocprim17ROCPRIM_400000_NS6detail17trampoline_kernelINS0_14default_configENS1_29binary_search_config_selectorItiEEZNS1_14transform_implILb0ES3_S5_N6thrust23THRUST_200600_302600_NS6detail15normal_iteratorINS8_10device_ptrItEEEENSA_INSB_IiEEEEZNS1_13binary_searchIS3_S5_SD_SD_SF_NS1_16binary_search_opENS9_16wrapped_functionINS0_4lessIvEEbEEEE10hipError_tPvRmT1_T2_T3_mmT4_T5_P12ihipStream_tbEUlRKtE_EESM_SQ_SR_mSS_SV_bEUlT_E_NS1_11comp_targetILNS1_3genE8ELNS1_11target_archE1030ELNS1_3gpuE2ELNS1_3repE0EEENS1_30default_config_static_selectorELNS0_4arch9wavefront6targetE1EEEvSP_
; %bb.0:
	.section	.rodata,"a",@progbits
	.p2align	6, 0x0
	.amdhsa_kernel _ZN7rocprim17ROCPRIM_400000_NS6detail17trampoline_kernelINS0_14default_configENS1_29binary_search_config_selectorItiEEZNS1_14transform_implILb0ES3_S5_N6thrust23THRUST_200600_302600_NS6detail15normal_iteratorINS8_10device_ptrItEEEENSA_INSB_IiEEEEZNS1_13binary_searchIS3_S5_SD_SD_SF_NS1_16binary_search_opENS9_16wrapped_functionINS0_4lessIvEEbEEEE10hipError_tPvRmT1_T2_T3_mmT4_T5_P12ihipStream_tbEUlRKtE_EESM_SQ_SR_mSS_SV_bEUlT_E_NS1_11comp_targetILNS1_3genE8ELNS1_11target_archE1030ELNS1_3gpuE2ELNS1_3repE0EEENS1_30default_config_static_selectorELNS0_4arch9wavefront6targetE1EEEvSP_
		.amdhsa_group_segment_fixed_size 0
		.amdhsa_private_segment_fixed_size 0
		.amdhsa_kernarg_size 56
		.amdhsa_user_sgpr_count 6
		.amdhsa_user_sgpr_private_segment_buffer 1
		.amdhsa_user_sgpr_dispatch_ptr 0
		.amdhsa_user_sgpr_queue_ptr 0
		.amdhsa_user_sgpr_kernarg_segment_ptr 1
		.amdhsa_user_sgpr_dispatch_id 0
		.amdhsa_user_sgpr_flat_scratch_init 0
		.amdhsa_user_sgpr_kernarg_preload_length 0
		.amdhsa_user_sgpr_kernarg_preload_offset 0
		.amdhsa_user_sgpr_private_segment_size 0
		.amdhsa_uses_dynamic_stack 0
		.amdhsa_system_sgpr_private_segment_wavefront_offset 0
		.amdhsa_system_sgpr_workgroup_id_x 1
		.amdhsa_system_sgpr_workgroup_id_y 0
		.amdhsa_system_sgpr_workgroup_id_z 0
		.amdhsa_system_sgpr_workgroup_info 0
		.amdhsa_system_vgpr_workitem_id 0
		.amdhsa_next_free_vgpr 1
		.amdhsa_next_free_sgpr 0
		.amdhsa_accum_offset 4
		.amdhsa_reserve_vcc 0
		.amdhsa_reserve_flat_scratch 0
		.amdhsa_float_round_mode_32 0
		.amdhsa_float_round_mode_16_64 0
		.amdhsa_float_denorm_mode_32 3
		.amdhsa_float_denorm_mode_16_64 3
		.amdhsa_dx10_clamp 1
		.amdhsa_ieee_mode 1
		.amdhsa_fp16_overflow 0
		.amdhsa_tg_split 0
		.amdhsa_exception_fp_ieee_invalid_op 0
		.amdhsa_exception_fp_denorm_src 0
		.amdhsa_exception_fp_ieee_div_zero 0
		.amdhsa_exception_fp_ieee_overflow 0
		.amdhsa_exception_fp_ieee_underflow 0
		.amdhsa_exception_fp_ieee_inexact 0
		.amdhsa_exception_int_div_zero 0
	.end_amdhsa_kernel
	.section	.text._ZN7rocprim17ROCPRIM_400000_NS6detail17trampoline_kernelINS0_14default_configENS1_29binary_search_config_selectorItiEEZNS1_14transform_implILb0ES3_S5_N6thrust23THRUST_200600_302600_NS6detail15normal_iteratorINS8_10device_ptrItEEEENSA_INSB_IiEEEEZNS1_13binary_searchIS3_S5_SD_SD_SF_NS1_16binary_search_opENS9_16wrapped_functionINS0_4lessIvEEbEEEE10hipError_tPvRmT1_T2_T3_mmT4_T5_P12ihipStream_tbEUlRKtE_EESM_SQ_SR_mSS_SV_bEUlT_E_NS1_11comp_targetILNS1_3genE8ELNS1_11target_archE1030ELNS1_3gpuE2ELNS1_3repE0EEENS1_30default_config_static_selectorELNS0_4arch9wavefront6targetE1EEEvSP_,"axG",@progbits,_ZN7rocprim17ROCPRIM_400000_NS6detail17trampoline_kernelINS0_14default_configENS1_29binary_search_config_selectorItiEEZNS1_14transform_implILb0ES3_S5_N6thrust23THRUST_200600_302600_NS6detail15normal_iteratorINS8_10device_ptrItEEEENSA_INSB_IiEEEEZNS1_13binary_searchIS3_S5_SD_SD_SF_NS1_16binary_search_opENS9_16wrapped_functionINS0_4lessIvEEbEEEE10hipError_tPvRmT1_T2_T3_mmT4_T5_P12ihipStream_tbEUlRKtE_EESM_SQ_SR_mSS_SV_bEUlT_E_NS1_11comp_targetILNS1_3genE8ELNS1_11target_archE1030ELNS1_3gpuE2ELNS1_3repE0EEENS1_30default_config_static_selectorELNS0_4arch9wavefront6targetE1EEEvSP_,comdat
.Lfunc_end491:
	.size	_ZN7rocprim17ROCPRIM_400000_NS6detail17trampoline_kernelINS0_14default_configENS1_29binary_search_config_selectorItiEEZNS1_14transform_implILb0ES3_S5_N6thrust23THRUST_200600_302600_NS6detail15normal_iteratorINS8_10device_ptrItEEEENSA_INSB_IiEEEEZNS1_13binary_searchIS3_S5_SD_SD_SF_NS1_16binary_search_opENS9_16wrapped_functionINS0_4lessIvEEbEEEE10hipError_tPvRmT1_T2_T3_mmT4_T5_P12ihipStream_tbEUlRKtE_EESM_SQ_SR_mSS_SV_bEUlT_E_NS1_11comp_targetILNS1_3genE8ELNS1_11target_archE1030ELNS1_3gpuE2ELNS1_3repE0EEENS1_30default_config_static_selectorELNS0_4arch9wavefront6targetE1EEEvSP_, .Lfunc_end491-_ZN7rocprim17ROCPRIM_400000_NS6detail17trampoline_kernelINS0_14default_configENS1_29binary_search_config_selectorItiEEZNS1_14transform_implILb0ES3_S5_N6thrust23THRUST_200600_302600_NS6detail15normal_iteratorINS8_10device_ptrItEEEENSA_INSB_IiEEEEZNS1_13binary_searchIS3_S5_SD_SD_SF_NS1_16binary_search_opENS9_16wrapped_functionINS0_4lessIvEEbEEEE10hipError_tPvRmT1_T2_T3_mmT4_T5_P12ihipStream_tbEUlRKtE_EESM_SQ_SR_mSS_SV_bEUlT_E_NS1_11comp_targetILNS1_3genE8ELNS1_11target_archE1030ELNS1_3gpuE2ELNS1_3repE0EEENS1_30default_config_static_selectorELNS0_4arch9wavefront6targetE1EEEvSP_
                                        ; -- End function
	.section	.AMDGPU.csdata,"",@progbits
; Kernel info:
; codeLenInByte = 0
; NumSgprs: 4
; NumVgprs: 0
; NumAgprs: 0
; TotalNumVgprs: 0
; ScratchSize: 0
; MemoryBound: 0
; FloatMode: 240
; IeeeMode: 1
; LDSByteSize: 0 bytes/workgroup (compile time only)
; SGPRBlocks: 0
; VGPRBlocks: 0
; NumSGPRsForWavesPerEU: 4
; NumVGPRsForWavesPerEU: 1
; AccumOffset: 4
; Occupancy: 8
; WaveLimiterHint : 0
; COMPUTE_PGM_RSRC2:SCRATCH_EN: 0
; COMPUTE_PGM_RSRC2:USER_SGPR: 6
; COMPUTE_PGM_RSRC2:TRAP_HANDLER: 0
; COMPUTE_PGM_RSRC2:TGID_X_EN: 1
; COMPUTE_PGM_RSRC2:TGID_Y_EN: 0
; COMPUTE_PGM_RSRC2:TGID_Z_EN: 0
; COMPUTE_PGM_RSRC2:TIDIG_COMP_CNT: 0
; COMPUTE_PGM_RSRC3_GFX90A:ACCUM_OFFSET: 0
; COMPUTE_PGM_RSRC3_GFX90A:TG_SPLIT: 0
	.section	.text._ZN7rocprim17ROCPRIM_400000_NS6detail17trampoline_kernelINS0_14default_configENS1_29binary_search_config_selectorIxbEEZNS1_14transform_implILb0ES3_S5_N6thrust23THRUST_200600_302600_NS6detail15normal_iteratorINS8_10device_ptrIxEEEENSA_INSB_IbEEEEZNS1_13binary_searchIS3_S5_SD_SD_SF_NS1_16binary_search_opENS9_16wrapped_functionINS0_4lessIvEEbEEEE10hipError_tPvRmT1_T2_T3_mmT4_T5_P12ihipStream_tbEUlRKxE_EESM_SQ_SR_mSS_SV_bEUlT_E_NS1_11comp_targetILNS1_3genE0ELNS1_11target_archE4294967295ELNS1_3gpuE0ELNS1_3repE0EEENS1_30default_config_static_selectorELNS0_4arch9wavefront6targetE1EEEvSP_,"axG",@progbits,_ZN7rocprim17ROCPRIM_400000_NS6detail17trampoline_kernelINS0_14default_configENS1_29binary_search_config_selectorIxbEEZNS1_14transform_implILb0ES3_S5_N6thrust23THRUST_200600_302600_NS6detail15normal_iteratorINS8_10device_ptrIxEEEENSA_INSB_IbEEEEZNS1_13binary_searchIS3_S5_SD_SD_SF_NS1_16binary_search_opENS9_16wrapped_functionINS0_4lessIvEEbEEEE10hipError_tPvRmT1_T2_T3_mmT4_T5_P12ihipStream_tbEUlRKxE_EESM_SQ_SR_mSS_SV_bEUlT_E_NS1_11comp_targetILNS1_3genE0ELNS1_11target_archE4294967295ELNS1_3gpuE0ELNS1_3repE0EEENS1_30default_config_static_selectorELNS0_4arch9wavefront6targetE1EEEvSP_,comdat
	.protected	_ZN7rocprim17ROCPRIM_400000_NS6detail17trampoline_kernelINS0_14default_configENS1_29binary_search_config_selectorIxbEEZNS1_14transform_implILb0ES3_S5_N6thrust23THRUST_200600_302600_NS6detail15normal_iteratorINS8_10device_ptrIxEEEENSA_INSB_IbEEEEZNS1_13binary_searchIS3_S5_SD_SD_SF_NS1_16binary_search_opENS9_16wrapped_functionINS0_4lessIvEEbEEEE10hipError_tPvRmT1_T2_T3_mmT4_T5_P12ihipStream_tbEUlRKxE_EESM_SQ_SR_mSS_SV_bEUlT_E_NS1_11comp_targetILNS1_3genE0ELNS1_11target_archE4294967295ELNS1_3gpuE0ELNS1_3repE0EEENS1_30default_config_static_selectorELNS0_4arch9wavefront6targetE1EEEvSP_ ; -- Begin function _ZN7rocprim17ROCPRIM_400000_NS6detail17trampoline_kernelINS0_14default_configENS1_29binary_search_config_selectorIxbEEZNS1_14transform_implILb0ES3_S5_N6thrust23THRUST_200600_302600_NS6detail15normal_iteratorINS8_10device_ptrIxEEEENSA_INSB_IbEEEEZNS1_13binary_searchIS3_S5_SD_SD_SF_NS1_16binary_search_opENS9_16wrapped_functionINS0_4lessIvEEbEEEE10hipError_tPvRmT1_T2_T3_mmT4_T5_P12ihipStream_tbEUlRKxE_EESM_SQ_SR_mSS_SV_bEUlT_E_NS1_11comp_targetILNS1_3genE0ELNS1_11target_archE4294967295ELNS1_3gpuE0ELNS1_3repE0EEENS1_30default_config_static_selectorELNS0_4arch9wavefront6targetE1EEEvSP_
	.globl	_ZN7rocprim17ROCPRIM_400000_NS6detail17trampoline_kernelINS0_14default_configENS1_29binary_search_config_selectorIxbEEZNS1_14transform_implILb0ES3_S5_N6thrust23THRUST_200600_302600_NS6detail15normal_iteratorINS8_10device_ptrIxEEEENSA_INSB_IbEEEEZNS1_13binary_searchIS3_S5_SD_SD_SF_NS1_16binary_search_opENS9_16wrapped_functionINS0_4lessIvEEbEEEE10hipError_tPvRmT1_T2_T3_mmT4_T5_P12ihipStream_tbEUlRKxE_EESM_SQ_SR_mSS_SV_bEUlT_E_NS1_11comp_targetILNS1_3genE0ELNS1_11target_archE4294967295ELNS1_3gpuE0ELNS1_3repE0EEENS1_30default_config_static_selectorELNS0_4arch9wavefront6targetE1EEEvSP_
	.p2align	8
	.type	_ZN7rocprim17ROCPRIM_400000_NS6detail17trampoline_kernelINS0_14default_configENS1_29binary_search_config_selectorIxbEEZNS1_14transform_implILb0ES3_S5_N6thrust23THRUST_200600_302600_NS6detail15normal_iteratorINS8_10device_ptrIxEEEENSA_INSB_IbEEEEZNS1_13binary_searchIS3_S5_SD_SD_SF_NS1_16binary_search_opENS9_16wrapped_functionINS0_4lessIvEEbEEEE10hipError_tPvRmT1_T2_T3_mmT4_T5_P12ihipStream_tbEUlRKxE_EESM_SQ_SR_mSS_SV_bEUlT_E_NS1_11comp_targetILNS1_3genE0ELNS1_11target_archE4294967295ELNS1_3gpuE0ELNS1_3repE0EEENS1_30default_config_static_selectorELNS0_4arch9wavefront6targetE1EEEvSP_,@function
_ZN7rocprim17ROCPRIM_400000_NS6detail17trampoline_kernelINS0_14default_configENS1_29binary_search_config_selectorIxbEEZNS1_14transform_implILb0ES3_S5_N6thrust23THRUST_200600_302600_NS6detail15normal_iteratorINS8_10device_ptrIxEEEENSA_INSB_IbEEEEZNS1_13binary_searchIS3_S5_SD_SD_SF_NS1_16binary_search_opENS9_16wrapped_functionINS0_4lessIvEEbEEEE10hipError_tPvRmT1_T2_T3_mmT4_T5_P12ihipStream_tbEUlRKxE_EESM_SQ_SR_mSS_SV_bEUlT_E_NS1_11comp_targetILNS1_3genE0ELNS1_11target_archE4294967295ELNS1_3gpuE0ELNS1_3repE0EEENS1_30default_config_static_selectorELNS0_4arch9wavefront6targetE1EEEvSP_: ; @_ZN7rocprim17ROCPRIM_400000_NS6detail17trampoline_kernelINS0_14default_configENS1_29binary_search_config_selectorIxbEEZNS1_14transform_implILb0ES3_S5_N6thrust23THRUST_200600_302600_NS6detail15normal_iteratorINS8_10device_ptrIxEEEENSA_INSB_IbEEEEZNS1_13binary_searchIS3_S5_SD_SD_SF_NS1_16binary_search_opENS9_16wrapped_functionINS0_4lessIvEEbEEEE10hipError_tPvRmT1_T2_T3_mmT4_T5_P12ihipStream_tbEUlRKxE_EESM_SQ_SR_mSS_SV_bEUlT_E_NS1_11comp_targetILNS1_3genE0ELNS1_11target_archE4294967295ELNS1_3gpuE0ELNS1_3repE0EEENS1_30default_config_static_selectorELNS0_4arch9wavefront6targetE1EEEvSP_
; %bb.0:
	.section	.rodata,"a",@progbits
	.p2align	6, 0x0
	.amdhsa_kernel _ZN7rocprim17ROCPRIM_400000_NS6detail17trampoline_kernelINS0_14default_configENS1_29binary_search_config_selectorIxbEEZNS1_14transform_implILb0ES3_S5_N6thrust23THRUST_200600_302600_NS6detail15normal_iteratorINS8_10device_ptrIxEEEENSA_INSB_IbEEEEZNS1_13binary_searchIS3_S5_SD_SD_SF_NS1_16binary_search_opENS9_16wrapped_functionINS0_4lessIvEEbEEEE10hipError_tPvRmT1_T2_T3_mmT4_T5_P12ihipStream_tbEUlRKxE_EESM_SQ_SR_mSS_SV_bEUlT_E_NS1_11comp_targetILNS1_3genE0ELNS1_11target_archE4294967295ELNS1_3gpuE0ELNS1_3repE0EEENS1_30default_config_static_selectorELNS0_4arch9wavefront6targetE1EEEvSP_
		.amdhsa_group_segment_fixed_size 0
		.amdhsa_private_segment_fixed_size 0
		.amdhsa_kernarg_size 56
		.amdhsa_user_sgpr_count 6
		.amdhsa_user_sgpr_private_segment_buffer 1
		.amdhsa_user_sgpr_dispatch_ptr 0
		.amdhsa_user_sgpr_queue_ptr 0
		.amdhsa_user_sgpr_kernarg_segment_ptr 1
		.amdhsa_user_sgpr_dispatch_id 0
		.amdhsa_user_sgpr_flat_scratch_init 0
		.amdhsa_user_sgpr_kernarg_preload_length 0
		.amdhsa_user_sgpr_kernarg_preload_offset 0
		.amdhsa_user_sgpr_private_segment_size 0
		.amdhsa_uses_dynamic_stack 0
		.amdhsa_system_sgpr_private_segment_wavefront_offset 0
		.amdhsa_system_sgpr_workgroup_id_x 1
		.amdhsa_system_sgpr_workgroup_id_y 0
		.amdhsa_system_sgpr_workgroup_id_z 0
		.amdhsa_system_sgpr_workgroup_info 0
		.amdhsa_system_vgpr_workitem_id 0
		.amdhsa_next_free_vgpr 1
		.amdhsa_next_free_sgpr 0
		.amdhsa_accum_offset 4
		.amdhsa_reserve_vcc 0
		.amdhsa_reserve_flat_scratch 0
		.amdhsa_float_round_mode_32 0
		.amdhsa_float_round_mode_16_64 0
		.amdhsa_float_denorm_mode_32 3
		.amdhsa_float_denorm_mode_16_64 3
		.amdhsa_dx10_clamp 1
		.amdhsa_ieee_mode 1
		.amdhsa_fp16_overflow 0
		.amdhsa_tg_split 0
		.amdhsa_exception_fp_ieee_invalid_op 0
		.amdhsa_exception_fp_denorm_src 0
		.amdhsa_exception_fp_ieee_div_zero 0
		.amdhsa_exception_fp_ieee_overflow 0
		.amdhsa_exception_fp_ieee_underflow 0
		.amdhsa_exception_fp_ieee_inexact 0
		.amdhsa_exception_int_div_zero 0
	.end_amdhsa_kernel
	.section	.text._ZN7rocprim17ROCPRIM_400000_NS6detail17trampoline_kernelINS0_14default_configENS1_29binary_search_config_selectorIxbEEZNS1_14transform_implILb0ES3_S5_N6thrust23THRUST_200600_302600_NS6detail15normal_iteratorINS8_10device_ptrIxEEEENSA_INSB_IbEEEEZNS1_13binary_searchIS3_S5_SD_SD_SF_NS1_16binary_search_opENS9_16wrapped_functionINS0_4lessIvEEbEEEE10hipError_tPvRmT1_T2_T3_mmT4_T5_P12ihipStream_tbEUlRKxE_EESM_SQ_SR_mSS_SV_bEUlT_E_NS1_11comp_targetILNS1_3genE0ELNS1_11target_archE4294967295ELNS1_3gpuE0ELNS1_3repE0EEENS1_30default_config_static_selectorELNS0_4arch9wavefront6targetE1EEEvSP_,"axG",@progbits,_ZN7rocprim17ROCPRIM_400000_NS6detail17trampoline_kernelINS0_14default_configENS1_29binary_search_config_selectorIxbEEZNS1_14transform_implILb0ES3_S5_N6thrust23THRUST_200600_302600_NS6detail15normal_iteratorINS8_10device_ptrIxEEEENSA_INSB_IbEEEEZNS1_13binary_searchIS3_S5_SD_SD_SF_NS1_16binary_search_opENS9_16wrapped_functionINS0_4lessIvEEbEEEE10hipError_tPvRmT1_T2_T3_mmT4_T5_P12ihipStream_tbEUlRKxE_EESM_SQ_SR_mSS_SV_bEUlT_E_NS1_11comp_targetILNS1_3genE0ELNS1_11target_archE4294967295ELNS1_3gpuE0ELNS1_3repE0EEENS1_30default_config_static_selectorELNS0_4arch9wavefront6targetE1EEEvSP_,comdat
.Lfunc_end492:
	.size	_ZN7rocprim17ROCPRIM_400000_NS6detail17trampoline_kernelINS0_14default_configENS1_29binary_search_config_selectorIxbEEZNS1_14transform_implILb0ES3_S5_N6thrust23THRUST_200600_302600_NS6detail15normal_iteratorINS8_10device_ptrIxEEEENSA_INSB_IbEEEEZNS1_13binary_searchIS3_S5_SD_SD_SF_NS1_16binary_search_opENS9_16wrapped_functionINS0_4lessIvEEbEEEE10hipError_tPvRmT1_T2_T3_mmT4_T5_P12ihipStream_tbEUlRKxE_EESM_SQ_SR_mSS_SV_bEUlT_E_NS1_11comp_targetILNS1_3genE0ELNS1_11target_archE4294967295ELNS1_3gpuE0ELNS1_3repE0EEENS1_30default_config_static_selectorELNS0_4arch9wavefront6targetE1EEEvSP_, .Lfunc_end492-_ZN7rocprim17ROCPRIM_400000_NS6detail17trampoline_kernelINS0_14default_configENS1_29binary_search_config_selectorIxbEEZNS1_14transform_implILb0ES3_S5_N6thrust23THRUST_200600_302600_NS6detail15normal_iteratorINS8_10device_ptrIxEEEENSA_INSB_IbEEEEZNS1_13binary_searchIS3_S5_SD_SD_SF_NS1_16binary_search_opENS9_16wrapped_functionINS0_4lessIvEEbEEEE10hipError_tPvRmT1_T2_T3_mmT4_T5_P12ihipStream_tbEUlRKxE_EESM_SQ_SR_mSS_SV_bEUlT_E_NS1_11comp_targetILNS1_3genE0ELNS1_11target_archE4294967295ELNS1_3gpuE0ELNS1_3repE0EEENS1_30default_config_static_selectorELNS0_4arch9wavefront6targetE1EEEvSP_
                                        ; -- End function
	.section	.AMDGPU.csdata,"",@progbits
; Kernel info:
; codeLenInByte = 0
; NumSgprs: 4
; NumVgprs: 0
; NumAgprs: 0
; TotalNumVgprs: 0
; ScratchSize: 0
; MemoryBound: 0
; FloatMode: 240
; IeeeMode: 1
; LDSByteSize: 0 bytes/workgroup (compile time only)
; SGPRBlocks: 0
; VGPRBlocks: 0
; NumSGPRsForWavesPerEU: 4
; NumVGPRsForWavesPerEU: 1
; AccumOffset: 4
; Occupancy: 8
; WaveLimiterHint : 0
; COMPUTE_PGM_RSRC2:SCRATCH_EN: 0
; COMPUTE_PGM_RSRC2:USER_SGPR: 6
; COMPUTE_PGM_RSRC2:TRAP_HANDLER: 0
; COMPUTE_PGM_RSRC2:TGID_X_EN: 1
; COMPUTE_PGM_RSRC2:TGID_Y_EN: 0
; COMPUTE_PGM_RSRC2:TGID_Z_EN: 0
; COMPUTE_PGM_RSRC2:TIDIG_COMP_CNT: 0
; COMPUTE_PGM_RSRC3_GFX90A:ACCUM_OFFSET: 0
; COMPUTE_PGM_RSRC3_GFX90A:TG_SPLIT: 0
	.section	.text._ZN7rocprim17ROCPRIM_400000_NS6detail17trampoline_kernelINS0_14default_configENS1_29binary_search_config_selectorIxbEEZNS1_14transform_implILb0ES3_S5_N6thrust23THRUST_200600_302600_NS6detail15normal_iteratorINS8_10device_ptrIxEEEENSA_INSB_IbEEEEZNS1_13binary_searchIS3_S5_SD_SD_SF_NS1_16binary_search_opENS9_16wrapped_functionINS0_4lessIvEEbEEEE10hipError_tPvRmT1_T2_T3_mmT4_T5_P12ihipStream_tbEUlRKxE_EESM_SQ_SR_mSS_SV_bEUlT_E_NS1_11comp_targetILNS1_3genE5ELNS1_11target_archE942ELNS1_3gpuE9ELNS1_3repE0EEENS1_30default_config_static_selectorELNS0_4arch9wavefront6targetE1EEEvSP_,"axG",@progbits,_ZN7rocprim17ROCPRIM_400000_NS6detail17trampoline_kernelINS0_14default_configENS1_29binary_search_config_selectorIxbEEZNS1_14transform_implILb0ES3_S5_N6thrust23THRUST_200600_302600_NS6detail15normal_iteratorINS8_10device_ptrIxEEEENSA_INSB_IbEEEEZNS1_13binary_searchIS3_S5_SD_SD_SF_NS1_16binary_search_opENS9_16wrapped_functionINS0_4lessIvEEbEEEE10hipError_tPvRmT1_T2_T3_mmT4_T5_P12ihipStream_tbEUlRKxE_EESM_SQ_SR_mSS_SV_bEUlT_E_NS1_11comp_targetILNS1_3genE5ELNS1_11target_archE942ELNS1_3gpuE9ELNS1_3repE0EEENS1_30default_config_static_selectorELNS0_4arch9wavefront6targetE1EEEvSP_,comdat
	.protected	_ZN7rocprim17ROCPRIM_400000_NS6detail17trampoline_kernelINS0_14default_configENS1_29binary_search_config_selectorIxbEEZNS1_14transform_implILb0ES3_S5_N6thrust23THRUST_200600_302600_NS6detail15normal_iteratorINS8_10device_ptrIxEEEENSA_INSB_IbEEEEZNS1_13binary_searchIS3_S5_SD_SD_SF_NS1_16binary_search_opENS9_16wrapped_functionINS0_4lessIvEEbEEEE10hipError_tPvRmT1_T2_T3_mmT4_T5_P12ihipStream_tbEUlRKxE_EESM_SQ_SR_mSS_SV_bEUlT_E_NS1_11comp_targetILNS1_3genE5ELNS1_11target_archE942ELNS1_3gpuE9ELNS1_3repE0EEENS1_30default_config_static_selectorELNS0_4arch9wavefront6targetE1EEEvSP_ ; -- Begin function _ZN7rocprim17ROCPRIM_400000_NS6detail17trampoline_kernelINS0_14default_configENS1_29binary_search_config_selectorIxbEEZNS1_14transform_implILb0ES3_S5_N6thrust23THRUST_200600_302600_NS6detail15normal_iteratorINS8_10device_ptrIxEEEENSA_INSB_IbEEEEZNS1_13binary_searchIS3_S5_SD_SD_SF_NS1_16binary_search_opENS9_16wrapped_functionINS0_4lessIvEEbEEEE10hipError_tPvRmT1_T2_T3_mmT4_T5_P12ihipStream_tbEUlRKxE_EESM_SQ_SR_mSS_SV_bEUlT_E_NS1_11comp_targetILNS1_3genE5ELNS1_11target_archE942ELNS1_3gpuE9ELNS1_3repE0EEENS1_30default_config_static_selectorELNS0_4arch9wavefront6targetE1EEEvSP_
	.globl	_ZN7rocprim17ROCPRIM_400000_NS6detail17trampoline_kernelINS0_14default_configENS1_29binary_search_config_selectorIxbEEZNS1_14transform_implILb0ES3_S5_N6thrust23THRUST_200600_302600_NS6detail15normal_iteratorINS8_10device_ptrIxEEEENSA_INSB_IbEEEEZNS1_13binary_searchIS3_S5_SD_SD_SF_NS1_16binary_search_opENS9_16wrapped_functionINS0_4lessIvEEbEEEE10hipError_tPvRmT1_T2_T3_mmT4_T5_P12ihipStream_tbEUlRKxE_EESM_SQ_SR_mSS_SV_bEUlT_E_NS1_11comp_targetILNS1_3genE5ELNS1_11target_archE942ELNS1_3gpuE9ELNS1_3repE0EEENS1_30default_config_static_selectorELNS0_4arch9wavefront6targetE1EEEvSP_
	.p2align	8
	.type	_ZN7rocprim17ROCPRIM_400000_NS6detail17trampoline_kernelINS0_14default_configENS1_29binary_search_config_selectorIxbEEZNS1_14transform_implILb0ES3_S5_N6thrust23THRUST_200600_302600_NS6detail15normal_iteratorINS8_10device_ptrIxEEEENSA_INSB_IbEEEEZNS1_13binary_searchIS3_S5_SD_SD_SF_NS1_16binary_search_opENS9_16wrapped_functionINS0_4lessIvEEbEEEE10hipError_tPvRmT1_T2_T3_mmT4_T5_P12ihipStream_tbEUlRKxE_EESM_SQ_SR_mSS_SV_bEUlT_E_NS1_11comp_targetILNS1_3genE5ELNS1_11target_archE942ELNS1_3gpuE9ELNS1_3repE0EEENS1_30default_config_static_selectorELNS0_4arch9wavefront6targetE1EEEvSP_,@function
_ZN7rocprim17ROCPRIM_400000_NS6detail17trampoline_kernelINS0_14default_configENS1_29binary_search_config_selectorIxbEEZNS1_14transform_implILb0ES3_S5_N6thrust23THRUST_200600_302600_NS6detail15normal_iteratorINS8_10device_ptrIxEEEENSA_INSB_IbEEEEZNS1_13binary_searchIS3_S5_SD_SD_SF_NS1_16binary_search_opENS9_16wrapped_functionINS0_4lessIvEEbEEEE10hipError_tPvRmT1_T2_T3_mmT4_T5_P12ihipStream_tbEUlRKxE_EESM_SQ_SR_mSS_SV_bEUlT_E_NS1_11comp_targetILNS1_3genE5ELNS1_11target_archE942ELNS1_3gpuE9ELNS1_3repE0EEENS1_30default_config_static_selectorELNS0_4arch9wavefront6targetE1EEEvSP_: ; @_ZN7rocprim17ROCPRIM_400000_NS6detail17trampoline_kernelINS0_14default_configENS1_29binary_search_config_selectorIxbEEZNS1_14transform_implILb0ES3_S5_N6thrust23THRUST_200600_302600_NS6detail15normal_iteratorINS8_10device_ptrIxEEEENSA_INSB_IbEEEEZNS1_13binary_searchIS3_S5_SD_SD_SF_NS1_16binary_search_opENS9_16wrapped_functionINS0_4lessIvEEbEEEE10hipError_tPvRmT1_T2_T3_mmT4_T5_P12ihipStream_tbEUlRKxE_EESM_SQ_SR_mSS_SV_bEUlT_E_NS1_11comp_targetILNS1_3genE5ELNS1_11target_archE942ELNS1_3gpuE9ELNS1_3repE0EEENS1_30default_config_static_selectorELNS0_4arch9wavefront6targetE1EEEvSP_
; %bb.0:
	.section	.rodata,"a",@progbits
	.p2align	6, 0x0
	.amdhsa_kernel _ZN7rocprim17ROCPRIM_400000_NS6detail17trampoline_kernelINS0_14default_configENS1_29binary_search_config_selectorIxbEEZNS1_14transform_implILb0ES3_S5_N6thrust23THRUST_200600_302600_NS6detail15normal_iteratorINS8_10device_ptrIxEEEENSA_INSB_IbEEEEZNS1_13binary_searchIS3_S5_SD_SD_SF_NS1_16binary_search_opENS9_16wrapped_functionINS0_4lessIvEEbEEEE10hipError_tPvRmT1_T2_T3_mmT4_T5_P12ihipStream_tbEUlRKxE_EESM_SQ_SR_mSS_SV_bEUlT_E_NS1_11comp_targetILNS1_3genE5ELNS1_11target_archE942ELNS1_3gpuE9ELNS1_3repE0EEENS1_30default_config_static_selectorELNS0_4arch9wavefront6targetE1EEEvSP_
		.amdhsa_group_segment_fixed_size 0
		.amdhsa_private_segment_fixed_size 0
		.amdhsa_kernarg_size 56
		.amdhsa_user_sgpr_count 6
		.amdhsa_user_sgpr_private_segment_buffer 1
		.amdhsa_user_sgpr_dispatch_ptr 0
		.amdhsa_user_sgpr_queue_ptr 0
		.amdhsa_user_sgpr_kernarg_segment_ptr 1
		.amdhsa_user_sgpr_dispatch_id 0
		.amdhsa_user_sgpr_flat_scratch_init 0
		.amdhsa_user_sgpr_kernarg_preload_length 0
		.amdhsa_user_sgpr_kernarg_preload_offset 0
		.amdhsa_user_sgpr_private_segment_size 0
		.amdhsa_uses_dynamic_stack 0
		.amdhsa_system_sgpr_private_segment_wavefront_offset 0
		.amdhsa_system_sgpr_workgroup_id_x 1
		.amdhsa_system_sgpr_workgroup_id_y 0
		.amdhsa_system_sgpr_workgroup_id_z 0
		.amdhsa_system_sgpr_workgroup_info 0
		.amdhsa_system_vgpr_workitem_id 0
		.amdhsa_next_free_vgpr 1
		.amdhsa_next_free_sgpr 0
		.amdhsa_accum_offset 4
		.amdhsa_reserve_vcc 0
		.amdhsa_reserve_flat_scratch 0
		.amdhsa_float_round_mode_32 0
		.amdhsa_float_round_mode_16_64 0
		.amdhsa_float_denorm_mode_32 3
		.amdhsa_float_denorm_mode_16_64 3
		.amdhsa_dx10_clamp 1
		.amdhsa_ieee_mode 1
		.amdhsa_fp16_overflow 0
		.amdhsa_tg_split 0
		.amdhsa_exception_fp_ieee_invalid_op 0
		.amdhsa_exception_fp_denorm_src 0
		.amdhsa_exception_fp_ieee_div_zero 0
		.amdhsa_exception_fp_ieee_overflow 0
		.amdhsa_exception_fp_ieee_underflow 0
		.amdhsa_exception_fp_ieee_inexact 0
		.amdhsa_exception_int_div_zero 0
	.end_amdhsa_kernel
	.section	.text._ZN7rocprim17ROCPRIM_400000_NS6detail17trampoline_kernelINS0_14default_configENS1_29binary_search_config_selectorIxbEEZNS1_14transform_implILb0ES3_S5_N6thrust23THRUST_200600_302600_NS6detail15normal_iteratorINS8_10device_ptrIxEEEENSA_INSB_IbEEEEZNS1_13binary_searchIS3_S5_SD_SD_SF_NS1_16binary_search_opENS9_16wrapped_functionINS0_4lessIvEEbEEEE10hipError_tPvRmT1_T2_T3_mmT4_T5_P12ihipStream_tbEUlRKxE_EESM_SQ_SR_mSS_SV_bEUlT_E_NS1_11comp_targetILNS1_3genE5ELNS1_11target_archE942ELNS1_3gpuE9ELNS1_3repE0EEENS1_30default_config_static_selectorELNS0_4arch9wavefront6targetE1EEEvSP_,"axG",@progbits,_ZN7rocprim17ROCPRIM_400000_NS6detail17trampoline_kernelINS0_14default_configENS1_29binary_search_config_selectorIxbEEZNS1_14transform_implILb0ES3_S5_N6thrust23THRUST_200600_302600_NS6detail15normal_iteratorINS8_10device_ptrIxEEEENSA_INSB_IbEEEEZNS1_13binary_searchIS3_S5_SD_SD_SF_NS1_16binary_search_opENS9_16wrapped_functionINS0_4lessIvEEbEEEE10hipError_tPvRmT1_T2_T3_mmT4_T5_P12ihipStream_tbEUlRKxE_EESM_SQ_SR_mSS_SV_bEUlT_E_NS1_11comp_targetILNS1_3genE5ELNS1_11target_archE942ELNS1_3gpuE9ELNS1_3repE0EEENS1_30default_config_static_selectorELNS0_4arch9wavefront6targetE1EEEvSP_,comdat
.Lfunc_end493:
	.size	_ZN7rocprim17ROCPRIM_400000_NS6detail17trampoline_kernelINS0_14default_configENS1_29binary_search_config_selectorIxbEEZNS1_14transform_implILb0ES3_S5_N6thrust23THRUST_200600_302600_NS6detail15normal_iteratorINS8_10device_ptrIxEEEENSA_INSB_IbEEEEZNS1_13binary_searchIS3_S5_SD_SD_SF_NS1_16binary_search_opENS9_16wrapped_functionINS0_4lessIvEEbEEEE10hipError_tPvRmT1_T2_T3_mmT4_T5_P12ihipStream_tbEUlRKxE_EESM_SQ_SR_mSS_SV_bEUlT_E_NS1_11comp_targetILNS1_3genE5ELNS1_11target_archE942ELNS1_3gpuE9ELNS1_3repE0EEENS1_30default_config_static_selectorELNS0_4arch9wavefront6targetE1EEEvSP_, .Lfunc_end493-_ZN7rocprim17ROCPRIM_400000_NS6detail17trampoline_kernelINS0_14default_configENS1_29binary_search_config_selectorIxbEEZNS1_14transform_implILb0ES3_S5_N6thrust23THRUST_200600_302600_NS6detail15normal_iteratorINS8_10device_ptrIxEEEENSA_INSB_IbEEEEZNS1_13binary_searchIS3_S5_SD_SD_SF_NS1_16binary_search_opENS9_16wrapped_functionINS0_4lessIvEEbEEEE10hipError_tPvRmT1_T2_T3_mmT4_T5_P12ihipStream_tbEUlRKxE_EESM_SQ_SR_mSS_SV_bEUlT_E_NS1_11comp_targetILNS1_3genE5ELNS1_11target_archE942ELNS1_3gpuE9ELNS1_3repE0EEENS1_30default_config_static_selectorELNS0_4arch9wavefront6targetE1EEEvSP_
                                        ; -- End function
	.section	.AMDGPU.csdata,"",@progbits
; Kernel info:
; codeLenInByte = 0
; NumSgprs: 4
; NumVgprs: 0
; NumAgprs: 0
; TotalNumVgprs: 0
; ScratchSize: 0
; MemoryBound: 0
; FloatMode: 240
; IeeeMode: 1
; LDSByteSize: 0 bytes/workgroup (compile time only)
; SGPRBlocks: 0
; VGPRBlocks: 0
; NumSGPRsForWavesPerEU: 4
; NumVGPRsForWavesPerEU: 1
; AccumOffset: 4
; Occupancy: 8
; WaveLimiterHint : 0
; COMPUTE_PGM_RSRC2:SCRATCH_EN: 0
; COMPUTE_PGM_RSRC2:USER_SGPR: 6
; COMPUTE_PGM_RSRC2:TRAP_HANDLER: 0
; COMPUTE_PGM_RSRC2:TGID_X_EN: 1
; COMPUTE_PGM_RSRC2:TGID_Y_EN: 0
; COMPUTE_PGM_RSRC2:TGID_Z_EN: 0
; COMPUTE_PGM_RSRC2:TIDIG_COMP_CNT: 0
; COMPUTE_PGM_RSRC3_GFX90A:ACCUM_OFFSET: 0
; COMPUTE_PGM_RSRC3_GFX90A:TG_SPLIT: 0
	.section	.text._ZN7rocprim17ROCPRIM_400000_NS6detail17trampoline_kernelINS0_14default_configENS1_29binary_search_config_selectorIxbEEZNS1_14transform_implILb0ES3_S5_N6thrust23THRUST_200600_302600_NS6detail15normal_iteratorINS8_10device_ptrIxEEEENSA_INSB_IbEEEEZNS1_13binary_searchIS3_S5_SD_SD_SF_NS1_16binary_search_opENS9_16wrapped_functionINS0_4lessIvEEbEEEE10hipError_tPvRmT1_T2_T3_mmT4_T5_P12ihipStream_tbEUlRKxE_EESM_SQ_SR_mSS_SV_bEUlT_E_NS1_11comp_targetILNS1_3genE4ELNS1_11target_archE910ELNS1_3gpuE8ELNS1_3repE0EEENS1_30default_config_static_selectorELNS0_4arch9wavefront6targetE1EEEvSP_,"axG",@progbits,_ZN7rocprim17ROCPRIM_400000_NS6detail17trampoline_kernelINS0_14default_configENS1_29binary_search_config_selectorIxbEEZNS1_14transform_implILb0ES3_S5_N6thrust23THRUST_200600_302600_NS6detail15normal_iteratorINS8_10device_ptrIxEEEENSA_INSB_IbEEEEZNS1_13binary_searchIS3_S5_SD_SD_SF_NS1_16binary_search_opENS9_16wrapped_functionINS0_4lessIvEEbEEEE10hipError_tPvRmT1_T2_T3_mmT4_T5_P12ihipStream_tbEUlRKxE_EESM_SQ_SR_mSS_SV_bEUlT_E_NS1_11comp_targetILNS1_3genE4ELNS1_11target_archE910ELNS1_3gpuE8ELNS1_3repE0EEENS1_30default_config_static_selectorELNS0_4arch9wavefront6targetE1EEEvSP_,comdat
	.protected	_ZN7rocprim17ROCPRIM_400000_NS6detail17trampoline_kernelINS0_14default_configENS1_29binary_search_config_selectorIxbEEZNS1_14transform_implILb0ES3_S5_N6thrust23THRUST_200600_302600_NS6detail15normal_iteratorINS8_10device_ptrIxEEEENSA_INSB_IbEEEEZNS1_13binary_searchIS3_S5_SD_SD_SF_NS1_16binary_search_opENS9_16wrapped_functionINS0_4lessIvEEbEEEE10hipError_tPvRmT1_T2_T3_mmT4_T5_P12ihipStream_tbEUlRKxE_EESM_SQ_SR_mSS_SV_bEUlT_E_NS1_11comp_targetILNS1_3genE4ELNS1_11target_archE910ELNS1_3gpuE8ELNS1_3repE0EEENS1_30default_config_static_selectorELNS0_4arch9wavefront6targetE1EEEvSP_ ; -- Begin function _ZN7rocprim17ROCPRIM_400000_NS6detail17trampoline_kernelINS0_14default_configENS1_29binary_search_config_selectorIxbEEZNS1_14transform_implILb0ES3_S5_N6thrust23THRUST_200600_302600_NS6detail15normal_iteratorINS8_10device_ptrIxEEEENSA_INSB_IbEEEEZNS1_13binary_searchIS3_S5_SD_SD_SF_NS1_16binary_search_opENS9_16wrapped_functionINS0_4lessIvEEbEEEE10hipError_tPvRmT1_T2_T3_mmT4_T5_P12ihipStream_tbEUlRKxE_EESM_SQ_SR_mSS_SV_bEUlT_E_NS1_11comp_targetILNS1_3genE4ELNS1_11target_archE910ELNS1_3gpuE8ELNS1_3repE0EEENS1_30default_config_static_selectorELNS0_4arch9wavefront6targetE1EEEvSP_
	.globl	_ZN7rocprim17ROCPRIM_400000_NS6detail17trampoline_kernelINS0_14default_configENS1_29binary_search_config_selectorIxbEEZNS1_14transform_implILb0ES3_S5_N6thrust23THRUST_200600_302600_NS6detail15normal_iteratorINS8_10device_ptrIxEEEENSA_INSB_IbEEEEZNS1_13binary_searchIS3_S5_SD_SD_SF_NS1_16binary_search_opENS9_16wrapped_functionINS0_4lessIvEEbEEEE10hipError_tPvRmT1_T2_T3_mmT4_T5_P12ihipStream_tbEUlRKxE_EESM_SQ_SR_mSS_SV_bEUlT_E_NS1_11comp_targetILNS1_3genE4ELNS1_11target_archE910ELNS1_3gpuE8ELNS1_3repE0EEENS1_30default_config_static_selectorELNS0_4arch9wavefront6targetE1EEEvSP_
	.p2align	8
	.type	_ZN7rocprim17ROCPRIM_400000_NS6detail17trampoline_kernelINS0_14default_configENS1_29binary_search_config_selectorIxbEEZNS1_14transform_implILb0ES3_S5_N6thrust23THRUST_200600_302600_NS6detail15normal_iteratorINS8_10device_ptrIxEEEENSA_INSB_IbEEEEZNS1_13binary_searchIS3_S5_SD_SD_SF_NS1_16binary_search_opENS9_16wrapped_functionINS0_4lessIvEEbEEEE10hipError_tPvRmT1_T2_T3_mmT4_T5_P12ihipStream_tbEUlRKxE_EESM_SQ_SR_mSS_SV_bEUlT_E_NS1_11comp_targetILNS1_3genE4ELNS1_11target_archE910ELNS1_3gpuE8ELNS1_3repE0EEENS1_30default_config_static_selectorELNS0_4arch9wavefront6targetE1EEEvSP_,@function
_ZN7rocprim17ROCPRIM_400000_NS6detail17trampoline_kernelINS0_14default_configENS1_29binary_search_config_selectorIxbEEZNS1_14transform_implILb0ES3_S5_N6thrust23THRUST_200600_302600_NS6detail15normal_iteratorINS8_10device_ptrIxEEEENSA_INSB_IbEEEEZNS1_13binary_searchIS3_S5_SD_SD_SF_NS1_16binary_search_opENS9_16wrapped_functionINS0_4lessIvEEbEEEE10hipError_tPvRmT1_T2_T3_mmT4_T5_P12ihipStream_tbEUlRKxE_EESM_SQ_SR_mSS_SV_bEUlT_E_NS1_11comp_targetILNS1_3genE4ELNS1_11target_archE910ELNS1_3gpuE8ELNS1_3repE0EEENS1_30default_config_static_selectorELNS0_4arch9wavefront6targetE1EEEvSP_: ; @_ZN7rocprim17ROCPRIM_400000_NS6detail17trampoline_kernelINS0_14default_configENS1_29binary_search_config_selectorIxbEEZNS1_14transform_implILb0ES3_S5_N6thrust23THRUST_200600_302600_NS6detail15normal_iteratorINS8_10device_ptrIxEEEENSA_INSB_IbEEEEZNS1_13binary_searchIS3_S5_SD_SD_SF_NS1_16binary_search_opENS9_16wrapped_functionINS0_4lessIvEEbEEEE10hipError_tPvRmT1_T2_T3_mmT4_T5_P12ihipStream_tbEUlRKxE_EESM_SQ_SR_mSS_SV_bEUlT_E_NS1_11comp_targetILNS1_3genE4ELNS1_11target_archE910ELNS1_3gpuE8ELNS1_3repE0EEENS1_30default_config_static_selectorELNS0_4arch9wavefront6targetE1EEEvSP_
; %bb.0:
	s_load_dwordx4 s[12:15], s[4:5], 0x0
	s_load_dwordx4 s[0:3], s[4:5], 0x18
	s_load_dwordx2 s[10:11], s[4:5], 0x28
	s_load_dword s7, s[4:5], 0x38
	s_waitcnt lgkmcnt(0)
	s_lshl_b64 s[8:9], s[14:15], 3
	s_add_u32 s16, s12, s8
	s_addc_u32 s17, s13, s9
	s_add_u32 s14, s0, s14
	s_addc_u32 s15, s1, s15
	s_lshl_b32 s8, s6, 6
	s_add_i32 s7, s7, -1
	s_mov_b32 s9, 0
	s_cmp_lg_u32 s6, s7
	s_mov_b64 s[0:1], -1
	s_cbranch_scc0 .LBB494_8
; %bb.1:
	s_lshl_b64 s[0:1], s[8:9], 3
	s_add_u32 s0, s16, s0
	s_addc_u32 s1, s17, s1
	v_lshlrev_b32_e32 v1, 3, v0
	v_mov_b32_e32 v3, s1
	v_add_co_u32_e32 v2, vcc, s0, v1
	v_addc_co_u32_e32 v3, vcc, 0, v3, vcc
	flat_load_dwordx2 v[2:3], v[2:3]
	s_mov_b64 s[0:1], 0
	s_cmp_eq_u64 s[10:11], 0
	v_pk_mov_b32 v[4:5], 0, 0
	s_cbranch_scc1 .LBB494_5
; %bb.2:
	v_pk_mov_b32 v[4:5], 0, 0
	v_pk_mov_b32 v[6:7], s[10:11], s[10:11] op_sel:[0,1]
	v_mov_b32_e32 v1, s3
.LBB494_3:                              ; =>This Inner Loop Header: Depth=1
	v_sub_co_u32_e32 v8, vcc, v6, v4
	v_subb_co_u32_e32 v9, vcc, v7, v5, vcc
	v_lshrrev_b64 v[10:11], 1, v[8:9]
	v_add_co_u32_e32 v10, vcc, v10, v4
	v_lshrrev_b64 v[8:9], 6, v[8:9]
	v_addc_co_u32_e32 v11, vcc, v11, v5, vcc
	v_add_co_u32_e32 v8, vcc, v10, v8
	v_addc_co_u32_e32 v9, vcc, v11, v9, vcc
	v_lshlrev_b64 v[10:11], 3, v[8:9]
	v_add_co_u32_e32 v10, vcc, s2, v10
	v_addc_co_u32_e32 v11, vcc, v1, v11, vcc
	global_load_dwordx2 v[10:11], v[10:11], off
	v_add_co_u32_e32 v12, vcc, 1, v8
	v_addc_co_u32_e32 v13, vcc, 0, v9, vcc
	s_waitcnt vmcnt(0) lgkmcnt(0)
	v_cmp_lt_i64_e32 vcc, v[10:11], v[2:3]
	v_cndmask_b32_e32 v7, v9, v7, vcc
	v_cndmask_b32_e32 v6, v8, v6, vcc
	;; [unrolled: 1-line block ×4, first 2 shown]
	v_cmp_ge_u64_e32 vcc, v[4:5], v[6:7]
	s_or_b64 s[0:1], vcc, s[0:1]
	s_andn2_b64 exec, exec, s[0:1]
	s_cbranch_execnz .LBB494_3
; %bb.4:
	s_or_b64 exec, exec, s[0:1]
.LBB494_5:
	v_cmp_ne_u64_e32 vcc, s[10:11], v[4:5]
	s_mov_b64 s[0:1], 0
	s_mov_b64 s[12:13], 0
	s_and_saveexec_b64 s[6:7], vcc
	s_cbranch_execz .LBB494_7
; %bb.6:
	v_lshlrev_b64 v[4:5], 3, v[4:5]
	v_mov_b32_e32 v1, s3
	v_add_co_u32_e32 v4, vcc, s2, v4
	v_addc_co_u32_e32 v5, vcc, v1, v5, vcc
	global_load_dwordx2 v[4:5], v[4:5], off
	s_waitcnt vmcnt(0) lgkmcnt(0)
	v_cmp_le_i64_e32 vcc, v[4:5], v[2:3]
	s_and_b64 s[12:13], vcc, exec
.LBB494_7:
	s_or_b64 exec, exec, s[6:7]
	s_add_u32 s6, s14, s8
	s_addc_u32 s7, s15, 0
	s_waitcnt vmcnt(0) lgkmcnt(0)
	v_mov_b32_e32 v3, s7
	v_add_co_u32_e32 v2, vcc, s6, v0
	v_cndmask_b32_e64 v1, 0, 1, s[12:13]
	v_addc_co_u32_e32 v3, vcc, 0, v3, vcc
	flat_store_byte v[2:3], v1
.LBB494_8:
	s_and_b64 vcc, exec, s[0:1]
	s_cbranch_vccz .LBB494_13
; %bb.9:
	s_load_dword s0, s[4:5], 0x10
                                        ; implicit-def: $vgpr2_vgpr3
	s_waitcnt lgkmcnt(0)
	s_sub_i32 s0, s0, s8
	v_cmp_gt_u32_e32 vcc, s0, v0
	s_and_saveexec_b64 s[4:5], vcc
	s_cbranch_execnz .LBB494_14
; %bb.10:
	s_or_b64 exec, exec, s[4:5]
                                        ; implicit-def: $vgpr1
	s_and_saveexec_b64 s[4:5], vcc
	s_cbranch_execnz .LBB494_15
.LBB494_11:
	s_or_b64 exec, exec, s[4:5]
	s_and_saveexec_b64 s[0:1], vcc
	s_cbranch_execz .LBB494_13
.LBB494_12:
	s_add_u32 s0, s14, s8
	s_addc_u32 s1, s15, 0
	s_waitcnt vmcnt(0) lgkmcnt(0)
	v_mov_b32_e32 v3, s1
	v_add_co_u32_e32 v2, vcc, s0, v0
	v_addc_co_u32_e32 v3, vcc, 0, v3, vcc
	flat_store_byte v[2:3], v1
.LBB494_13:
	s_endpgm
.LBB494_14:
	s_lshl_b64 s[0:1], s[8:9], 3
	s_add_u32 s0, s16, s0
	s_addc_u32 s1, s17, s1
	v_lshlrev_b32_e32 v1, 3, v0
	v_mov_b32_e32 v3, s1
	v_add_co_u32_e64 v2, s[0:1], s0, v1
	v_addc_co_u32_e64 v3, s[0:1], 0, v3, s[0:1]
	flat_load_dwordx2 v[2:3], v[2:3]
	s_or_b64 exec, exec, s[4:5]
                                        ; implicit-def: $vgpr1
	s_and_saveexec_b64 s[4:5], vcc
	s_cbranch_execz .LBB494_11
.LBB494_15:
	s_mov_b64 s[6:7], 0
	s_cmp_eq_u64 s[10:11], 0
	v_pk_mov_b32 v[4:5], 0, 0
	s_cbranch_scc1 .LBB494_19
; %bb.16:
	v_pk_mov_b32 v[4:5], 0, 0
	v_pk_mov_b32 v[6:7], s[10:11], s[10:11] op_sel:[0,1]
	v_mov_b32_e32 v1, s3
.LBB494_17:                             ; =>This Inner Loop Header: Depth=1
	v_sub_co_u32_e64 v8, s[0:1], v6, v4
	v_subb_co_u32_e64 v9, s[0:1], v7, v5, s[0:1]
	v_lshrrev_b64 v[10:11], 1, v[8:9]
	v_add_co_u32_e64 v10, s[0:1], v10, v4
	v_lshrrev_b64 v[8:9], 6, v[8:9]
	v_addc_co_u32_e64 v11, s[0:1], v11, v5, s[0:1]
	v_add_co_u32_e64 v8, s[0:1], v10, v8
	v_addc_co_u32_e64 v9, s[0:1], v11, v9, s[0:1]
	v_lshlrev_b64 v[10:11], 3, v[8:9]
	v_add_co_u32_e64 v10, s[0:1], s2, v10
	v_addc_co_u32_e64 v11, s[0:1], v1, v11, s[0:1]
	global_load_dwordx2 v[10:11], v[10:11], off
	v_add_co_u32_e64 v12, s[0:1], 1, v8
	v_addc_co_u32_e64 v13, s[0:1], 0, v9, s[0:1]
	s_waitcnt vmcnt(0) lgkmcnt(0)
	v_cmp_lt_i64_e64 s[0:1], v[10:11], v[2:3]
	v_cndmask_b32_e64 v7, v9, v7, s[0:1]
	v_cndmask_b32_e64 v6, v8, v6, s[0:1]
	;; [unrolled: 1-line block ×4, first 2 shown]
	v_cmp_ge_u64_e64 s[0:1], v[4:5], v[6:7]
	s_or_b64 s[6:7], s[0:1], s[6:7]
	s_andn2_b64 exec, exec, s[6:7]
	s_cbranch_execnz .LBB494_17
; %bb.18:
	s_or_b64 exec, exec, s[6:7]
.LBB494_19:
	v_cmp_ne_u64_e64 s[0:1], s[10:11], v[4:5]
	s_mov_b64 s[10:11], 0
	s_and_saveexec_b64 s[6:7], s[0:1]
	s_cbranch_execz .LBB494_21
; %bb.20:
	v_lshlrev_b64 v[4:5], 3, v[4:5]
	v_mov_b32_e32 v1, s3
	v_add_co_u32_e64 v4, s[0:1], s2, v4
	v_addc_co_u32_e64 v5, s[0:1], v1, v5, s[0:1]
	global_load_dwordx2 v[4:5], v[4:5], off
	s_waitcnt vmcnt(0) lgkmcnt(0)
	v_cmp_le_i64_e64 s[0:1], v[4:5], v[2:3]
	s_and_b64 s[10:11], s[0:1], exec
.LBB494_21:
	s_or_b64 exec, exec, s[6:7]
	v_cndmask_b32_e64 v1, 0, 1, s[10:11]
	s_or_b64 exec, exec, s[4:5]
	s_and_saveexec_b64 s[0:1], vcc
	s_cbranch_execnz .LBB494_12
	s_branch .LBB494_13
	.section	.rodata,"a",@progbits
	.p2align	6, 0x0
	.amdhsa_kernel _ZN7rocprim17ROCPRIM_400000_NS6detail17trampoline_kernelINS0_14default_configENS1_29binary_search_config_selectorIxbEEZNS1_14transform_implILb0ES3_S5_N6thrust23THRUST_200600_302600_NS6detail15normal_iteratorINS8_10device_ptrIxEEEENSA_INSB_IbEEEEZNS1_13binary_searchIS3_S5_SD_SD_SF_NS1_16binary_search_opENS9_16wrapped_functionINS0_4lessIvEEbEEEE10hipError_tPvRmT1_T2_T3_mmT4_T5_P12ihipStream_tbEUlRKxE_EESM_SQ_SR_mSS_SV_bEUlT_E_NS1_11comp_targetILNS1_3genE4ELNS1_11target_archE910ELNS1_3gpuE8ELNS1_3repE0EEENS1_30default_config_static_selectorELNS0_4arch9wavefront6targetE1EEEvSP_
		.amdhsa_group_segment_fixed_size 0
		.amdhsa_private_segment_fixed_size 0
		.amdhsa_kernarg_size 312
		.amdhsa_user_sgpr_count 6
		.amdhsa_user_sgpr_private_segment_buffer 1
		.amdhsa_user_sgpr_dispatch_ptr 0
		.amdhsa_user_sgpr_queue_ptr 0
		.amdhsa_user_sgpr_kernarg_segment_ptr 1
		.amdhsa_user_sgpr_dispatch_id 0
		.amdhsa_user_sgpr_flat_scratch_init 0
		.amdhsa_user_sgpr_kernarg_preload_length 0
		.amdhsa_user_sgpr_kernarg_preload_offset 0
		.amdhsa_user_sgpr_private_segment_size 0
		.amdhsa_uses_dynamic_stack 0
		.amdhsa_system_sgpr_private_segment_wavefront_offset 0
		.amdhsa_system_sgpr_workgroup_id_x 1
		.amdhsa_system_sgpr_workgroup_id_y 0
		.amdhsa_system_sgpr_workgroup_id_z 0
		.amdhsa_system_sgpr_workgroup_info 0
		.amdhsa_system_vgpr_workitem_id 0
		.amdhsa_next_free_vgpr 14
		.amdhsa_next_free_sgpr 18
		.amdhsa_accum_offset 16
		.amdhsa_reserve_vcc 1
		.amdhsa_reserve_flat_scratch 0
		.amdhsa_float_round_mode_32 0
		.amdhsa_float_round_mode_16_64 0
		.amdhsa_float_denorm_mode_32 3
		.amdhsa_float_denorm_mode_16_64 3
		.amdhsa_dx10_clamp 1
		.amdhsa_ieee_mode 1
		.amdhsa_fp16_overflow 0
		.amdhsa_tg_split 0
		.amdhsa_exception_fp_ieee_invalid_op 0
		.amdhsa_exception_fp_denorm_src 0
		.amdhsa_exception_fp_ieee_div_zero 0
		.amdhsa_exception_fp_ieee_overflow 0
		.amdhsa_exception_fp_ieee_underflow 0
		.amdhsa_exception_fp_ieee_inexact 0
		.amdhsa_exception_int_div_zero 0
	.end_amdhsa_kernel
	.section	.text._ZN7rocprim17ROCPRIM_400000_NS6detail17trampoline_kernelINS0_14default_configENS1_29binary_search_config_selectorIxbEEZNS1_14transform_implILb0ES3_S5_N6thrust23THRUST_200600_302600_NS6detail15normal_iteratorINS8_10device_ptrIxEEEENSA_INSB_IbEEEEZNS1_13binary_searchIS3_S5_SD_SD_SF_NS1_16binary_search_opENS9_16wrapped_functionINS0_4lessIvEEbEEEE10hipError_tPvRmT1_T2_T3_mmT4_T5_P12ihipStream_tbEUlRKxE_EESM_SQ_SR_mSS_SV_bEUlT_E_NS1_11comp_targetILNS1_3genE4ELNS1_11target_archE910ELNS1_3gpuE8ELNS1_3repE0EEENS1_30default_config_static_selectorELNS0_4arch9wavefront6targetE1EEEvSP_,"axG",@progbits,_ZN7rocprim17ROCPRIM_400000_NS6detail17trampoline_kernelINS0_14default_configENS1_29binary_search_config_selectorIxbEEZNS1_14transform_implILb0ES3_S5_N6thrust23THRUST_200600_302600_NS6detail15normal_iteratorINS8_10device_ptrIxEEEENSA_INSB_IbEEEEZNS1_13binary_searchIS3_S5_SD_SD_SF_NS1_16binary_search_opENS9_16wrapped_functionINS0_4lessIvEEbEEEE10hipError_tPvRmT1_T2_T3_mmT4_T5_P12ihipStream_tbEUlRKxE_EESM_SQ_SR_mSS_SV_bEUlT_E_NS1_11comp_targetILNS1_3genE4ELNS1_11target_archE910ELNS1_3gpuE8ELNS1_3repE0EEENS1_30default_config_static_selectorELNS0_4arch9wavefront6targetE1EEEvSP_,comdat
.Lfunc_end494:
	.size	_ZN7rocprim17ROCPRIM_400000_NS6detail17trampoline_kernelINS0_14default_configENS1_29binary_search_config_selectorIxbEEZNS1_14transform_implILb0ES3_S5_N6thrust23THRUST_200600_302600_NS6detail15normal_iteratorINS8_10device_ptrIxEEEENSA_INSB_IbEEEEZNS1_13binary_searchIS3_S5_SD_SD_SF_NS1_16binary_search_opENS9_16wrapped_functionINS0_4lessIvEEbEEEE10hipError_tPvRmT1_T2_T3_mmT4_T5_P12ihipStream_tbEUlRKxE_EESM_SQ_SR_mSS_SV_bEUlT_E_NS1_11comp_targetILNS1_3genE4ELNS1_11target_archE910ELNS1_3gpuE8ELNS1_3repE0EEENS1_30default_config_static_selectorELNS0_4arch9wavefront6targetE1EEEvSP_, .Lfunc_end494-_ZN7rocprim17ROCPRIM_400000_NS6detail17trampoline_kernelINS0_14default_configENS1_29binary_search_config_selectorIxbEEZNS1_14transform_implILb0ES3_S5_N6thrust23THRUST_200600_302600_NS6detail15normal_iteratorINS8_10device_ptrIxEEEENSA_INSB_IbEEEEZNS1_13binary_searchIS3_S5_SD_SD_SF_NS1_16binary_search_opENS9_16wrapped_functionINS0_4lessIvEEbEEEE10hipError_tPvRmT1_T2_T3_mmT4_T5_P12ihipStream_tbEUlRKxE_EESM_SQ_SR_mSS_SV_bEUlT_E_NS1_11comp_targetILNS1_3genE4ELNS1_11target_archE910ELNS1_3gpuE8ELNS1_3repE0EEENS1_30default_config_static_selectorELNS0_4arch9wavefront6targetE1EEEvSP_
                                        ; -- End function
	.section	.AMDGPU.csdata,"",@progbits
; Kernel info:
; codeLenInByte = 848
; NumSgprs: 22
; NumVgprs: 14
; NumAgprs: 0
; TotalNumVgprs: 14
; ScratchSize: 0
; MemoryBound: 0
; FloatMode: 240
; IeeeMode: 1
; LDSByteSize: 0 bytes/workgroup (compile time only)
; SGPRBlocks: 2
; VGPRBlocks: 1
; NumSGPRsForWavesPerEU: 22
; NumVGPRsForWavesPerEU: 14
; AccumOffset: 16
; Occupancy: 8
; WaveLimiterHint : 0
; COMPUTE_PGM_RSRC2:SCRATCH_EN: 0
; COMPUTE_PGM_RSRC2:USER_SGPR: 6
; COMPUTE_PGM_RSRC2:TRAP_HANDLER: 0
; COMPUTE_PGM_RSRC2:TGID_X_EN: 1
; COMPUTE_PGM_RSRC2:TGID_Y_EN: 0
; COMPUTE_PGM_RSRC2:TGID_Z_EN: 0
; COMPUTE_PGM_RSRC2:TIDIG_COMP_CNT: 0
; COMPUTE_PGM_RSRC3_GFX90A:ACCUM_OFFSET: 3
; COMPUTE_PGM_RSRC3_GFX90A:TG_SPLIT: 0
	.section	.text._ZN7rocprim17ROCPRIM_400000_NS6detail17trampoline_kernelINS0_14default_configENS1_29binary_search_config_selectorIxbEEZNS1_14transform_implILb0ES3_S5_N6thrust23THRUST_200600_302600_NS6detail15normal_iteratorINS8_10device_ptrIxEEEENSA_INSB_IbEEEEZNS1_13binary_searchIS3_S5_SD_SD_SF_NS1_16binary_search_opENS9_16wrapped_functionINS0_4lessIvEEbEEEE10hipError_tPvRmT1_T2_T3_mmT4_T5_P12ihipStream_tbEUlRKxE_EESM_SQ_SR_mSS_SV_bEUlT_E_NS1_11comp_targetILNS1_3genE3ELNS1_11target_archE908ELNS1_3gpuE7ELNS1_3repE0EEENS1_30default_config_static_selectorELNS0_4arch9wavefront6targetE1EEEvSP_,"axG",@progbits,_ZN7rocprim17ROCPRIM_400000_NS6detail17trampoline_kernelINS0_14default_configENS1_29binary_search_config_selectorIxbEEZNS1_14transform_implILb0ES3_S5_N6thrust23THRUST_200600_302600_NS6detail15normal_iteratorINS8_10device_ptrIxEEEENSA_INSB_IbEEEEZNS1_13binary_searchIS3_S5_SD_SD_SF_NS1_16binary_search_opENS9_16wrapped_functionINS0_4lessIvEEbEEEE10hipError_tPvRmT1_T2_T3_mmT4_T5_P12ihipStream_tbEUlRKxE_EESM_SQ_SR_mSS_SV_bEUlT_E_NS1_11comp_targetILNS1_3genE3ELNS1_11target_archE908ELNS1_3gpuE7ELNS1_3repE0EEENS1_30default_config_static_selectorELNS0_4arch9wavefront6targetE1EEEvSP_,comdat
	.protected	_ZN7rocprim17ROCPRIM_400000_NS6detail17trampoline_kernelINS0_14default_configENS1_29binary_search_config_selectorIxbEEZNS1_14transform_implILb0ES3_S5_N6thrust23THRUST_200600_302600_NS6detail15normal_iteratorINS8_10device_ptrIxEEEENSA_INSB_IbEEEEZNS1_13binary_searchIS3_S5_SD_SD_SF_NS1_16binary_search_opENS9_16wrapped_functionINS0_4lessIvEEbEEEE10hipError_tPvRmT1_T2_T3_mmT4_T5_P12ihipStream_tbEUlRKxE_EESM_SQ_SR_mSS_SV_bEUlT_E_NS1_11comp_targetILNS1_3genE3ELNS1_11target_archE908ELNS1_3gpuE7ELNS1_3repE0EEENS1_30default_config_static_selectorELNS0_4arch9wavefront6targetE1EEEvSP_ ; -- Begin function _ZN7rocprim17ROCPRIM_400000_NS6detail17trampoline_kernelINS0_14default_configENS1_29binary_search_config_selectorIxbEEZNS1_14transform_implILb0ES3_S5_N6thrust23THRUST_200600_302600_NS6detail15normal_iteratorINS8_10device_ptrIxEEEENSA_INSB_IbEEEEZNS1_13binary_searchIS3_S5_SD_SD_SF_NS1_16binary_search_opENS9_16wrapped_functionINS0_4lessIvEEbEEEE10hipError_tPvRmT1_T2_T3_mmT4_T5_P12ihipStream_tbEUlRKxE_EESM_SQ_SR_mSS_SV_bEUlT_E_NS1_11comp_targetILNS1_3genE3ELNS1_11target_archE908ELNS1_3gpuE7ELNS1_3repE0EEENS1_30default_config_static_selectorELNS0_4arch9wavefront6targetE1EEEvSP_
	.globl	_ZN7rocprim17ROCPRIM_400000_NS6detail17trampoline_kernelINS0_14default_configENS1_29binary_search_config_selectorIxbEEZNS1_14transform_implILb0ES3_S5_N6thrust23THRUST_200600_302600_NS6detail15normal_iteratorINS8_10device_ptrIxEEEENSA_INSB_IbEEEEZNS1_13binary_searchIS3_S5_SD_SD_SF_NS1_16binary_search_opENS9_16wrapped_functionINS0_4lessIvEEbEEEE10hipError_tPvRmT1_T2_T3_mmT4_T5_P12ihipStream_tbEUlRKxE_EESM_SQ_SR_mSS_SV_bEUlT_E_NS1_11comp_targetILNS1_3genE3ELNS1_11target_archE908ELNS1_3gpuE7ELNS1_3repE0EEENS1_30default_config_static_selectorELNS0_4arch9wavefront6targetE1EEEvSP_
	.p2align	8
	.type	_ZN7rocprim17ROCPRIM_400000_NS6detail17trampoline_kernelINS0_14default_configENS1_29binary_search_config_selectorIxbEEZNS1_14transform_implILb0ES3_S5_N6thrust23THRUST_200600_302600_NS6detail15normal_iteratorINS8_10device_ptrIxEEEENSA_INSB_IbEEEEZNS1_13binary_searchIS3_S5_SD_SD_SF_NS1_16binary_search_opENS9_16wrapped_functionINS0_4lessIvEEbEEEE10hipError_tPvRmT1_T2_T3_mmT4_T5_P12ihipStream_tbEUlRKxE_EESM_SQ_SR_mSS_SV_bEUlT_E_NS1_11comp_targetILNS1_3genE3ELNS1_11target_archE908ELNS1_3gpuE7ELNS1_3repE0EEENS1_30default_config_static_selectorELNS0_4arch9wavefront6targetE1EEEvSP_,@function
_ZN7rocprim17ROCPRIM_400000_NS6detail17trampoline_kernelINS0_14default_configENS1_29binary_search_config_selectorIxbEEZNS1_14transform_implILb0ES3_S5_N6thrust23THRUST_200600_302600_NS6detail15normal_iteratorINS8_10device_ptrIxEEEENSA_INSB_IbEEEEZNS1_13binary_searchIS3_S5_SD_SD_SF_NS1_16binary_search_opENS9_16wrapped_functionINS0_4lessIvEEbEEEE10hipError_tPvRmT1_T2_T3_mmT4_T5_P12ihipStream_tbEUlRKxE_EESM_SQ_SR_mSS_SV_bEUlT_E_NS1_11comp_targetILNS1_3genE3ELNS1_11target_archE908ELNS1_3gpuE7ELNS1_3repE0EEENS1_30default_config_static_selectorELNS0_4arch9wavefront6targetE1EEEvSP_: ; @_ZN7rocprim17ROCPRIM_400000_NS6detail17trampoline_kernelINS0_14default_configENS1_29binary_search_config_selectorIxbEEZNS1_14transform_implILb0ES3_S5_N6thrust23THRUST_200600_302600_NS6detail15normal_iteratorINS8_10device_ptrIxEEEENSA_INSB_IbEEEEZNS1_13binary_searchIS3_S5_SD_SD_SF_NS1_16binary_search_opENS9_16wrapped_functionINS0_4lessIvEEbEEEE10hipError_tPvRmT1_T2_T3_mmT4_T5_P12ihipStream_tbEUlRKxE_EESM_SQ_SR_mSS_SV_bEUlT_E_NS1_11comp_targetILNS1_3genE3ELNS1_11target_archE908ELNS1_3gpuE7ELNS1_3repE0EEENS1_30default_config_static_selectorELNS0_4arch9wavefront6targetE1EEEvSP_
; %bb.0:
	.section	.rodata,"a",@progbits
	.p2align	6, 0x0
	.amdhsa_kernel _ZN7rocprim17ROCPRIM_400000_NS6detail17trampoline_kernelINS0_14default_configENS1_29binary_search_config_selectorIxbEEZNS1_14transform_implILb0ES3_S5_N6thrust23THRUST_200600_302600_NS6detail15normal_iteratorINS8_10device_ptrIxEEEENSA_INSB_IbEEEEZNS1_13binary_searchIS3_S5_SD_SD_SF_NS1_16binary_search_opENS9_16wrapped_functionINS0_4lessIvEEbEEEE10hipError_tPvRmT1_T2_T3_mmT4_T5_P12ihipStream_tbEUlRKxE_EESM_SQ_SR_mSS_SV_bEUlT_E_NS1_11comp_targetILNS1_3genE3ELNS1_11target_archE908ELNS1_3gpuE7ELNS1_3repE0EEENS1_30default_config_static_selectorELNS0_4arch9wavefront6targetE1EEEvSP_
		.amdhsa_group_segment_fixed_size 0
		.amdhsa_private_segment_fixed_size 0
		.amdhsa_kernarg_size 56
		.amdhsa_user_sgpr_count 6
		.amdhsa_user_sgpr_private_segment_buffer 1
		.amdhsa_user_sgpr_dispatch_ptr 0
		.amdhsa_user_sgpr_queue_ptr 0
		.amdhsa_user_sgpr_kernarg_segment_ptr 1
		.amdhsa_user_sgpr_dispatch_id 0
		.amdhsa_user_sgpr_flat_scratch_init 0
		.amdhsa_user_sgpr_kernarg_preload_length 0
		.amdhsa_user_sgpr_kernarg_preload_offset 0
		.amdhsa_user_sgpr_private_segment_size 0
		.amdhsa_uses_dynamic_stack 0
		.amdhsa_system_sgpr_private_segment_wavefront_offset 0
		.amdhsa_system_sgpr_workgroup_id_x 1
		.amdhsa_system_sgpr_workgroup_id_y 0
		.amdhsa_system_sgpr_workgroup_id_z 0
		.amdhsa_system_sgpr_workgroup_info 0
		.amdhsa_system_vgpr_workitem_id 0
		.amdhsa_next_free_vgpr 1
		.amdhsa_next_free_sgpr 0
		.amdhsa_accum_offset 4
		.amdhsa_reserve_vcc 0
		.amdhsa_reserve_flat_scratch 0
		.amdhsa_float_round_mode_32 0
		.amdhsa_float_round_mode_16_64 0
		.amdhsa_float_denorm_mode_32 3
		.amdhsa_float_denorm_mode_16_64 3
		.amdhsa_dx10_clamp 1
		.amdhsa_ieee_mode 1
		.amdhsa_fp16_overflow 0
		.amdhsa_tg_split 0
		.amdhsa_exception_fp_ieee_invalid_op 0
		.amdhsa_exception_fp_denorm_src 0
		.amdhsa_exception_fp_ieee_div_zero 0
		.amdhsa_exception_fp_ieee_overflow 0
		.amdhsa_exception_fp_ieee_underflow 0
		.amdhsa_exception_fp_ieee_inexact 0
		.amdhsa_exception_int_div_zero 0
	.end_amdhsa_kernel
	.section	.text._ZN7rocprim17ROCPRIM_400000_NS6detail17trampoline_kernelINS0_14default_configENS1_29binary_search_config_selectorIxbEEZNS1_14transform_implILb0ES3_S5_N6thrust23THRUST_200600_302600_NS6detail15normal_iteratorINS8_10device_ptrIxEEEENSA_INSB_IbEEEEZNS1_13binary_searchIS3_S5_SD_SD_SF_NS1_16binary_search_opENS9_16wrapped_functionINS0_4lessIvEEbEEEE10hipError_tPvRmT1_T2_T3_mmT4_T5_P12ihipStream_tbEUlRKxE_EESM_SQ_SR_mSS_SV_bEUlT_E_NS1_11comp_targetILNS1_3genE3ELNS1_11target_archE908ELNS1_3gpuE7ELNS1_3repE0EEENS1_30default_config_static_selectorELNS0_4arch9wavefront6targetE1EEEvSP_,"axG",@progbits,_ZN7rocprim17ROCPRIM_400000_NS6detail17trampoline_kernelINS0_14default_configENS1_29binary_search_config_selectorIxbEEZNS1_14transform_implILb0ES3_S5_N6thrust23THRUST_200600_302600_NS6detail15normal_iteratorINS8_10device_ptrIxEEEENSA_INSB_IbEEEEZNS1_13binary_searchIS3_S5_SD_SD_SF_NS1_16binary_search_opENS9_16wrapped_functionINS0_4lessIvEEbEEEE10hipError_tPvRmT1_T2_T3_mmT4_T5_P12ihipStream_tbEUlRKxE_EESM_SQ_SR_mSS_SV_bEUlT_E_NS1_11comp_targetILNS1_3genE3ELNS1_11target_archE908ELNS1_3gpuE7ELNS1_3repE0EEENS1_30default_config_static_selectorELNS0_4arch9wavefront6targetE1EEEvSP_,comdat
.Lfunc_end495:
	.size	_ZN7rocprim17ROCPRIM_400000_NS6detail17trampoline_kernelINS0_14default_configENS1_29binary_search_config_selectorIxbEEZNS1_14transform_implILb0ES3_S5_N6thrust23THRUST_200600_302600_NS6detail15normal_iteratorINS8_10device_ptrIxEEEENSA_INSB_IbEEEEZNS1_13binary_searchIS3_S5_SD_SD_SF_NS1_16binary_search_opENS9_16wrapped_functionINS0_4lessIvEEbEEEE10hipError_tPvRmT1_T2_T3_mmT4_T5_P12ihipStream_tbEUlRKxE_EESM_SQ_SR_mSS_SV_bEUlT_E_NS1_11comp_targetILNS1_3genE3ELNS1_11target_archE908ELNS1_3gpuE7ELNS1_3repE0EEENS1_30default_config_static_selectorELNS0_4arch9wavefront6targetE1EEEvSP_, .Lfunc_end495-_ZN7rocprim17ROCPRIM_400000_NS6detail17trampoline_kernelINS0_14default_configENS1_29binary_search_config_selectorIxbEEZNS1_14transform_implILb0ES3_S5_N6thrust23THRUST_200600_302600_NS6detail15normal_iteratorINS8_10device_ptrIxEEEENSA_INSB_IbEEEEZNS1_13binary_searchIS3_S5_SD_SD_SF_NS1_16binary_search_opENS9_16wrapped_functionINS0_4lessIvEEbEEEE10hipError_tPvRmT1_T2_T3_mmT4_T5_P12ihipStream_tbEUlRKxE_EESM_SQ_SR_mSS_SV_bEUlT_E_NS1_11comp_targetILNS1_3genE3ELNS1_11target_archE908ELNS1_3gpuE7ELNS1_3repE0EEENS1_30default_config_static_selectorELNS0_4arch9wavefront6targetE1EEEvSP_
                                        ; -- End function
	.section	.AMDGPU.csdata,"",@progbits
; Kernel info:
; codeLenInByte = 0
; NumSgprs: 4
; NumVgprs: 0
; NumAgprs: 0
; TotalNumVgprs: 0
; ScratchSize: 0
; MemoryBound: 0
; FloatMode: 240
; IeeeMode: 1
; LDSByteSize: 0 bytes/workgroup (compile time only)
; SGPRBlocks: 0
; VGPRBlocks: 0
; NumSGPRsForWavesPerEU: 4
; NumVGPRsForWavesPerEU: 1
; AccumOffset: 4
; Occupancy: 8
; WaveLimiterHint : 0
; COMPUTE_PGM_RSRC2:SCRATCH_EN: 0
; COMPUTE_PGM_RSRC2:USER_SGPR: 6
; COMPUTE_PGM_RSRC2:TRAP_HANDLER: 0
; COMPUTE_PGM_RSRC2:TGID_X_EN: 1
; COMPUTE_PGM_RSRC2:TGID_Y_EN: 0
; COMPUTE_PGM_RSRC2:TGID_Z_EN: 0
; COMPUTE_PGM_RSRC2:TIDIG_COMP_CNT: 0
; COMPUTE_PGM_RSRC3_GFX90A:ACCUM_OFFSET: 0
; COMPUTE_PGM_RSRC3_GFX90A:TG_SPLIT: 0
	.section	.text._ZN7rocprim17ROCPRIM_400000_NS6detail17trampoline_kernelINS0_14default_configENS1_29binary_search_config_selectorIxbEEZNS1_14transform_implILb0ES3_S5_N6thrust23THRUST_200600_302600_NS6detail15normal_iteratorINS8_10device_ptrIxEEEENSA_INSB_IbEEEEZNS1_13binary_searchIS3_S5_SD_SD_SF_NS1_16binary_search_opENS9_16wrapped_functionINS0_4lessIvEEbEEEE10hipError_tPvRmT1_T2_T3_mmT4_T5_P12ihipStream_tbEUlRKxE_EESM_SQ_SR_mSS_SV_bEUlT_E_NS1_11comp_targetILNS1_3genE2ELNS1_11target_archE906ELNS1_3gpuE6ELNS1_3repE0EEENS1_30default_config_static_selectorELNS0_4arch9wavefront6targetE1EEEvSP_,"axG",@progbits,_ZN7rocprim17ROCPRIM_400000_NS6detail17trampoline_kernelINS0_14default_configENS1_29binary_search_config_selectorIxbEEZNS1_14transform_implILb0ES3_S5_N6thrust23THRUST_200600_302600_NS6detail15normal_iteratorINS8_10device_ptrIxEEEENSA_INSB_IbEEEEZNS1_13binary_searchIS3_S5_SD_SD_SF_NS1_16binary_search_opENS9_16wrapped_functionINS0_4lessIvEEbEEEE10hipError_tPvRmT1_T2_T3_mmT4_T5_P12ihipStream_tbEUlRKxE_EESM_SQ_SR_mSS_SV_bEUlT_E_NS1_11comp_targetILNS1_3genE2ELNS1_11target_archE906ELNS1_3gpuE6ELNS1_3repE0EEENS1_30default_config_static_selectorELNS0_4arch9wavefront6targetE1EEEvSP_,comdat
	.protected	_ZN7rocprim17ROCPRIM_400000_NS6detail17trampoline_kernelINS0_14default_configENS1_29binary_search_config_selectorIxbEEZNS1_14transform_implILb0ES3_S5_N6thrust23THRUST_200600_302600_NS6detail15normal_iteratorINS8_10device_ptrIxEEEENSA_INSB_IbEEEEZNS1_13binary_searchIS3_S5_SD_SD_SF_NS1_16binary_search_opENS9_16wrapped_functionINS0_4lessIvEEbEEEE10hipError_tPvRmT1_T2_T3_mmT4_T5_P12ihipStream_tbEUlRKxE_EESM_SQ_SR_mSS_SV_bEUlT_E_NS1_11comp_targetILNS1_3genE2ELNS1_11target_archE906ELNS1_3gpuE6ELNS1_3repE0EEENS1_30default_config_static_selectorELNS0_4arch9wavefront6targetE1EEEvSP_ ; -- Begin function _ZN7rocprim17ROCPRIM_400000_NS6detail17trampoline_kernelINS0_14default_configENS1_29binary_search_config_selectorIxbEEZNS1_14transform_implILb0ES3_S5_N6thrust23THRUST_200600_302600_NS6detail15normal_iteratorINS8_10device_ptrIxEEEENSA_INSB_IbEEEEZNS1_13binary_searchIS3_S5_SD_SD_SF_NS1_16binary_search_opENS9_16wrapped_functionINS0_4lessIvEEbEEEE10hipError_tPvRmT1_T2_T3_mmT4_T5_P12ihipStream_tbEUlRKxE_EESM_SQ_SR_mSS_SV_bEUlT_E_NS1_11comp_targetILNS1_3genE2ELNS1_11target_archE906ELNS1_3gpuE6ELNS1_3repE0EEENS1_30default_config_static_selectorELNS0_4arch9wavefront6targetE1EEEvSP_
	.globl	_ZN7rocprim17ROCPRIM_400000_NS6detail17trampoline_kernelINS0_14default_configENS1_29binary_search_config_selectorIxbEEZNS1_14transform_implILb0ES3_S5_N6thrust23THRUST_200600_302600_NS6detail15normal_iteratorINS8_10device_ptrIxEEEENSA_INSB_IbEEEEZNS1_13binary_searchIS3_S5_SD_SD_SF_NS1_16binary_search_opENS9_16wrapped_functionINS0_4lessIvEEbEEEE10hipError_tPvRmT1_T2_T3_mmT4_T5_P12ihipStream_tbEUlRKxE_EESM_SQ_SR_mSS_SV_bEUlT_E_NS1_11comp_targetILNS1_3genE2ELNS1_11target_archE906ELNS1_3gpuE6ELNS1_3repE0EEENS1_30default_config_static_selectorELNS0_4arch9wavefront6targetE1EEEvSP_
	.p2align	8
	.type	_ZN7rocprim17ROCPRIM_400000_NS6detail17trampoline_kernelINS0_14default_configENS1_29binary_search_config_selectorIxbEEZNS1_14transform_implILb0ES3_S5_N6thrust23THRUST_200600_302600_NS6detail15normal_iteratorINS8_10device_ptrIxEEEENSA_INSB_IbEEEEZNS1_13binary_searchIS3_S5_SD_SD_SF_NS1_16binary_search_opENS9_16wrapped_functionINS0_4lessIvEEbEEEE10hipError_tPvRmT1_T2_T3_mmT4_T5_P12ihipStream_tbEUlRKxE_EESM_SQ_SR_mSS_SV_bEUlT_E_NS1_11comp_targetILNS1_3genE2ELNS1_11target_archE906ELNS1_3gpuE6ELNS1_3repE0EEENS1_30default_config_static_selectorELNS0_4arch9wavefront6targetE1EEEvSP_,@function
_ZN7rocprim17ROCPRIM_400000_NS6detail17trampoline_kernelINS0_14default_configENS1_29binary_search_config_selectorIxbEEZNS1_14transform_implILb0ES3_S5_N6thrust23THRUST_200600_302600_NS6detail15normal_iteratorINS8_10device_ptrIxEEEENSA_INSB_IbEEEEZNS1_13binary_searchIS3_S5_SD_SD_SF_NS1_16binary_search_opENS9_16wrapped_functionINS0_4lessIvEEbEEEE10hipError_tPvRmT1_T2_T3_mmT4_T5_P12ihipStream_tbEUlRKxE_EESM_SQ_SR_mSS_SV_bEUlT_E_NS1_11comp_targetILNS1_3genE2ELNS1_11target_archE906ELNS1_3gpuE6ELNS1_3repE0EEENS1_30default_config_static_selectorELNS0_4arch9wavefront6targetE1EEEvSP_: ; @_ZN7rocprim17ROCPRIM_400000_NS6detail17trampoline_kernelINS0_14default_configENS1_29binary_search_config_selectorIxbEEZNS1_14transform_implILb0ES3_S5_N6thrust23THRUST_200600_302600_NS6detail15normal_iteratorINS8_10device_ptrIxEEEENSA_INSB_IbEEEEZNS1_13binary_searchIS3_S5_SD_SD_SF_NS1_16binary_search_opENS9_16wrapped_functionINS0_4lessIvEEbEEEE10hipError_tPvRmT1_T2_T3_mmT4_T5_P12ihipStream_tbEUlRKxE_EESM_SQ_SR_mSS_SV_bEUlT_E_NS1_11comp_targetILNS1_3genE2ELNS1_11target_archE906ELNS1_3gpuE6ELNS1_3repE0EEENS1_30default_config_static_selectorELNS0_4arch9wavefront6targetE1EEEvSP_
; %bb.0:
	.section	.rodata,"a",@progbits
	.p2align	6, 0x0
	.amdhsa_kernel _ZN7rocprim17ROCPRIM_400000_NS6detail17trampoline_kernelINS0_14default_configENS1_29binary_search_config_selectorIxbEEZNS1_14transform_implILb0ES3_S5_N6thrust23THRUST_200600_302600_NS6detail15normal_iteratorINS8_10device_ptrIxEEEENSA_INSB_IbEEEEZNS1_13binary_searchIS3_S5_SD_SD_SF_NS1_16binary_search_opENS9_16wrapped_functionINS0_4lessIvEEbEEEE10hipError_tPvRmT1_T2_T3_mmT4_T5_P12ihipStream_tbEUlRKxE_EESM_SQ_SR_mSS_SV_bEUlT_E_NS1_11comp_targetILNS1_3genE2ELNS1_11target_archE906ELNS1_3gpuE6ELNS1_3repE0EEENS1_30default_config_static_selectorELNS0_4arch9wavefront6targetE1EEEvSP_
		.amdhsa_group_segment_fixed_size 0
		.amdhsa_private_segment_fixed_size 0
		.amdhsa_kernarg_size 56
		.amdhsa_user_sgpr_count 6
		.amdhsa_user_sgpr_private_segment_buffer 1
		.amdhsa_user_sgpr_dispatch_ptr 0
		.amdhsa_user_sgpr_queue_ptr 0
		.amdhsa_user_sgpr_kernarg_segment_ptr 1
		.amdhsa_user_sgpr_dispatch_id 0
		.amdhsa_user_sgpr_flat_scratch_init 0
		.amdhsa_user_sgpr_kernarg_preload_length 0
		.amdhsa_user_sgpr_kernarg_preload_offset 0
		.amdhsa_user_sgpr_private_segment_size 0
		.amdhsa_uses_dynamic_stack 0
		.amdhsa_system_sgpr_private_segment_wavefront_offset 0
		.amdhsa_system_sgpr_workgroup_id_x 1
		.amdhsa_system_sgpr_workgroup_id_y 0
		.amdhsa_system_sgpr_workgroup_id_z 0
		.amdhsa_system_sgpr_workgroup_info 0
		.amdhsa_system_vgpr_workitem_id 0
		.amdhsa_next_free_vgpr 1
		.amdhsa_next_free_sgpr 0
		.amdhsa_accum_offset 4
		.amdhsa_reserve_vcc 0
		.amdhsa_reserve_flat_scratch 0
		.amdhsa_float_round_mode_32 0
		.amdhsa_float_round_mode_16_64 0
		.amdhsa_float_denorm_mode_32 3
		.amdhsa_float_denorm_mode_16_64 3
		.amdhsa_dx10_clamp 1
		.amdhsa_ieee_mode 1
		.amdhsa_fp16_overflow 0
		.amdhsa_tg_split 0
		.amdhsa_exception_fp_ieee_invalid_op 0
		.amdhsa_exception_fp_denorm_src 0
		.amdhsa_exception_fp_ieee_div_zero 0
		.amdhsa_exception_fp_ieee_overflow 0
		.amdhsa_exception_fp_ieee_underflow 0
		.amdhsa_exception_fp_ieee_inexact 0
		.amdhsa_exception_int_div_zero 0
	.end_amdhsa_kernel
	.section	.text._ZN7rocprim17ROCPRIM_400000_NS6detail17trampoline_kernelINS0_14default_configENS1_29binary_search_config_selectorIxbEEZNS1_14transform_implILb0ES3_S5_N6thrust23THRUST_200600_302600_NS6detail15normal_iteratorINS8_10device_ptrIxEEEENSA_INSB_IbEEEEZNS1_13binary_searchIS3_S5_SD_SD_SF_NS1_16binary_search_opENS9_16wrapped_functionINS0_4lessIvEEbEEEE10hipError_tPvRmT1_T2_T3_mmT4_T5_P12ihipStream_tbEUlRKxE_EESM_SQ_SR_mSS_SV_bEUlT_E_NS1_11comp_targetILNS1_3genE2ELNS1_11target_archE906ELNS1_3gpuE6ELNS1_3repE0EEENS1_30default_config_static_selectorELNS0_4arch9wavefront6targetE1EEEvSP_,"axG",@progbits,_ZN7rocprim17ROCPRIM_400000_NS6detail17trampoline_kernelINS0_14default_configENS1_29binary_search_config_selectorIxbEEZNS1_14transform_implILb0ES3_S5_N6thrust23THRUST_200600_302600_NS6detail15normal_iteratorINS8_10device_ptrIxEEEENSA_INSB_IbEEEEZNS1_13binary_searchIS3_S5_SD_SD_SF_NS1_16binary_search_opENS9_16wrapped_functionINS0_4lessIvEEbEEEE10hipError_tPvRmT1_T2_T3_mmT4_T5_P12ihipStream_tbEUlRKxE_EESM_SQ_SR_mSS_SV_bEUlT_E_NS1_11comp_targetILNS1_3genE2ELNS1_11target_archE906ELNS1_3gpuE6ELNS1_3repE0EEENS1_30default_config_static_selectorELNS0_4arch9wavefront6targetE1EEEvSP_,comdat
.Lfunc_end496:
	.size	_ZN7rocprim17ROCPRIM_400000_NS6detail17trampoline_kernelINS0_14default_configENS1_29binary_search_config_selectorIxbEEZNS1_14transform_implILb0ES3_S5_N6thrust23THRUST_200600_302600_NS6detail15normal_iteratorINS8_10device_ptrIxEEEENSA_INSB_IbEEEEZNS1_13binary_searchIS3_S5_SD_SD_SF_NS1_16binary_search_opENS9_16wrapped_functionINS0_4lessIvEEbEEEE10hipError_tPvRmT1_T2_T3_mmT4_T5_P12ihipStream_tbEUlRKxE_EESM_SQ_SR_mSS_SV_bEUlT_E_NS1_11comp_targetILNS1_3genE2ELNS1_11target_archE906ELNS1_3gpuE6ELNS1_3repE0EEENS1_30default_config_static_selectorELNS0_4arch9wavefront6targetE1EEEvSP_, .Lfunc_end496-_ZN7rocprim17ROCPRIM_400000_NS6detail17trampoline_kernelINS0_14default_configENS1_29binary_search_config_selectorIxbEEZNS1_14transform_implILb0ES3_S5_N6thrust23THRUST_200600_302600_NS6detail15normal_iteratorINS8_10device_ptrIxEEEENSA_INSB_IbEEEEZNS1_13binary_searchIS3_S5_SD_SD_SF_NS1_16binary_search_opENS9_16wrapped_functionINS0_4lessIvEEbEEEE10hipError_tPvRmT1_T2_T3_mmT4_T5_P12ihipStream_tbEUlRKxE_EESM_SQ_SR_mSS_SV_bEUlT_E_NS1_11comp_targetILNS1_3genE2ELNS1_11target_archE906ELNS1_3gpuE6ELNS1_3repE0EEENS1_30default_config_static_selectorELNS0_4arch9wavefront6targetE1EEEvSP_
                                        ; -- End function
	.section	.AMDGPU.csdata,"",@progbits
; Kernel info:
; codeLenInByte = 0
; NumSgprs: 4
; NumVgprs: 0
; NumAgprs: 0
; TotalNumVgprs: 0
; ScratchSize: 0
; MemoryBound: 0
; FloatMode: 240
; IeeeMode: 1
; LDSByteSize: 0 bytes/workgroup (compile time only)
; SGPRBlocks: 0
; VGPRBlocks: 0
; NumSGPRsForWavesPerEU: 4
; NumVGPRsForWavesPerEU: 1
; AccumOffset: 4
; Occupancy: 8
; WaveLimiterHint : 0
; COMPUTE_PGM_RSRC2:SCRATCH_EN: 0
; COMPUTE_PGM_RSRC2:USER_SGPR: 6
; COMPUTE_PGM_RSRC2:TRAP_HANDLER: 0
; COMPUTE_PGM_RSRC2:TGID_X_EN: 1
; COMPUTE_PGM_RSRC2:TGID_Y_EN: 0
; COMPUTE_PGM_RSRC2:TGID_Z_EN: 0
; COMPUTE_PGM_RSRC2:TIDIG_COMP_CNT: 0
; COMPUTE_PGM_RSRC3_GFX90A:ACCUM_OFFSET: 0
; COMPUTE_PGM_RSRC3_GFX90A:TG_SPLIT: 0
	.section	.text._ZN7rocprim17ROCPRIM_400000_NS6detail17trampoline_kernelINS0_14default_configENS1_29binary_search_config_selectorIxbEEZNS1_14transform_implILb0ES3_S5_N6thrust23THRUST_200600_302600_NS6detail15normal_iteratorINS8_10device_ptrIxEEEENSA_INSB_IbEEEEZNS1_13binary_searchIS3_S5_SD_SD_SF_NS1_16binary_search_opENS9_16wrapped_functionINS0_4lessIvEEbEEEE10hipError_tPvRmT1_T2_T3_mmT4_T5_P12ihipStream_tbEUlRKxE_EESM_SQ_SR_mSS_SV_bEUlT_E_NS1_11comp_targetILNS1_3genE10ELNS1_11target_archE1201ELNS1_3gpuE5ELNS1_3repE0EEENS1_30default_config_static_selectorELNS0_4arch9wavefront6targetE1EEEvSP_,"axG",@progbits,_ZN7rocprim17ROCPRIM_400000_NS6detail17trampoline_kernelINS0_14default_configENS1_29binary_search_config_selectorIxbEEZNS1_14transform_implILb0ES3_S5_N6thrust23THRUST_200600_302600_NS6detail15normal_iteratorINS8_10device_ptrIxEEEENSA_INSB_IbEEEEZNS1_13binary_searchIS3_S5_SD_SD_SF_NS1_16binary_search_opENS9_16wrapped_functionINS0_4lessIvEEbEEEE10hipError_tPvRmT1_T2_T3_mmT4_T5_P12ihipStream_tbEUlRKxE_EESM_SQ_SR_mSS_SV_bEUlT_E_NS1_11comp_targetILNS1_3genE10ELNS1_11target_archE1201ELNS1_3gpuE5ELNS1_3repE0EEENS1_30default_config_static_selectorELNS0_4arch9wavefront6targetE1EEEvSP_,comdat
	.protected	_ZN7rocprim17ROCPRIM_400000_NS6detail17trampoline_kernelINS0_14default_configENS1_29binary_search_config_selectorIxbEEZNS1_14transform_implILb0ES3_S5_N6thrust23THRUST_200600_302600_NS6detail15normal_iteratorINS8_10device_ptrIxEEEENSA_INSB_IbEEEEZNS1_13binary_searchIS3_S5_SD_SD_SF_NS1_16binary_search_opENS9_16wrapped_functionINS0_4lessIvEEbEEEE10hipError_tPvRmT1_T2_T3_mmT4_T5_P12ihipStream_tbEUlRKxE_EESM_SQ_SR_mSS_SV_bEUlT_E_NS1_11comp_targetILNS1_3genE10ELNS1_11target_archE1201ELNS1_3gpuE5ELNS1_3repE0EEENS1_30default_config_static_selectorELNS0_4arch9wavefront6targetE1EEEvSP_ ; -- Begin function _ZN7rocprim17ROCPRIM_400000_NS6detail17trampoline_kernelINS0_14default_configENS1_29binary_search_config_selectorIxbEEZNS1_14transform_implILb0ES3_S5_N6thrust23THRUST_200600_302600_NS6detail15normal_iteratorINS8_10device_ptrIxEEEENSA_INSB_IbEEEEZNS1_13binary_searchIS3_S5_SD_SD_SF_NS1_16binary_search_opENS9_16wrapped_functionINS0_4lessIvEEbEEEE10hipError_tPvRmT1_T2_T3_mmT4_T5_P12ihipStream_tbEUlRKxE_EESM_SQ_SR_mSS_SV_bEUlT_E_NS1_11comp_targetILNS1_3genE10ELNS1_11target_archE1201ELNS1_3gpuE5ELNS1_3repE0EEENS1_30default_config_static_selectorELNS0_4arch9wavefront6targetE1EEEvSP_
	.globl	_ZN7rocprim17ROCPRIM_400000_NS6detail17trampoline_kernelINS0_14default_configENS1_29binary_search_config_selectorIxbEEZNS1_14transform_implILb0ES3_S5_N6thrust23THRUST_200600_302600_NS6detail15normal_iteratorINS8_10device_ptrIxEEEENSA_INSB_IbEEEEZNS1_13binary_searchIS3_S5_SD_SD_SF_NS1_16binary_search_opENS9_16wrapped_functionINS0_4lessIvEEbEEEE10hipError_tPvRmT1_T2_T3_mmT4_T5_P12ihipStream_tbEUlRKxE_EESM_SQ_SR_mSS_SV_bEUlT_E_NS1_11comp_targetILNS1_3genE10ELNS1_11target_archE1201ELNS1_3gpuE5ELNS1_3repE0EEENS1_30default_config_static_selectorELNS0_4arch9wavefront6targetE1EEEvSP_
	.p2align	8
	.type	_ZN7rocprim17ROCPRIM_400000_NS6detail17trampoline_kernelINS0_14default_configENS1_29binary_search_config_selectorIxbEEZNS1_14transform_implILb0ES3_S5_N6thrust23THRUST_200600_302600_NS6detail15normal_iteratorINS8_10device_ptrIxEEEENSA_INSB_IbEEEEZNS1_13binary_searchIS3_S5_SD_SD_SF_NS1_16binary_search_opENS9_16wrapped_functionINS0_4lessIvEEbEEEE10hipError_tPvRmT1_T2_T3_mmT4_T5_P12ihipStream_tbEUlRKxE_EESM_SQ_SR_mSS_SV_bEUlT_E_NS1_11comp_targetILNS1_3genE10ELNS1_11target_archE1201ELNS1_3gpuE5ELNS1_3repE0EEENS1_30default_config_static_selectorELNS0_4arch9wavefront6targetE1EEEvSP_,@function
_ZN7rocprim17ROCPRIM_400000_NS6detail17trampoline_kernelINS0_14default_configENS1_29binary_search_config_selectorIxbEEZNS1_14transform_implILb0ES3_S5_N6thrust23THRUST_200600_302600_NS6detail15normal_iteratorINS8_10device_ptrIxEEEENSA_INSB_IbEEEEZNS1_13binary_searchIS3_S5_SD_SD_SF_NS1_16binary_search_opENS9_16wrapped_functionINS0_4lessIvEEbEEEE10hipError_tPvRmT1_T2_T3_mmT4_T5_P12ihipStream_tbEUlRKxE_EESM_SQ_SR_mSS_SV_bEUlT_E_NS1_11comp_targetILNS1_3genE10ELNS1_11target_archE1201ELNS1_3gpuE5ELNS1_3repE0EEENS1_30default_config_static_selectorELNS0_4arch9wavefront6targetE1EEEvSP_: ; @_ZN7rocprim17ROCPRIM_400000_NS6detail17trampoline_kernelINS0_14default_configENS1_29binary_search_config_selectorIxbEEZNS1_14transform_implILb0ES3_S5_N6thrust23THRUST_200600_302600_NS6detail15normal_iteratorINS8_10device_ptrIxEEEENSA_INSB_IbEEEEZNS1_13binary_searchIS3_S5_SD_SD_SF_NS1_16binary_search_opENS9_16wrapped_functionINS0_4lessIvEEbEEEE10hipError_tPvRmT1_T2_T3_mmT4_T5_P12ihipStream_tbEUlRKxE_EESM_SQ_SR_mSS_SV_bEUlT_E_NS1_11comp_targetILNS1_3genE10ELNS1_11target_archE1201ELNS1_3gpuE5ELNS1_3repE0EEENS1_30default_config_static_selectorELNS0_4arch9wavefront6targetE1EEEvSP_
; %bb.0:
	.section	.rodata,"a",@progbits
	.p2align	6, 0x0
	.amdhsa_kernel _ZN7rocprim17ROCPRIM_400000_NS6detail17trampoline_kernelINS0_14default_configENS1_29binary_search_config_selectorIxbEEZNS1_14transform_implILb0ES3_S5_N6thrust23THRUST_200600_302600_NS6detail15normal_iteratorINS8_10device_ptrIxEEEENSA_INSB_IbEEEEZNS1_13binary_searchIS3_S5_SD_SD_SF_NS1_16binary_search_opENS9_16wrapped_functionINS0_4lessIvEEbEEEE10hipError_tPvRmT1_T2_T3_mmT4_T5_P12ihipStream_tbEUlRKxE_EESM_SQ_SR_mSS_SV_bEUlT_E_NS1_11comp_targetILNS1_3genE10ELNS1_11target_archE1201ELNS1_3gpuE5ELNS1_3repE0EEENS1_30default_config_static_selectorELNS0_4arch9wavefront6targetE1EEEvSP_
		.amdhsa_group_segment_fixed_size 0
		.amdhsa_private_segment_fixed_size 0
		.amdhsa_kernarg_size 56
		.amdhsa_user_sgpr_count 6
		.amdhsa_user_sgpr_private_segment_buffer 1
		.amdhsa_user_sgpr_dispatch_ptr 0
		.amdhsa_user_sgpr_queue_ptr 0
		.amdhsa_user_sgpr_kernarg_segment_ptr 1
		.amdhsa_user_sgpr_dispatch_id 0
		.amdhsa_user_sgpr_flat_scratch_init 0
		.amdhsa_user_sgpr_kernarg_preload_length 0
		.amdhsa_user_sgpr_kernarg_preload_offset 0
		.amdhsa_user_sgpr_private_segment_size 0
		.amdhsa_uses_dynamic_stack 0
		.amdhsa_system_sgpr_private_segment_wavefront_offset 0
		.amdhsa_system_sgpr_workgroup_id_x 1
		.amdhsa_system_sgpr_workgroup_id_y 0
		.amdhsa_system_sgpr_workgroup_id_z 0
		.amdhsa_system_sgpr_workgroup_info 0
		.amdhsa_system_vgpr_workitem_id 0
		.amdhsa_next_free_vgpr 1
		.amdhsa_next_free_sgpr 0
		.amdhsa_accum_offset 4
		.amdhsa_reserve_vcc 0
		.amdhsa_reserve_flat_scratch 0
		.amdhsa_float_round_mode_32 0
		.amdhsa_float_round_mode_16_64 0
		.amdhsa_float_denorm_mode_32 3
		.amdhsa_float_denorm_mode_16_64 3
		.amdhsa_dx10_clamp 1
		.amdhsa_ieee_mode 1
		.amdhsa_fp16_overflow 0
		.amdhsa_tg_split 0
		.amdhsa_exception_fp_ieee_invalid_op 0
		.amdhsa_exception_fp_denorm_src 0
		.amdhsa_exception_fp_ieee_div_zero 0
		.amdhsa_exception_fp_ieee_overflow 0
		.amdhsa_exception_fp_ieee_underflow 0
		.amdhsa_exception_fp_ieee_inexact 0
		.amdhsa_exception_int_div_zero 0
	.end_amdhsa_kernel
	.section	.text._ZN7rocprim17ROCPRIM_400000_NS6detail17trampoline_kernelINS0_14default_configENS1_29binary_search_config_selectorIxbEEZNS1_14transform_implILb0ES3_S5_N6thrust23THRUST_200600_302600_NS6detail15normal_iteratorINS8_10device_ptrIxEEEENSA_INSB_IbEEEEZNS1_13binary_searchIS3_S5_SD_SD_SF_NS1_16binary_search_opENS9_16wrapped_functionINS0_4lessIvEEbEEEE10hipError_tPvRmT1_T2_T3_mmT4_T5_P12ihipStream_tbEUlRKxE_EESM_SQ_SR_mSS_SV_bEUlT_E_NS1_11comp_targetILNS1_3genE10ELNS1_11target_archE1201ELNS1_3gpuE5ELNS1_3repE0EEENS1_30default_config_static_selectorELNS0_4arch9wavefront6targetE1EEEvSP_,"axG",@progbits,_ZN7rocprim17ROCPRIM_400000_NS6detail17trampoline_kernelINS0_14default_configENS1_29binary_search_config_selectorIxbEEZNS1_14transform_implILb0ES3_S5_N6thrust23THRUST_200600_302600_NS6detail15normal_iteratorINS8_10device_ptrIxEEEENSA_INSB_IbEEEEZNS1_13binary_searchIS3_S5_SD_SD_SF_NS1_16binary_search_opENS9_16wrapped_functionINS0_4lessIvEEbEEEE10hipError_tPvRmT1_T2_T3_mmT4_T5_P12ihipStream_tbEUlRKxE_EESM_SQ_SR_mSS_SV_bEUlT_E_NS1_11comp_targetILNS1_3genE10ELNS1_11target_archE1201ELNS1_3gpuE5ELNS1_3repE0EEENS1_30default_config_static_selectorELNS0_4arch9wavefront6targetE1EEEvSP_,comdat
.Lfunc_end497:
	.size	_ZN7rocprim17ROCPRIM_400000_NS6detail17trampoline_kernelINS0_14default_configENS1_29binary_search_config_selectorIxbEEZNS1_14transform_implILb0ES3_S5_N6thrust23THRUST_200600_302600_NS6detail15normal_iteratorINS8_10device_ptrIxEEEENSA_INSB_IbEEEEZNS1_13binary_searchIS3_S5_SD_SD_SF_NS1_16binary_search_opENS9_16wrapped_functionINS0_4lessIvEEbEEEE10hipError_tPvRmT1_T2_T3_mmT4_T5_P12ihipStream_tbEUlRKxE_EESM_SQ_SR_mSS_SV_bEUlT_E_NS1_11comp_targetILNS1_3genE10ELNS1_11target_archE1201ELNS1_3gpuE5ELNS1_3repE0EEENS1_30default_config_static_selectorELNS0_4arch9wavefront6targetE1EEEvSP_, .Lfunc_end497-_ZN7rocprim17ROCPRIM_400000_NS6detail17trampoline_kernelINS0_14default_configENS1_29binary_search_config_selectorIxbEEZNS1_14transform_implILb0ES3_S5_N6thrust23THRUST_200600_302600_NS6detail15normal_iteratorINS8_10device_ptrIxEEEENSA_INSB_IbEEEEZNS1_13binary_searchIS3_S5_SD_SD_SF_NS1_16binary_search_opENS9_16wrapped_functionINS0_4lessIvEEbEEEE10hipError_tPvRmT1_T2_T3_mmT4_T5_P12ihipStream_tbEUlRKxE_EESM_SQ_SR_mSS_SV_bEUlT_E_NS1_11comp_targetILNS1_3genE10ELNS1_11target_archE1201ELNS1_3gpuE5ELNS1_3repE0EEENS1_30default_config_static_selectorELNS0_4arch9wavefront6targetE1EEEvSP_
                                        ; -- End function
	.section	.AMDGPU.csdata,"",@progbits
; Kernel info:
; codeLenInByte = 0
; NumSgprs: 4
; NumVgprs: 0
; NumAgprs: 0
; TotalNumVgprs: 0
; ScratchSize: 0
; MemoryBound: 0
; FloatMode: 240
; IeeeMode: 1
; LDSByteSize: 0 bytes/workgroup (compile time only)
; SGPRBlocks: 0
; VGPRBlocks: 0
; NumSGPRsForWavesPerEU: 4
; NumVGPRsForWavesPerEU: 1
; AccumOffset: 4
; Occupancy: 8
; WaveLimiterHint : 0
; COMPUTE_PGM_RSRC2:SCRATCH_EN: 0
; COMPUTE_PGM_RSRC2:USER_SGPR: 6
; COMPUTE_PGM_RSRC2:TRAP_HANDLER: 0
; COMPUTE_PGM_RSRC2:TGID_X_EN: 1
; COMPUTE_PGM_RSRC2:TGID_Y_EN: 0
; COMPUTE_PGM_RSRC2:TGID_Z_EN: 0
; COMPUTE_PGM_RSRC2:TIDIG_COMP_CNT: 0
; COMPUTE_PGM_RSRC3_GFX90A:ACCUM_OFFSET: 0
; COMPUTE_PGM_RSRC3_GFX90A:TG_SPLIT: 0
	.section	.text._ZN7rocprim17ROCPRIM_400000_NS6detail17trampoline_kernelINS0_14default_configENS1_29binary_search_config_selectorIxbEEZNS1_14transform_implILb0ES3_S5_N6thrust23THRUST_200600_302600_NS6detail15normal_iteratorINS8_10device_ptrIxEEEENSA_INSB_IbEEEEZNS1_13binary_searchIS3_S5_SD_SD_SF_NS1_16binary_search_opENS9_16wrapped_functionINS0_4lessIvEEbEEEE10hipError_tPvRmT1_T2_T3_mmT4_T5_P12ihipStream_tbEUlRKxE_EESM_SQ_SR_mSS_SV_bEUlT_E_NS1_11comp_targetILNS1_3genE10ELNS1_11target_archE1200ELNS1_3gpuE4ELNS1_3repE0EEENS1_30default_config_static_selectorELNS0_4arch9wavefront6targetE1EEEvSP_,"axG",@progbits,_ZN7rocprim17ROCPRIM_400000_NS6detail17trampoline_kernelINS0_14default_configENS1_29binary_search_config_selectorIxbEEZNS1_14transform_implILb0ES3_S5_N6thrust23THRUST_200600_302600_NS6detail15normal_iteratorINS8_10device_ptrIxEEEENSA_INSB_IbEEEEZNS1_13binary_searchIS3_S5_SD_SD_SF_NS1_16binary_search_opENS9_16wrapped_functionINS0_4lessIvEEbEEEE10hipError_tPvRmT1_T2_T3_mmT4_T5_P12ihipStream_tbEUlRKxE_EESM_SQ_SR_mSS_SV_bEUlT_E_NS1_11comp_targetILNS1_3genE10ELNS1_11target_archE1200ELNS1_3gpuE4ELNS1_3repE0EEENS1_30default_config_static_selectorELNS0_4arch9wavefront6targetE1EEEvSP_,comdat
	.protected	_ZN7rocprim17ROCPRIM_400000_NS6detail17trampoline_kernelINS0_14default_configENS1_29binary_search_config_selectorIxbEEZNS1_14transform_implILb0ES3_S5_N6thrust23THRUST_200600_302600_NS6detail15normal_iteratorINS8_10device_ptrIxEEEENSA_INSB_IbEEEEZNS1_13binary_searchIS3_S5_SD_SD_SF_NS1_16binary_search_opENS9_16wrapped_functionINS0_4lessIvEEbEEEE10hipError_tPvRmT1_T2_T3_mmT4_T5_P12ihipStream_tbEUlRKxE_EESM_SQ_SR_mSS_SV_bEUlT_E_NS1_11comp_targetILNS1_3genE10ELNS1_11target_archE1200ELNS1_3gpuE4ELNS1_3repE0EEENS1_30default_config_static_selectorELNS0_4arch9wavefront6targetE1EEEvSP_ ; -- Begin function _ZN7rocprim17ROCPRIM_400000_NS6detail17trampoline_kernelINS0_14default_configENS1_29binary_search_config_selectorIxbEEZNS1_14transform_implILb0ES3_S5_N6thrust23THRUST_200600_302600_NS6detail15normal_iteratorINS8_10device_ptrIxEEEENSA_INSB_IbEEEEZNS1_13binary_searchIS3_S5_SD_SD_SF_NS1_16binary_search_opENS9_16wrapped_functionINS0_4lessIvEEbEEEE10hipError_tPvRmT1_T2_T3_mmT4_T5_P12ihipStream_tbEUlRKxE_EESM_SQ_SR_mSS_SV_bEUlT_E_NS1_11comp_targetILNS1_3genE10ELNS1_11target_archE1200ELNS1_3gpuE4ELNS1_3repE0EEENS1_30default_config_static_selectorELNS0_4arch9wavefront6targetE1EEEvSP_
	.globl	_ZN7rocprim17ROCPRIM_400000_NS6detail17trampoline_kernelINS0_14default_configENS1_29binary_search_config_selectorIxbEEZNS1_14transform_implILb0ES3_S5_N6thrust23THRUST_200600_302600_NS6detail15normal_iteratorINS8_10device_ptrIxEEEENSA_INSB_IbEEEEZNS1_13binary_searchIS3_S5_SD_SD_SF_NS1_16binary_search_opENS9_16wrapped_functionINS0_4lessIvEEbEEEE10hipError_tPvRmT1_T2_T3_mmT4_T5_P12ihipStream_tbEUlRKxE_EESM_SQ_SR_mSS_SV_bEUlT_E_NS1_11comp_targetILNS1_3genE10ELNS1_11target_archE1200ELNS1_3gpuE4ELNS1_3repE0EEENS1_30default_config_static_selectorELNS0_4arch9wavefront6targetE1EEEvSP_
	.p2align	8
	.type	_ZN7rocprim17ROCPRIM_400000_NS6detail17trampoline_kernelINS0_14default_configENS1_29binary_search_config_selectorIxbEEZNS1_14transform_implILb0ES3_S5_N6thrust23THRUST_200600_302600_NS6detail15normal_iteratorINS8_10device_ptrIxEEEENSA_INSB_IbEEEEZNS1_13binary_searchIS3_S5_SD_SD_SF_NS1_16binary_search_opENS9_16wrapped_functionINS0_4lessIvEEbEEEE10hipError_tPvRmT1_T2_T3_mmT4_T5_P12ihipStream_tbEUlRKxE_EESM_SQ_SR_mSS_SV_bEUlT_E_NS1_11comp_targetILNS1_3genE10ELNS1_11target_archE1200ELNS1_3gpuE4ELNS1_3repE0EEENS1_30default_config_static_selectorELNS0_4arch9wavefront6targetE1EEEvSP_,@function
_ZN7rocprim17ROCPRIM_400000_NS6detail17trampoline_kernelINS0_14default_configENS1_29binary_search_config_selectorIxbEEZNS1_14transform_implILb0ES3_S5_N6thrust23THRUST_200600_302600_NS6detail15normal_iteratorINS8_10device_ptrIxEEEENSA_INSB_IbEEEEZNS1_13binary_searchIS3_S5_SD_SD_SF_NS1_16binary_search_opENS9_16wrapped_functionINS0_4lessIvEEbEEEE10hipError_tPvRmT1_T2_T3_mmT4_T5_P12ihipStream_tbEUlRKxE_EESM_SQ_SR_mSS_SV_bEUlT_E_NS1_11comp_targetILNS1_3genE10ELNS1_11target_archE1200ELNS1_3gpuE4ELNS1_3repE0EEENS1_30default_config_static_selectorELNS0_4arch9wavefront6targetE1EEEvSP_: ; @_ZN7rocprim17ROCPRIM_400000_NS6detail17trampoline_kernelINS0_14default_configENS1_29binary_search_config_selectorIxbEEZNS1_14transform_implILb0ES3_S5_N6thrust23THRUST_200600_302600_NS6detail15normal_iteratorINS8_10device_ptrIxEEEENSA_INSB_IbEEEEZNS1_13binary_searchIS3_S5_SD_SD_SF_NS1_16binary_search_opENS9_16wrapped_functionINS0_4lessIvEEbEEEE10hipError_tPvRmT1_T2_T3_mmT4_T5_P12ihipStream_tbEUlRKxE_EESM_SQ_SR_mSS_SV_bEUlT_E_NS1_11comp_targetILNS1_3genE10ELNS1_11target_archE1200ELNS1_3gpuE4ELNS1_3repE0EEENS1_30default_config_static_selectorELNS0_4arch9wavefront6targetE1EEEvSP_
; %bb.0:
	.section	.rodata,"a",@progbits
	.p2align	6, 0x0
	.amdhsa_kernel _ZN7rocprim17ROCPRIM_400000_NS6detail17trampoline_kernelINS0_14default_configENS1_29binary_search_config_selectorIxbEEZNS1_14transform_implILb0ES3_S5_N6thrust23THRUST_200600_302600_NS6detail15normal_iteratorINS8_10device_ptrIxEEEENSA_INSB_IbEEEEZNS1_13binary_searchIS3_S5_SD_SD_SF_NS1_16binary_search_opENS9_16wrapped_functionINS0_4lessIvEEbEEEE10hipError_tPvRmT1_T2_T3_mmT4_T5_P12ihipStream_tbEUlRKxE_EESM_SQ_SR_mSS_SV_bEUlT_E_NS1_11comp_targetILNS1_3genE10ELNS1_11target_archE1200ELNS1_3gpuE4ELNS1_3repE0EEENS1_30default_config_static_selectorELNS0_4arch9wavefront6targetE1EEEvSP_
		.amdhsa_group_segment_fixed_size 0
		.amdhsa_private_segment_fixed_size 0
		.amdhsa_kernarg_size 56
		.amdhsa_user_sgpr_count 6
		.amdhsa_user_sgpr_private_segment_buffer 1
		.amdhsa_user_sgpr_dispatch_ptr 0
		.amdhsa_user_sgpr_queue_ptr 0
		.amdhsa_user_sgpr_kernarg_segment_ptr 1
		.amdhsa_user_sgpr_dispatch_id 0
		.amdhsa_user_sgpr_flat_scratch_init 0
		.amdhsa_user_sgpr_kernarg_preload_length 0
		.amdhsa_user_sgpr_kernarg_preload_offset 0
		.amdhsa_user_sgpr_private_segment_size 0
		.amdhsa_uses_dynamic_stack 0
		.amdhsa_system_sgpr_private_segment_wavefront_offset 0
		.amdhsa_system_sgpr_workgroup_id_x 1
		.amdhsa_system_sgpr_workgroup_id_y 0
		.amdhsa_system_sgpr_workgroup_id_z 0
		.amdhsa_system_sgpr_workgroup_info 0
		.amdhsa_system_vgpr_workitem_id 0
		.amdhsa_next_free_vgpr 1
		.amdhsa_next_free_sgpr 0
		.amdhsa_accum_offset 4
		.amdhsa_reserve_vcc 0
		.amdhsa_reserve_flat_scratch 0
		.amdhsa_float_round_mode_32 0
		.amdhsa_float_round_mode_16_64 0
		.amdhsa_float_denorm_mode_32 3
		.amdhsa_float_denorm_mode_16_64 3
		.amdhsa_dx10_clamp 1
		.amdhsa_ieee_mode 1
		.amdhsa_fp16_overflow 0
		.amdhsa_tg_split 0
		.amdhsa_exception_fp_ieee_invalid_op 0
		.amdhsa_exception_fp_denorm_src 0
		.amdhsa_exception_fp_ieee_div_zero 0
		.amdhsa_exception_fp_ieee_overflow 0
		.amdhsa_exception_fp_ieee_underflow 0
		.amdhsa_exception_fp_ieee_inexact 0
		.amdhsa_exception_int_div_zero 0
	.end_amdhsa_kernel
	.section	.text._ZN7rocprim17ROCPRIM_400000_NS6detail17trampoline_kernelINS0_14default_configENS1_29binary_search_config_selectorIxbEEZNS1_14transform_implILb0ES3_S5_N6thrust23THRUST_200600_302600_NS6detail15normal_iteratorINS8_10device_ptrIxEEEENSA_INSB_IbEEEEZNS1_13binary_searchIS3_S5_SD_SD_SF_NS1_16binary_search_opENS9_16wrapped_functionINS0_4lessIvEEbEEEE10hipError_tPvRmT1_T2_T3_mmT4_T5_P12ihipStream_tbEUlRKxE_EESM_SQ_SR_mSS_SV_bEUlT_E_NS1_11comp_targetILNS1_3genE10ELNS1_11target_archE1200ELNS1_3gpuE4ELNS1_3repE0EEENS1_30default_config_static_selectorELNS0_4arch9wavefront6targetE1EEEvSP_,"axG",@progbits,_ZN7rocprim17ROCPRIM_400000_NS6detail17trampoline_kernelINS0_14default_configENS1_29binary_search_config_selectorIxbEEZNS1_14transform_implILb0ES3_S5_N6thrust23THRUST_200600_302600_NS6detail15normal_iteratorINS8_10device_ptrIxEEEENSA_INSB_IbEEEEZNS1_13binary_searchIS3_S5_SD_SD_SF_NS1_16binary_search_opENS9_16wrapped_functionINS0_4lessIvEEbEEEE10hipError_tPvRmT1_T2_T3_mmT4_T5_P12ihipStream_tbEUlRKxE_EESM_SQ_SR_mSS_SV_bEUlT_E_NS1_11comp_targetILNS1_3genE10ELNS1_11target_archE1200ELNS1_3gpuE4ELNS1_3repE0EEENS1_30default_config_static_selectorELNS0_4arch9wavefront6targetE1EEEvSP_,comdat
.Lfunc_end498:
	.size	_ZN7rocprim17ROCPRIM_400000_NS6detail17trampoline_kernelINS0_14default_configENS1_29binary_search_config_selectorIxbEEZNS1_14transform_implILb0ES3_S5_N6thrust23THRUST_200600_302600_NS6detail15normal_iteratorINS8_10device_ptrIxEEEENSA_INSB_IbEEEEZNS1_13binary_searchIS3_S5_SD_SD_SF_NS1_16binary_search_opENS9_16wrapped_functionINS0_4lessIvEEbEEEE10hipError_tPvRmT1_T2_T3_mmT4_T5_P12ihipStream_tbEUlRKxE_EESM_SQ_SR_mSS_SV_bEUlT_E_NS1_11comp_targetILNS1_3genE10ELNS1_11target_archE1200ELNS1_3gpuE4ELNS1_3repE0EEENS1_30default_config_static_selectorELNS0_4arch9wavefront6targetE1EEEvSP_, .Lfunc_end498-_ZN7rocprim17ROCPRIM_400000_NS6detail17trampoline_kernelINS0_14default_configENS1_29binary_search_config_selectorIxbEEZNS1_14transform_implILb0ES3_S5_N6thrust23THRUST_200600_302600_NS6detail15normal_iteratorINS8_10device_ptrIxEEEENSA_INSB_IbEEEEZNS1_13binary_searchIS3_S5_SD_SD_SF_NS1_16binary_search_opENS9_16wrapped_functionINS0_4lessIvEEbEEEE10hipError_tPvRmT1_T2_T3_mmT4_T5_P12ihipStream_tbEUlRKxE_EESM_SQ_SR_mSS_SV_bEUlT_E_NS1_11comp_targetILNS1_3genE10ELNS1_11target_archE1200ELNS1_3gpuE4ELNS1_3repE0EEENS1_30default_config_static_selectorELNS0_4arch9wavefront6targetE1EEEvSP_
                                        ; -- End function
	.section	.AMDGPU.csdata,"",@progbits
; Kernel info:
; codeLenInByte = 0
; NumSgprs: 4
; NumVgprs: 0
; NumAgprs: 0
; TotalNumVgprs: 0
; ScratchSize: 0
; MemoryBound: 0
; FloatMode: 240
; IeeeMode: 1
; LDSByteSize: 0 bytes/workgroup (compile time only)
; SGPRBlocks: 0
; VGPRBlocks: 0
; NumSGPRsForWavesPerEU: 4
; NumVGPRsForWavesPerEU: 1
; AccumOffset: 4
; Occupancy: 8
; WaveLimiterHint : 0
; COMPUTE_PGM_RSRC2:SCRATCH_EN: 0
; COMPUTE_PGM_RSRC2:USER_SGPR: 6
; COMPUTE_PGM_RSRC2:TRAP_HANDLER: 0
; COMPUTE_PGM_RSRC2:TGID_X_EN: 1
; COMPUTE_PGM_RSRC2:TGID_Y_EN: 0
; COMPUTE_PGM_RSRC2:TGID_Z_EN: 0
; COMPUTE_PGM_RSRC2:TIDIG_COMP_CNT: 0
; COMPUTE_PGM_RSRC3_GFX90A:ACCUM_OFFSET: 0
; COMPUTE_PGM_RSRC3_GFX90A:TG_SPLIT: 0
	.section	.text._ZN7rocprim17ROCPRIM_400000_NS6detail17trampoline_kernelINS0_14default_configENS1_29binary_search_config_selectorIxbEEZNS1_14transform_implILb0ES3_S5_N6thrust23THRUST_200600_302600_NS6detail15normal_iteratorINS8_10device_ptrIxEEEENSA_INSB_IbEEEEZNS1_13binary_searchIS3_S5_SD_SD_SF_NS1_16binary_search_opENS9_16wrapped_functionINS0_4lessIvEEbEEEE10hipError_tPvRmT1_T2_T3_mmT4_T5_P12ihipStream_tbEUlRKxE_EESM_SQ_SR_mSS_SV_bEUlT_E_NS1_11comp_targetILNS1_3genE9ELNS1_11target_archE1100ELNS1_3gpuE3ELNS1_3repE0EEENS1_30default_config_static_selectorELNS0_4arch9wavefront6targetE1EEEvSP_,"axG",@progbits,_ZN7rocprim17ROCPRIM_400000_NS6detail17trampoline_kernelINS0_14default_configENS1_29binary_search_config_selectorIxbEEZNS1_14transform_implILb0ES3_S5_N6thrust23THRUST_200600_302600_NS6detail15normal_iteratorINS8_10device_ptrIxEEEENSA_INSB_IbEEEEZNS1_13binary_searchIS3_S5_SD_SD_SF_NS1_16binary_search_opENS9_16wrapped_functionINS0_4lessIvEEbEEEE10hipError_tPvRmT1_T2_T3_mmT4_T5_P12ihipStream_tbEUlRKxE_EESM_SQ_SR_mSS_SV_bEUlT_E_NS1_11comp_targetILNS1_3genE9ELNS1_11target_archE1100ELNS1_3gpuE3ELNS1_3repE0EEENS1_30default_config_static_selectorELNS0_4arch9wavefront6targetE1EEEvSP_,comdat
	.protected	_ZN7rocprim17ROCPRIM_400000_NS6detail17trampoline_kernelINS0_14default_configENS1_29binary_search_config_selectorIxbEEZNS1_14transform_implILb0ES3_S5_N6thrust23THRUST_200600_302600_NS6detail15normal_iteratorINS8_10device_ptrIxEEEENSA_INSB_IbEEEEZNS1_13binary_searchIS3_S5_SD_SD_SF_NS1_16binary_search_opENS9_16wrapped_functionINS0_4lessIvEEbEEEE10hipError_tPvRmT1_T2_T3_mmT4_T5_P12ihipStream_tbEUlRKxE_EESM_SQ_SR_mSS_SV_bEUlT_E_NS1_11comp_targetILNS1_3genE9ELNS1_11target_archE1100ELNS1_3gpuE3ELNS1_3repE0EEENS1_30default_config_static_selectorELNS0_4arch9wavefront6targetE1EEEvSP_ ; -- Begin function _ZN7rocprim17ROCPRIM_400000_NS6detail17trampoline_kernelINS0_14default_configENS1_29binary_search_config_selectorIxbEEZNS1_14transform_implILb0ES3_S5_N6thrust23THRUST_200600_302600_NS6detail15normal_iteratorINS8_10device_ptrIxEEEENSA_INSB_IbEEEEZNS1_13binary_searchIS3_S5_SD_SD_SF_NS1_16binary_search_opENS9_16wrapped_functionINS0_4lessIvEEbEEEE10hipError_tPvRmT1_T2_T3_mmT4_T5_P12ihipStream_tbEUlRKxE_EESM_SQ_SR_mSS_SV_bEUlT_E_NS1_11comp_targetILNS1_3genE9ELNS1_11target_archE1100ELNS1_3gpuE3ELNS1_3repE0EEENS1_30default_config_static_selectorELNS0_4arch9wavefront6targetE1EEEvSP_
	.globl	_ZN7rocprim17ROCPRIM_400000_NS6detail17trampoline_kernelINS0_14default_configENS1_29binary_search_config_selectorIxbEEZNS1_14transform_implILb0ES3_S5_N6thrust23THRUST_200600_302600_NS6detail15normal_iteratorINS8_10device_ptrIxEEEENSA_INSB_IbEEEEZNS1_13binary_searchIS3_S5_SD_SD_SF_NS1_16binary_search_opENS9_16wrapped_functionINS0_4lessIvEEbEEEE10hipError_tPvRmT1_T2_T3_mmT4_T5_P12ihipStream_tbEUlRKxE_EESM_SQ_SR_mSS_SV_bEUlT_E_NS1_11comp_targetILNS1_3genE9ELNS1_11target_archE1100ELNS1_3gpuE3ELNS1_3repE0EEENS1_30default_config_static_selectorELNS0_4arch9wavefront6targetE1EEEvSP_
	.p2align	8
	.type	_ZN7rocprim17ROCPRIM_400000_NS6detail17trampoline_kernelINS0_14default_configENS1_29binary_search_config_selectorIxbEEZNS1_14transform_implILb0ES3_S5_N6thrust23THRUST_200600_302600_NS6detail15normal_iteratorINS8_10device_ptrIxEEEENSA_INSB_IbEEEEZNS1_13binary_searchIS3_S5_SD_SD_SF_NS1_16binary_search_opENS9_16wrapped_functionINS0_4lessIvEEbEEEE10hipError_tPvRmT1_T2_T3_mmT4_T5_P12ihipStream_tbEUlRKxE_EESM_SQ_SR_mSS_SV_bEUlT_E_NS1_11comp_targetILNS1_3genE9ELNS1_11target_archE1100ELNS1_3gpuE3ELNS1_3repE0EEENS1_30default_config_static_selectorELNS0_4arch9wavefront6targetE1EEEvSP_,@function
_ZN7rocprim17ROCPRIM_400000_NS6detail17trampoline_kernelINS0_14default_configENS1_29binary_search_config_selectorIxbEEZNS1_14transform_implILb0ES3_S5_N6thrust23THRUST_200600_302600_NS6detail15normal_iteratorINS8_10device_ptrIxEEEENSA_INSB_IbEEEEZNS1_13binary_searchIS3_S5_SD_SD_SF_NS1_16binary_search_opENS9_16wrapped_functionINS0_4lessIvEEbEEEE10hipError_tPvRmT1_T2_T3_mmT4_T5_P12ihipStream_tbEUlRKxE_EESM_SQ_SR_mSS_SV_bEUlT_E_NS1_11comp_targetILNS1_3genE9ELNS1_11target_archE1100ELNS1_3gpuE3ELNS1_3repE0EEENS1_30default_config_static_selectorELNS0_4arch9wavefront6targetE1EEEvSP_: ; @_ZN7rocprim17ROCPRIM_400000_NS6detail17trampoline_kernelINS0_14default_configENS1_29binary_search_config_selectorIxbEEZNS1_14transform_implILb0ES3_S5_N6thrust23THRUST_200600_302600_NS6detail15normal_iteratorINS8_10device_ptrIxEEEENSA_INSB_IbEEEEZNS1_13binary_searchIS3_S5_SD_SD_SF_NS1_16binary_search_opENS9_16wrapped_functionINS0_4lessIvEEbEEEE10hipError_tPvRmT1_T2_T3_mmT4_T5_P12ihipStream_tbEUlRKxE_EESM_SQ_SR_mSS_SV_bEUlT_E_NS1_11comp_targetILNS1_3genE9ELNS1_11target_archE1100ELNS1_3gpuE3ELNS1_3repE0EEENS1_30default_config_static_selectorELNS0_4arch9wavefront6targetE1EEEvSP_
; %bb.0:
	.section	.rodata,"a",@progbits
	.p2align	6, 0x0
	.amdhsa_kernel _ZN7rocprim17ROCPRIM_400000_NS6detail17trampoline_kernelINS0_14default_configENS1_29binary_search_config_selectorIxbEEZNS1_14transform_implILb0ES3_S5_N6thrust23THRUST_200600_302600_NS6detail15normal_iteratorINS8_10device_ptrIxEEEENSA_INSB_IbEEEEZNS1_13binary_searchIS3_S5_SD_SD_SF_NS1_16binary_search_opENS9_16wrapped_functionINS0_4lessIvEEbEEEE10hipError_tPvRmT1_T2_T3_mmT4_T5_P12ihipStream_tbEUlRKxE_EESM_SQ_SR_mSS_SV_bEUlT_E_NS1_11comp_targetILNS1_3genE9ELNS1_11target_archE1100ELNS1_3gpuE3ELNS1_3repE0EEENS1_30default_config_static_selectorELNS0_4arch9wavefront6targetE1EEEvSP_
		.amdhsa_group_segment_fixed_size 0
		.amdhsa_private_segment_fixed_size 0
		.amdhsa_kernarg_size 56
		.amdhsa_user_sgpr_count 6
		.amdhsa_user_sgpr_private_segment_buffer 1
		.amdhsa_user_sgpr_dispatch_ptr 0
		.amdhsa_user_sgpr_queue_ptr 0
		.amdhsa_user_sgpr_kernarg_segment_ptr 1
		.amdhsa_user_sgpr_dispatch_id 0
		.amdhsa_user_sgpr_flat_scratch_init 0
		.amdhsa_user_sgpr_kernarg_preload_length 0
		.amdhsa_user_sgpr_kernarg_preload_offset 0
		.amdhsa_user_sgpr_private_segment_size 0
		.amdhsa_uses_dynamic_stack 0
		.amdhsa_system_sgpr_private_segment_wavefront_offset 0
		.amdhsa_system_sgpr_workgroup_id_x 1
		.amdhsa_system_sgpr_workgroup_id_y 0
		.amdhsa_system_sgpr_workgroup_id_z 0
		.amdhsa_system_sgpr_workgroup_info 0
		.amdhsa_system_vgpr_workitem_id 0
		.amdhsa_next_free_vgpr 1
		.amdhsa_next_free_sgpr 0
		.amdhsa_accum_offset 4
		.amdhsa_reserve_vcc 0
		.amdhsa_reserve_flat_scratch 0
		.amdhsa_float_round_mode_32 0
		.amdhsa_float_round_mode_16_64 0
		.amdhsa_float_denorm_mode_32 3
		.amdhsa_float_denorm_mode_16_64 3
		.amdhsa_dx10_clamp 1
		.amdhsa_ieee_mode 1
		.amdhsa_fp16_overflow 0
		.amdhsa_tg_split 0
		.amdhsa_exception_fp_ieee_invalid_op 0
		.amdhsa_exception_fp_denorm_src 0
		.amdhsa_exception_fp_ieee_div_zero 0
		.amdhsa_exception_fp_ieee_overflow 0
		.amdhsa_exception_fp_ieee_underflow 0
		.amdhsa_exception_fp_ieee_inexact 0
		.amdhsa_exception_int_div_zero 0
	.end_amdhsa_kernel
	.section	.text._ZN7rocprim17ROCPRIM_400000_NS6detail17trampoline_kernelINS0_14default_configENS1_29binary_search_config_selectorIxbEEZNS1_14transform_implILb0ES3_S5_N6thrust23THRUST_200600_302600_NS6detail15normal_iteratorINS8_10device_ptrIxEEEENSA_INSB_IbEEEEZNS1_13binary_searchIS3_S5_SD_SD_SF_NS1_16binary_search_opENS9_16wrapped_functionINS0_4lessIvEEbEEEE10hipError_tPvRmT1_T2_T3_mmT4_T5_P12ihipStream_tbEUlRKxE_EESM_SQ_SR_mSS_SV_bEUlT_E_NS1_11comp_targetILNS1_3genE9ELNS1_11target_archE1100ELNS1_3gpuE3ELNS1_3repE0EEENS1_30default_config_static_selectorELNS0_4arch9wavefront6targetE1EEEvSP_,"axG",@progbits,_ZN7rocprim17ROCPRIM_400000_NS6detail17trampoline_kernelINS0_14default_configENS1_29binary_search_config_selectorIxbEEZNS1_14transform_implILb0ES3_S5_N6thrust23THRUST_200600_302600_NS6detail15normal_iteratorINS8_10device_ptrIxEEEENSA_INSB_IbEEEEZNS1_13binary_searchIS3_S5_SD_SD_SF_NS1_16binary_search_opENS9_16wrapped_functionINS0_4lessIvEEbEEEE10hipError_tPvRmT1_T2_T3_mmT4_T5_P12ihipStream_tbEUlRKxE_EESM_SQ_SR_mSS_SV_bEUlT_E_NS1_11comp_targetILNS1_3genE9ELNS1_11target_archE1100ELNS1_3gpuE3ELNS1_3repE0EEENS1_30default_config_static_selectorELNS0_4arch9wavefront6targetE1EEEvSP_,comdat
.Lfunc_end499:
	.size	_ZN7rocprim17ROCPRIM_400000_NS6detail17trampoline_kernelINS0_14default_configENS1_29binary_search_config_selectorIxbEEZNS1_14transform_implILb0ES3_S5_N6thrust23THRUST_200600_302600_NS6detail15normal_iteratorINS8_10device_ptrIxEEEENSA_INSB_IbEEEEZNS1_13binary_searchIS3_S5_SD_SD_SF_NS1_16binary_search_opENS9_16wrapped_functionINS0_4lessIvEEbEEEE10hipError_tPvRmT1_T2_T3_mmT4_T5_P12ihipStream_tbEUlRKxE_EESM_SQ_SR_mSS_SV_bEUlT_E_NS1_11comp_targetILNS1_3genE9ELNS1_11target_archE1100ELNS1_3gpuE3ELNS1_3repE0EEENS1_30default_config_static_selectorELNS0_4arch9wavefront6targetE1EEEvSP_, .Lfunc_end499-_ZN7rocprim17ROCPRIM_400000_NS6detail17trampoline_kernelINS0_14default_configENS1_29binary_search_config_selectorIxbEEZNS1_14transform_implILb0ES3_S5_N6thrust23THRUST_200600_302600_NS6detail15normal_iteratorINS8_10device_ptrIxEEEENSA_INSB_IbEEEEZNS1_13binary_searchIS3_S5_SD_SD_SF_NS1_16binary_search_opENS9_16wrapped_functionINS0_4lessIvEEbEEEE10hipError_tPvRmT1_T2_T3_mmT4_T5_P12ihipStream_tbEUlRKxE_EESM_SQ_SR_mSS_SV_bEUlT_E_NS1_11comp_targetILNS1_3genE9ELNS1_11target_archE1100ELNS1_3gpuE3ELNS1_3repE0EEENS1_30default_config_static_selectorELNS0_4arch9wavefront6targetE1EEEvSP_
                                        ; -- End function
	.section	.AMDGPU.csdata,"",@progbits
; Kernel info:
; codeLenInByte = 0
; NumSgprs: 4
; NumVgprs: 0
; NumAgprs: 0
; TotalNumVgprs: 0
; ScratchSize: 0
; MemoryBound: 0
; FloatMode: 240
; IeeeMode: 1
; LDSByteSize: 0 bytes/workgroup (compile time only)
; SGPRBlocks: 0
; VGPRBlocks: 0
; NumSGPRsForWavesPerEU: 4
; NumVGPRsForWavesPerEU: 1
; AccumOffset: 4
; Occupancy: 8
; WaveLimiterHint : 0
; COMPUTE_PGM_RSRC2:SCRATCH_EN: 0
; COMPUTE_PGM_RSRC2:USER_SGPR: 6
; COMPUTE_PGM_RSRC2:TRAP_HANDLER: 0
; COMPUTE_PGM_RSRC2:TGID_X_EN: 1
; COMPUTE_PGM_RSRC2:TGID_Y_EN: 0
; COMPUTE_PGM_RSRC2:TGID_Z_EN: 0
; COMPUTE_PGM_RSRC2:TIDIG_COMP_CNT: 0
; COMPUTE_PGM_RSRC3_GFX90A:ACCUM_OFFSET: 0
; COMPUTE_PGM_RSRC3_GFX90A:TG_SPLIT: 0
	.section	.text._ZN7rocprim17ROCPRIM_400000_NS6detail17trampoline_kernelINS0_14default_configENS1_29binary_search_config_selectorIxbEEZNS1_14transform_implILb0ES3_S5_N6thrust23THRUST_200600_302600_NS6detail15normal_iteratorINS8_10device_ptrIxEEEENSA_INSB_IbEEEEZNS1_13binary_searchIS3_S5_SD_SD_SF_NS1_16binary_search_opENS9_16wrapped_functionINS0_4lessIvEEbEEEE10hipError_tPvRmT1_T2_T3_mmT4_T5_P12ihipStream_tbEUlRKxE_EESM_SQ_SR_mSS_SV_bEUlT_E_NS1_11comp_targetILNS1_3genE8ELNS1_11target_archE1030ELNS1_3gpuE2ELNS1_3repE0EEENS1_30default_config_static_selectorELNS0_4arch9wavefront6targetE1EEEvSP_,"axG",@progbits,_ZN7rocprim17ROCPRIM_400000_NS6detail17trampoline_kernelINS0_14default_configENS1_29binary_search_config_selectorIxbEEZNS1_14transform_implILb0ES3_S5_N6thrust23THRUST_200600_302600_NS6detail15normal_iteratorINS8_10device_ptrIxEEEENSA_INSB_IbEEEEZNS1_13binary_searchIS3_S5_SD_SD_SF_NS1_16binary_search_opENS9_16wrapped_functionINS0_4lessIvEEbEEEE10hipError_tPvRmT1_T2_T3_mmT4_T5_P12ihipStream_tbEUlRKxE_EESM_SQ_SR_mSS_SV_bEUlT_E_NS1_11comp_targetILNS1_3genE8ELNS1_11target_archE1030ELNS1_3gpuE2ELNS1_3repE0EEENS1_30default_config_static_selectorELNS0_4arch9wavefront6targetE1EEEvSP_,comdat
	.protected	_ZN7rocprim17ROCPRIM_400000_NS6detail17trampoline_kernelINS0_14default_configENS1_29binary_search_config_selectorIxbEEZNS1_14transform_implILb0ES3_S5_N6thrust23THRUST_200600_302600_NS6detail15normal_iteratorINS8_10device_ptrIxEEEENSA_INSB_IbEEEEZNS1_13binary_searchIS3_S5_SD_SD_SF_NS1_16binary_search_opENS9_16wrapped_functionINS0_4lessIvEEbEEEE10hipError_tPvRmT1_T2_T3_mmT4_T5_P12ihipStream_tbEUlRKxE_EESM_SQ_SR_mSS_SV_bEUlT_E_NS1_11comp_targetILNS1_3genE8ELNS1_11target_archE1030ELNS1_3gpuE2ELNS1_3repE0EEENS1_30default_config_static_selectorELNS0_4arch9wavefront6targetE1EEEvSP_ ; -- Begin function _ZN7rocprim17ROCPRIM_400000_NS6detail17trampoline_kernelINS0_14default_configENS1_29binary_search_config_selectorIxbEEZNS1_14transform_implILb0ES3_S5_N6thrust23THRUST_200600_302600_NS6detail15normal_iteratorINS8_10device_ptrIxEEEENSA_INSB_IbEEEEZNS1_13binary_searchIS3_S5_SD_SD_SF_NS1_16binary_search_opENS9_16wrapped_functionINS0_4lessIvEEbEEEE10hipError_tPvRmT1_T2_T3_mmT4_T5_P12ihipStream_tbEUlRKxE_EESM_SQ_SR_mSS_SV_bEUlT_E_NS1_11comp_targetILNS1_3genE8ELNS1_11target_archE1030ELNS1_3gpuE2ELNS1_3repE0EEENS1_30default_config_static_selectorELNS0_4arch9wavefront6targetE1EEEvSP_
	.globl	_ZN7rocprim17ROCPRIM_400000_NS6detail17trampoline_kernelINS0_14default_configENS1_29binary_search_config_selectorIxbEEZNS1_14transform_implILb0ES3_S5_N6thrust23THRUST_200600_302600_NS6detail15normal_iteratorINS8_10device_ptrIxEEEENSA_INSB_IbEEEEZNS1_13binary_searchIS3_S5_SD_SD_SF_NS1_16binary_search_opENS9_16wrapped_functionINS0_4lessIvEEbEEEE10hipError_tPvRmT1_T2_T3_mmT4_T5_P12ihipStream_tbEUlRKxE_EESM_SQ_SR_mSS_SV_bEUlT_E_NS1_11comp_targetILNS1_3genE8ELNS1_11target_archE1030ELNS1_3gpuE2ELNS1_3repE0EEENS1_30default_config_static_selectorELNS0_4arch9wavefront6targetE1EEEvSP_
	.p2align	8
	.type	_ZN7rocprim17ROCPRIM_400000_NS6detail17trampoline_kernelINS0_14default_configENS1_29binary_search_config_selectorIxbEEZNS1_14transform_implILb0ES3_S5_N6thrust23THRUST_200600_302600_NS6detail15normal_iteratorINS8_10device_ptrIxEEEENSA_INSB_IbEEEEZNS1_13binary_searchIS3_S5_SD_SD_SF_NS1_16binary_search_opENS9_16wrapped_functionINS0_4lessIvEEbEEEE10hipError_tPvRmT1_T2_T3_mmT4_T5_P12ihipStream_tbEUlRKxE_EESM_SQ_SR_mSS_SV_bEUlT_E_NS1_11comp_targetILNS1_3genE8ELNS1_11target_archE1030ELNS1_3gpuE2ELNS1_3repE0EEENS1_30default_config_static_selectorELNS0_4arch9wavefront6targetE1EEEvSP_,@function
_ZN7rocprim17ROCPRIM_400000_NS6detail17trampoline_kernelINS0_14default_configENS1_29binary_search_config_selectorIxbEEZNS1_14transform_implILb0ES3_S5_N6thrust23THRUST_200600_302600_NS6detail15normal_iteratorINS8_10device_ptrIxEEEENSA_INSB_IbEEEEZNS1_13binary_searchIS3_S5_SD_SD_SF_NS1_16binary_search_opENS9_16wrapped_functionINS0_4lessIvEEbEEEE10hipError_tPvRmT1_T2_T3_mmT4_T5_P12ihipStream_tbEUlRKxE_EESM_SQ_SR_mSS_SV_bEUlT_E_NS1_11comp_targetILNS1_3genE8ELNS1_11target_archE1030ELNS1_3gpuE2ELNS1_3repE0EEENS1_30default_config_static_selectorELNS0_4arch9wavefront6targetE1EEEvSP_: ; @_ZN7rocprim17ROCPRIM_400000_NS6detail17trampoline_kernelINS0_14default_configENS1_29binary_search_config_selectorIxbEEZNS1_14transform_implILb0ES3_S5_N6thrust23THRUST_200600_302600_NS6detail15normal_iteratorINS8_10device_ptrIxEEEENSA_INSB_IbEEEEZNS1_13binary_searchIS3_S5_SD_SD_SF_NS1_16binary_search_opENS9_16wrapped_functionINS0_4lessIvEEbEEEE10hipError_tPvRmT1_T2_T3_mmT4_T5_P12ihipStream_tbEUlRKxE_EESM_SQ_SR_mSS_SV_bEUlT_E_NS1_11comp_targetILNS1_3genE8ELNS1_11target_archE1030ELNS1_3gpuE2ELNS1_3repE0EEENS1_30default_config_static_selectorELNS0_4arch9wavefront6targetE1EEEvSP_
; %bb.0:
	.section	.rodata,"a",@progbits
	.p2align	6, 0x0
	.amdhsa_kernel _ZN7rocprim17ROCPRIM_400000_NS6detail17trampoline_kernelINS0_14default_configENS1_29binary_search_config_selectorIxbEEZNS1_14transform_implILb0ES3_S5_N6thrust23THRUST_200600_302600_NS6detail15normal_iteratorINS8_10device_ptrIxEEEENSA_INSB_IbEEEEZNS1_13binary_searchIS3_S5_SD_SD_SF_NS1_16binary_search_opENS9_16wrapped_functionINS0_4lessIvEEbEEEE10hipError_tPvRmT1_T2_T3_mmT4_T5_P12ihipStream_tbEUlRKxE_EESM_SQ_SR_mSS_SV_bEUlT_E_NS1_11comp_targetILNS1_3genE8ELNS1_11target_archE1030ELNS1_3gpuE2ELNS1_3repE0EEENS1_30default_config_static_selectorELNS0_4arch9wavefront6targetE1EEEvSP_
		.amdhsa_group_segment_fixed_size 0
		.amdhsa_private_segment_fixed_size 0
		.amdhsa_kernarg_size 56
		.amdhsa_user_sgpr_count 6
		.amdhsa_user_sgpr_private_segment_buffer 1
		.amdhsa_user_sgpr_dispatch_ptr 0
		.amdhsa_user_sgpr_queue_ptr 0
		.amdhsa_user_sgpr_kernarg_segment_ptr 1
		.amdhsa_user_sgpr_dispatch_id 0
		.amdhsa_user_sgpr_flat_scratch_init 0
		.amdhsa_user_sgpr_kernarg_preload_length 0
		.amdhsa_user_sgpr_kernarg_preload_offset 0
		.amdhsa_user_sgpr_private_segment_size 0
		.amdhsa_uses_dynamic_stack 0
		.amdhsa_system_sgpr_private_segment_wavefront_offset 0
		.amdhsa_system_sgpr_workgroup_id_x 1
		.amdhsa_system_sgpr_workgroup_id_y 0
		.amdhsa_system_sgpr_workgroup_id_z 0
		.amdhsa_system_sgpr_workgroup_info 0
		.amdhsa_system_vgpr_workitem_id 0
		.amdhsa_next_free_vgpr 1
		.amdhsa_next_free_sgpr 0
		.amdhsa_accum_offset 4
		.amdhsa_reserve_vcc 0
		.amdhsa_reserve_flat_scratch 0
		.amdhsa_float_round_mode_32 0
		.amdhsa_float_round_mode_16_64 0
		.amdhsa_float_denorm_mode_32 3
		.amdhsa_float_denorm_mode_16_64 3
		.amdhsa_dx10_clamp 1
		.amdhsa_ieee_mode 1
		.amdhsa_fp16_overflow 0
		.amdhsa_tg_split 0
		.amdhsa_exception_fp_ieee_invalid_op 0
		.amdhsa_exception_fp_denorm_src 0
		.amdhsa_exception_fp_ieee_div_zero 0
		.amdhsa_exception_fp_ieee_overflow 0
		.amdhsa_exception_fp_ieee_underflow 0
		.amdhsa_exception_fp_ieee_inexact 0
		.amdhsa_exception_int_div_zero 0
	.end_amdhsa_kernel
	.section	.text._ZN7rocprim17ROCPRIM_400000_NS6detail17trampoline_kernelINS0_14default_configENS1_29binary_search_config_selectorIxbEEZNS1_14transform_implILb0ES3_S5_N6thrust23THRUST_200600_302600_NS6detail15normal_iteratorINS8_10device_ptrIxEEEENSA_INSB_IbEEEEZNS1_13binary_searchIS3_S5_SD_SD_SF_NS1_16binary_search_opENS9_16wrapped_functionINS0_4lessIvEEbEEEE10hipError_tPvRmT1_T2_T3_mmT4_T5_P12ihipStream_tbEUlRKxE_EESM_SQ_SR_mSS_SV_bEUlT_E_NS1_11comp_targetILNS1_3genE8ELNS1_11target_archE1030ELNS1_3gpuE2ELNS1_3repE0EEENS1_30default_config_static_selectorELNS0_4arch9wavefront6targetE1EEEvSP_,"axG",@progbits,_ZN7rocprim17ROCPRIM_400000_NS6detail17trampoline_kernelINS0_14default_configENS1_29binary_search_config_selectorIxbEEZNS1_14transform_implILb0ES3_S5_N6thrust23THRUST_200600_302600_NS6detail15normal_iteratorINS8_10device_ptrIxEEEENSA_INSB_IbEEEEZNS1_13binary_searchIS3_S5_SD_SD_SF_NS1_16binary_search_opENS9_16wrapped_functionINS0_4lessIvEEbEEEE10hipError_tPvRmT1_T2_T3_mmT4_T5_P12ihipStream_tbEUlRKxE_EESM_SQ_SR_mSS_SV_bEUlT_E_NS1_11comp_targetILNS1_3genE8ELNS1_11target_archE1030ELNS1_3gpuE2ELNS1_3repE0EEENS1_30default_config_static_selectorELNS0_4arch9wavefront6targetE1EEEvSP_,comdat
.Lfunc_end500:
	.size	_ZN7rocprim17ROCPRIM_400000_NS6detail17trampoline_kernelINS0_14default_configENS1_29binary_search_config_selectorIxbEEZNS1_14transform_implILb0ES3_S5_N6thrust23THRUST_200600_302600_NS6detail15normal_iteratorINS8_10device_ptrIxEEEENSA_INSB_IbEEEEZNS1_13binary_searchIS3_S5_SD_SD_SF_NS1_16binary_search_opENS9_16wrapped_functionINS0_4lessIvEEbEEEE10hipError_tPvRmT1_T2_T3_mmT4_T5_P12ihipStream_tbEUlRKxE_EESM_SQ_SR_mSS_SV_bEUlT_E_NS1_11comp_targetILNS1_3genE8ELNS1_11target_archE1030ELNS1_3gpuE2ELNS1_3repE0EEENS1_30default_config_static_selectorELNS0_4arch9wavefront6targetE1EEEvSP_, .Lfunc_end500-_ZN7rocprim17ROCPRIM_400000_NS6detail17trampoline_kernelINS0_14default_configENS1_29binary_search_config_selectorIxbEEZNS1_14transform_implILb0ES3_S5_N6thrust23THRUST_200600_302600_NS6detail15normal_iteratorINS8_10device_ptrIxEEEENSA_INSB_IbEEEEZNS1_13binary_searchIS3_S5_SD_SD_SF_NS1_16binary_search_opENS9_16wrapped_functionINS0_4lessIvEEbEEEE10hipError_tPvRmT1_T2_T3_mmT4_T5_P12ihipStream_tbEUlRKxE_EESM_SQ_SR_mSS_SV_bEUlT_E_NS1_11comp_targetILNS1_3genE8ELNS1_11target_archE1030ELNS1_3gpuE2ELNS1_3repE0EEENS1_30default_config_static_selectorELNS0_4arch9wavefront6targetE1EEEvSP_
                                        ; -- End function
	.section	.AMDGPU.csdata,"",@progbits
; Kernel info:
; codeLenInByte = 0
; NumSgprs: 4
; NumVgprs: 0
; NumAgprs: 0
; TotalNumVgprs: 0
; ScratchSize: 0
; MemoryBound: 0
; FloatMode: 240
; IeeeMode: 1
; LDSByteSize: 0 bytes/workgroup (compile time only)
; SGPRBlocks: 0
; VGPRBlocks: 0
; NumSGPRsForWavesPerEU: 4
; NumVGPRsForWavesPerEU: 1
; AccumOffset: 4
; Occupancy: 8
; WaveLimiterHint : 0
; COMPUTE_PGM_RSRC2:SCRATCH_EN: 0
; COMPUTE_PGM_RSRC2:USER_SGPR: 6
; COMPUTE_PGM_RSRC2:TRAP_HANDLER: 0
; COMPUTE_PGM_RSRC2:TGID_X_EN: 1
; COMPUTE_PGM_RSRC2:TGID_Y_EN: 0
; COMPUTE_PGM_RSRC2:TGID_Z_EN: 0
; COMPUTE_PGM_RSRC2:TIDIG_COMP_CNT: 0
; COMPUTE_PGM_RSRC3_GFX90A:ACCUM_OFFSET: 0
; COMPUTE_PGM_RSRC3_GFX90A:TG_SPLIT: 0
	.section	.text._ZN7rocprim17ROCPRIM_400000_NS6detail17trampoline_kernelINS0_14default_configENS1_29binary_search_config_selectorIxiEEZNS1_14transform_implILb0ES3_S5_N6thrust23THRUST_200600_302600_NS6detail15normal_iteratorINS8_10device_ptrIxEEEENSA_INSB_IiEEEEZNS1_13binary_searchIS3_S5_SD_SD_SF_NS1_16binary_search_opENS9_16wrapped_functionINS0_4lessIvEEbEEEE10hipError_tPvRmT1_T2_T3_mmT4_T5_P12ihipStream_tbEUlRKxE_EESM_SQ_SR_mSS_SV_bEUlT_E_NS1_11comp_targetILNS1_3genE0ELNS1_11target_archE4294967295ELNS1_3gpuE0ELNS1_3repE0EEENS1_30default_config_static_selectorELNS0_4arch9wavefront6targetE1EEEvSP_,"axG",@progbits,_ZN7rocprim17ROCPRIM_400000_NS6detail17trampoline_kernelINS0_14default_configENS1_29binary_search_config_selectorIxiEEZNS1_14transform_implILb0ES3_S5_N6thrust23THRUST_200600_302600_NS6detail15normal_iteratorINS8_10device_ptrIxEEEENSA_INSB_IiEEEEZNS1_13binary_searchIS3_S5_SD_SD_SF_NS1_16binary_search_opENS9_16wrapped_functionINS0_4lessIvEEbEEEE10hipError_tPvRmT1_T2_T3_mmT4_T5_P12ihipStream_tbEUlRKxE_EESM_SQ_SR_mSS_SV_bEUlT_E_NS1_11comp_targetILNS1_3genE0ELNS1_11target_archE4294967295ELNS1_3gpuE0ELNS1_3repE0EEENS1_30default_config_static_selectorELNS0_4arch9wavefront6targetE1EEEvSP_,comdat
	.protected	_ZN7rocprim17ROCPRIM_400000_NS6detail17trampoline_kernelINS0_14default_configENS1_29binary_search_config_selectorIxiEEZNS1_14transform_implILb0ES3_S5_N6thrust23THRUST_200600_302600_NS6detail15normal_iteratorINS8_10device_ptrIxEEEENSA_INSB_IiEEEEZNS1_13binary_searchIS3_S5_SD_SD_SF_NS1_16binary_search_opENS9_16wrapped_functionINS0_4lessIvEEbEEEE10hipError_tPvRmT1_T2_T3_mmT4_T5_P12ihipStream_tbEUlRKxE_EESM_SQ_SR_mSS_SV_bEUlT_E_NS1_11comp_targetILNS1_3genE0ELNS1_11target_archE4294967295ELNS1_3gpuE0ELNS1_3repE0EEENS1_30default_config_static_selectorELNS0_4arch9wavefront6targetE1EEEvSP_ ; -- Begin function _ZN7rocprim17ROCPRIM_400000_NS6detail17trampoline_kernelINS0_14default_configENS1_29binary_search_config_selectorIxiEEZNS1_14transform_implILb0ES3_S5_N6thrust23THRUST_200600_302600_NS6detail15normal_iteratorINS8_10device_ptrIxEEEENSA_INSB_IiEEEEZNS1_13binary_searchIS3_S5_SD_SD_SF_NS1_16binary_search_opENS9_16wrapped_functionINS0_4lessIvEEbEEEE10hipError_tPvRmT1_T2_T3_mmT4_T5_P12ihipStream_tbEUlRKxE_EESM_SQ_SR_mSS_SV_bEUlT_E_NS1_11comp_targetILNS1_3genE0ELNS1_11target_archE4294967295ELNS1_3gpuE0ELNS1_3repE0EEENS1_30default_config_static_selectorELNS0_4arch9wavefront6targetE1EEEvSP_
	.globl	_ZN7rocprim17ROCPRIM_400000_NS6detail17trampoline_kernelINS0_14default_configENS1_29binary_search_config_selectorIxiEEZNS1_14transform_implILb0ES3_S5_N6thrust23THRUST_200600_302600_NS6detail15normal_iteratorINS8_10device_ptrIxEEEENSA_INSB_IiEEEEZNS1_13binary_searchIS3_S5_SD_SD_SF_NS1_16binary_search_opENS9_16wrapped_functionINS0_4lessIvEEbEEEE10hipError_tPvRmT1_T2_T3_mmT4_T5_P12ihipStream_tbEUlRKxE_EESM_SQ_SR_mSS_SV_bEUlT_E_NS1_11comp_targetILNS1_3genE0ELNS1_11target_archE4294967295ELNS1_3gpuE0ELNS1_3repE0EEENS1_30default_config_static_selectorELNS0_4arch9wavefront6targetE1EEEvSP_
	.p2align	8
	.type	_ZN7rocprim17ROCPRIM_400000_NS6detail17trampoline_kernelINS0_14default_configENS1_29binary_search_config_selectorIxiEEZNS1_14transform_implILb0ES3_S5_N6thrust23THRUST_200600_302600_NS6detail15normal_iteratorINS8_10device_ptrIxEEEENSA_INSB_IiEEEEZNS1_13binary_searchIS3_S5_SD_SD_SF_NS1_16binary_search_opENS9_16wrapped_functionINS0_4lessIvEEbEEEE10hipError_tPvRmT1_T2_T3_mmT4_T5_P12ihipStream_tbEUlRKxE_EESM_SQ_SR_mSS_SV_bEUlT_E_NS1_11comp_targetILNS1_3genE0ELNS1_11target_archE4294967295ELNS1_3gpuE0ELNS1_3repE0EEENS1_30default_config_static_selectorELNS0_4arch9wavefront6targetE1EEEvSP_,@function
_ZN7rocprim17ROCPRIM_400000_NS6detail17trampoline_kernelINS0_14default_configENS1_29binary_search_config_selectorIxiEEZNS1_14transform_implILb0ES3_S5_N6thrust23THRUST_200600_302600_NS6detail15normal_iteratorINS8_10device_ptrIxEEEENSA_INSB_IiEEEEZNS1_13binary_searchIS3_S5_SD_SD_SF_NS1_16binary_search_opENS9_16wrapped_functionINS0_4lessIvEEbEEEE10hipError_tPvRmT1_T2_T3_mmT4_T5_P12ihipStream_tbEUlRKxE_EESM_SQ_SR_mSS_SV_bEUlT_E_NS1_11comp_targetILNS1_3genE0ELNS1_11target_archE4294967295ELNS1_3gpuE0ELNS1_3repE0EEENS1_30default_config_static_selectorELNS0_4arch9wavefront6targetE1EEEvSP_: ; @_ZN7rocprim17ROCPRIM_400000_NS6detail17trampoline_kernelINS0_14default_configENS1_29binary_search_config_selectorIxiEEZNS1_14transform_implILb0ES3_S5_N6thrust23THRUST_200600_302600_NS6detail15normal_iteratorINS8_10device_ptrIxEEEENSA_INSB_IiEEEEZNS1_13binary_searchIS3_S5_SD_SD_SF_NS1_16binary_search_opENS9_16wrapped_functionINS0_4lessIvEEbEEEE10hipError_tPvRmT1_T2_T3_mmT4_T5_P12ihipStream_tbEUlRKxE_EESM_SQ_SR_mSS_SV_bEUlT_E_NS1_11comp_targetILNS1_3genE0ELNS1_11target_archE4294967295ELNS1_3gpuE0ELNS1_3repE0EEENS1_30default_config_static_selectorELNS0_4arch9wavefront6targetE1EEEvSP_
; %bb.0:
	.section	.rodata,"a",@progbits
	.p2align	6, 0x0
	.amdhsa_kernel _ZN7rocprim17ROCPRIM_400000_NS6detail17trampoline_kernelINS0_14default_configENS1_29binary_search_config_selectorIxiEEZNS1_14transform_implILb0ES3_S5_N6thrust23THRUST_200600_302600_NS6detail15normal_iteratorINS8_10device_ptrIxEEEENSA_INSB_IiEEEEZNS1_13binary_searchIS3_S5_SD_SD_SF_NS1_16binary_search_opENS9_16wrapped_functionINS0_4lessIvEEbEEEE10hipError_tPvRmT1_T2_T3_mmT4_T5_P12ihipStream_tbEUlRKxE_EESM_SQ_SR_mSS_SV_bEUlT_E_NS1_11comp_targetILNS1_3genE0ELNS1_11target_archE4294967295ELNS1_3gpuE0ELNS1_3repE0EEENS1_30default_config_static_selectorELNS0_4arch9wavefront6targetE1EEEvSP_
		.amdhsa_group_segment_fixed_size 0
		.amdhsa_private_segment_fixed_size 0
		.amdhsa_kernarg_size 56
		.amdhsa_user_sgpr_count 6
		.amdhsa_user_sgpr_private_segment_buffer 1
		.amdhsa_user_sgpr_dispatch_ptr 0
		.amdhsa_user_sgpr_queue_ptr 0
		.amdhsa_user_sgpr_kernarg_segment_ptr 1
		.amdhsa_user_sgpr_dispatch_id 0
		.amdhsa_user_sgpr_flat_scratch_init 0
		.amdhsa_user_sgpr_kernarg_preload_length 0
		.amdhsa_user_sgpr_kernarg_preload_offset 0
		.amdhsa_user_sgpr_private_segment_size 0
		.amdhsa_uses_dynamic_stack 0
		.amdhsa_system_sgpr_private_segment_wavefront_offset 0
		.amdhsa_system_sgpr_workgroup_id_x 1
		.amdhsa_system_sgpr_workgroup_id_y 0
		.amdhsa_system_sgpr_workgroup_id_z 0
		.amdhsa_system_sgpr_workgroup_info 0
		.amdhsa_system_vgpr_workitem_id 0
		.amdhsa_next_free_vgpr 1
		.amdhsa_next_free_sgpr 0
		.amdhsa_accum_offset 4
		.amdhsa_reserve_vcc 0
		.amdhsa_reserve_flat_scratch 0
		.amdhsa_float_round_mode_32 0
		.amdhsa_float_round_mode_16_64 0
		.amdhsa_float_denorm_mode_32 3
		.amdhsa_float_denorm_mode_16_64 3
		.amdhsa_dx10_clamp 1
		.amdhsa_ieee_mode 1
		.amdhsa_fp16_overflow 0
		.amdhsa_tg_split 0
		.amdhsa_exception_fp_ieee_invalid_op 0
		.amdhsa_exception_fp_denorm_src 0
		.amdhsa_exception_fp_ieee_div_zero 0
		.amdhsa_exception_fp_ieee_overflow 0
		.amdhsa_exception_fp_ieee_underflow 0
		.amdhsa_exception_fp_ieee_inexact 0
		.amdhsa_exception_int_div_zero 0
	.end_amdhsa_kernel
	.section	.text._ZN7rocprim17ROCPRIM_400000_NS6detail17trampoline_kernelINS0_14default_configENS1_29binary_search_config_selectorIxiEEZNS1_14transform_implILb0ES3_S5_N6thrust23THRUST_200600_302600_NS6detail15normal_iteratorINS8_10device_ptrIxEEEENSA_INSB_IiEEEEZNS1_13binary_searchIS3_S5_SD_SD_SF_NS1_16binary_search_opENS9_16wrapped_functionINS0_4lessIvEEbEEEE10hipError_tPvRmT1_T2_T3_mmT4_T5_P12ihipStream_tbEUlRKxE_EESM_SQ_SR_mSS_SV_bEUlT_E_NS1_11comp_targetILNS1_3genE0ELNS1_11target_archE4294967295ELNS1_3gpuE0ELNS1_3repE0EEENS1_30default_config_static_selectorELNS0_4arch9wavefront6targetE1EEEvSP_,"axG",@progbits,_ZN7rocprim17ROCPRIM_400000_NS6detail17trampoline_kernelINS0_14default_configENS1_29binary_search_config_selectorIxiEEZNS1_14transform_implILb0ES3_S5_N6thrust23THRUST_200600_302600_NS6detail15normal_iteratorINS8_10device_ptrIxEEEENSA_INSB_IiEEEEZNS1_13binary_searchIS3_S5_SD_SD_SF_NS1_16binary_search_opENS9_16wrapped_functionINS0_4lessIvEEbEEEE10hipError_tPvRmT1_T2_T3_mmT4_T5_P12ihipStream_tbEUlRKxE_EESM_SQ_SR_mSS_SV_bEUlT_E_NS1_11comp_targetILNS1_3genE0ELNS1_11target_archE4294967295ELNS1_3gpuE0ELNS1_3repE0EEENS1_30default_config_static_selectorELNS0_4arch9wavefront6targetE1EEEvSP_,comdat
.Lfunc_end501:
	.size	_ZN7rocprim17ROCPRIM_400000_NS6detail17trampoline_kernelINS0_14default_configENS1_29binary_search_config_selectorIxiEEZNS1_14transform_implILb0ES3_S5_N6thrust23THRUST_200600_302600_NS6detail15normal_iteratorINS8_10device_ptrIxEEEENSA_INSB_IiEEEEZNS1_13binary_searchIS3_S5_SD_SD_SF_NS1_16binary_search_opENS9_16wrapped_functionINS0_4lessIvEEbEEEE10hipError_tPvRmT1_T2_T3_mmT4_T5_P12ihipStream_tbEUlRKxE_EESM_SQ_SR_mSS_SV_bEUlT_E_NS1_11comp_targetILNS1_3genE0ELNS1_11target_archE4294967295ELNS1_3gpuE0ELNS1_3repE0EEENS1_30default_config_static_selectorELNS0_4arch9wavefront6targetE1EEEvSP_, .Lfunc_end501-_ZN7rocprim17ROCPRIM_400000_NS6detail17trampoline_kernelINS0_14default_configENS1_29binary_search_config_selectorIxiEEZNS1_14transform_implILb0ES3_S5_N6thrust23THRUST_200600_302600_NS6detail15normal_iteratorINS8_10device_ptrIxEEEENSA_INSB_IiEEEEZNS1_13binary_searchIS3_S5_SD_SD_SF_NS1_16binary_search_opENS9_16wrapped_functionINS0_4lessIvEEbEEEE10hipError_tPvRmT1_T2_T3_mmT4_T5_P12ihipStream_tbEUlRKxE_EESM_SQ_SR_mSS_SV_bEUlT_E_NS1_11comp_targetILNS1_3genE0ELNS1_11target_archE4294967295ELNS1_3gpuE0ELNS1_3repE0EEENS1_30default_config_static_selectorELNS0_4arch9wavefront6targetE1EEEvSP_
                                        ; -- End function
	.section	.AMDGPU.csdata,"",@progbits
; Kernel info:
; codeLenInByte = 0
; NumSgprs: 4
; NumVgprs: 0
; NumAgprs: 0
; TotalNumVgprs: 0
; ScratchSize: 0
; MemoryBound: 0
; FloatMode: 240
; IeeeMode: 1
; LDSByteSize: 0 bytes/workgroup (compile time only)
; SGPRBlocks: 0
; VGPRBlocks: 0
; NumSGPRsForWavesPerEU: 4
; NumVGPRsForWavesPerEU: 1
; AccumOffset: 4
; Occupancy: 8
; WaveLimiterHint : 0
; COMPUTE_PGM_RSRC2:SCRATCH_EN: 0
; COMPUTE_PGM_RSRC2:USER_SGPR: 6
; COMPUTE_PGM_RSRC2:TRAP_HANDLER: 0
; COMPUTE_PGM_RSRC2:TGID_X_EN: 1
; COMPUTE_PGM_RSRC2:TGID_Y_EN: 0
; COMPUTE_PGM_RSRC2:TGID_Z_EN: 0
; COMPUTE_PGM_RSRC2:TIDIG_COMP_CNT: 0
; COMPUTE_PGM_RSRC3_GFX90A:ACCUM_OFFSET: 0
; COMPUTE_PGM_RSRC3_GFX90A:TG_SPLIT: 0
	.section	.text._ZN7rocprim17ROCPRIM_400000_NS6detail17trampoline_kernelINS0_14default_configENS1_29binary_search_config_selectorIxiEEZNS1_14transform_implILb0ES3_S5_N6thrust23THRUST_200600_302600_NS6detail15normal_iteratorINS8_10device_ptrIxEEEENSA_INSB_IiEEEEZNS1_13binary_searchIS3_S5_SD_SD_SF_NS1_16binary_search_opENS9_16wrapped_functionINS0_4lessIvEEbEEEE10hipError_tPvRmT1_T2_T3_mmT4_T5_P12ihipStream_tbEUlRKxE_EESM_SQ_SR_mSS_SV_bEUlT_E_NS1_11comp_targetILNS1_3genE5ELNS1_11target_archE942ELNS1_3gpuE9ELNS1_3repE0EEENS1_30default_config_static_selectorELNS0_4arch9wavefront6targetE1EEEvSP_,"axG",@progbits,_ZN7rocprim17ROCPRIM_400000_NS6detail17trampoline_kernelINS0_14default_configENS1_29binary_search_config_selectorIxiEEZNS1_14transform_implILb0ES3_S5_N6thrust23THRUST_200600_302600_NS6detail15normal_iteratorINS8_10device_ptrIxEEEENSA_INSB_IiEEEEZNS1_13binary_searchIS3_S5_SD_SD_SF_NS1_16binary_search_opENS9_16wrapped_functionINS0_4lessIvEEbEEEE10hipError_tPvRmT1_T2_T3_mmT4_T5_P12ihipStream_tbEUlRKxE_EESM_SQ_SR_mSS_SV_bEUlT_E_NS1_11comp_targetILNS1_3genE5ELNS1_11target_archE942ELNS1_3gpuE9ELNS1_3repE0EEENS1_30default_config_static_selectorELNS0_4arch9wavefront6targetE1EEEvSP_,comdat
	.protected	_ZN7rocprim17ROCPRIM_400000_NS6detail17trampoline_kernelINS0_14default_configENS1_29binary_search_config_selectorIxiEEZNS1_14transform_implILb0ES3_S5_N6thrust23THRUST_200600_302600_NS6detail15normal_iteratorINS8_10device_ptrIxEEEENSA_INSB_IiEEEEZNS1_13binary_searchIS3_S5_SD_SD_SF_NS1_16binary_search_opENS9_16wrapped_functionINS0_4lessIvEEbEEEE10hipError_tPvRmT1_T2_T3_mmT4_T5_P12ihipStream_tbEUlRKxE_EESM_SQ_SR_mSS_SV_bEUlT_E_NS1_11comp_targetILNS1_3genE5ELNS1_11target_archE942ELNS1_3gpuE9ELNS1_3repE0EEENS1_30default_config_static_selectorELNS0_4arch9wavefront6targetE1EEEvSP_ ; -- Begin function _ZN7rocprim17ROCPRIM_400000_NS6detail17trampoline_kernelINS0_14default_configENS1_29binary_search_config_selectorIxiEEZNS1_14transform_implILb0ES3_S5_N6thrust23THRUST_200600_302600_NS6detail15normal_iteratorINS8_10device_ptrIxEEEENSA_INSB_IiEEEEZNS1_13binary_searchIS3_S5_SD_SD_SF_NS1_16binary_search_opENS9_16wrapped_functionINS0_4lessIvEEbEEEE10hipError_tPvRmT1_T2_T3_mmT4_T5_P12ihipStream_tbEUlRKxE_EESM_SQ_SR_mSS_SV_bEUlT_E_NS1_11comp_targetILNS1_3genE5ELNS1_11target_archE942ELNS1_3gpuE9ELNS1_3repE0EEENS1_30default_config_static_selectorELNS0_4arch9wavefront6targetE1EEEvSP_
	.globl	_ZN7rocprim17ROCPRIM_400000_NS6detail17trampoline_kernelINS0_14default_configENS1_29binary_search_config_selectorIxiEEZNS1_14transform_implILb0ES3_S5_N6thrust23THRUST_200600_302600_NS6detail15normal_iteratorINS8_10device_ptrIxEEEENSA_INSB_IiEEEEZNS1_13binary_searchIS3_S5_SD_SD_SF_NS1_16binary_search_opENS9_16wrapped_functionINS0_4lessIvEEbEEEE10hipError_tPvRmT1_T2_T3_mmT4_T5_P12ihipStream_tbEUlRKxE_EESM_SQ_SR_mSS_SV_bEUlT_E_NS1_11comp_targetILNS1_3genE5ELNS1_11target_archE942ELNS1_3gpuE9ELNS1_3repE0EEENS1_30default_config_static_selectorELNS0_4arch9wavefront6targetE1EEEvSP_
	.p2align	8
	.type	_ZN7rocprim17ROCPRIM_400000_NS6detail17trampoline_kernelINS0_14default_configENS1_29binary_search_config_selectorIxiEEZNS1_14transform_implILb0ES3_S5_N6thrust23THRUST_200600_302600_NS6detail15normal_iteratorINS8_10device_ptrIxEEEENSA_INSB_IiEEEEZNS1_13binary_searchIS3_S5_SD_SD_SF_NS1_16binary_search_opENS9_16wrapped_functionINS0_4lessIvEEbEEEE10hipError_tPvRmT1_T2_T3_mmT4_T5_P12ihipStream_tbEUlRKxE_EESM_SQ_SR_mSS_SV_bEUlT_E_NS1_11comp_targetILNS1_3genE5ELNS1_11target_archE942ELNS1_3gpuE9ELNS1_3repE0EEENS1_30default_config_static_selectorELNS0_4arch9wavefront6targetE1EEEvSP_,@function
_ZN7rocprim17ROCPRIM_400000_NS6detail17trampoline_kernelINS0_14default_configENS1_29binary_search_config_selectorIxiEEZNS1_14transform_implILb0ES3_S5_N6thrust23THRUST_200600_302600_NS6detail15normal_iteratorINS8_10device_ptrIxEEEENSA_INSB_IiEEEEZNS1_13binary_searchIS3_S5_SD_SD_SF_NS1_16binary_search_opENS9_16wrapped_functionINS0_4lessIvEEbEEEE10hipError_tPvRmT1_T2_T3_mmT4_T5_P12ihipStream_tbEUlRKxE_EESM_SQ_SR_mSS_SV_bEUlT_E_NS1_11comp_targetILNS1_3genE5ELNS1_11target_archE942ELNS1_3gpuE9ELNS1_3repE0EEENS1_30default_config_static_selectorELNS0_4arch9wavefront6targetE1EEEvSP_: ; @_ZN7rocprim17ROCPRIM_400000_NS6detail17trampoline_kernelINS0_14default_configENS1_29binary_search_config_selectorIxiEEZNS1_14transform_implILb0ES3_S5_N6thrust23THRUST_200600_302600_NS6detail15normal_iteratorINS8_10device_ptrIxEEEENSA_INSB_IiEEEEZNS1_13binary_searchIS3_S5_SD_SD_SF_NS1_16binary_search_opENS9_16wrapped_functionINS0_4lessIvEEbEEEE10hipError_tPvRmT1_T2_T3_mmT4_T5_P12ihipStream_tbEUlRKxE_EESM_SQ_SR_mSS_SV_bEUlT_E_NS1_11comp_targetILNS1_3genE5ELNS1_11target_archE942ELNS1_3gpuE9ELNS1_3repE0EEENS1_30default_config_static_selectorELNS0_4arch9wavefront6targetE1EEEvSP_
; %bb.0:
	.section	.rodata,"a",@progbits
	.p2align	6, 0x0
	.amdhsa_kernel _ZN7rocprim17ROCPRIM_400000_NS6detail17trampoline_kernelINS0_14default_configENS1_29binary_search_config_selectorIxiEEZNS1_14transform_implILb0ES3_S5_N6thrust23THRUST_200600_302600_NS6detail15normal_iteratorINS8_10device_ptrIxEEEENSA_INSB_IiEEEEZNS1_13binary_searchIS3_S5_SD_SD_SF_NS1_16binary_search_opENS9_16wrapped_functionINS0_4lessIvEEbEEEE10hipError_tPvRmT1_T2_T3_mmT4_T5_P12ihipStream_tbEUlRKxE_EESM_SQ_SR_mSS_SV_bEUlT_E_NS1_11comp_targetILNS1_3genE5ELNS1_11target_archE942ELNS1_3gpuE9ELNS1_3repE0EEENS1_30default_config_static_selectorELNS0_4arch9wavefront6targetE1EEEvSP_
		.amdhsa_group_segment_fixed_size 0
		.amdhsa_private_segment_fixed_size 0
		.amdhsa_kernarg_size 56
		.amdhsa_user_sgpr_count 6
		.amdhsa_user_sgpr_private_segment_buffer 1
		.amdhsa_user_sgpr_dispatch_ptr 0
		.amdhsa_user_sgpr_queue_ptr 0
		.amdhsa_user_sgpr_kernarg_segment_ptr 1
		.amdhsa_user_sgpr_dispatch_id 0
		.amdhsa_user_sgpr_flat_scratch_init 0
		.amdhsa_user_sgpr_kernarg_preload_length 0
		.amdhsa_user_sgpr_kernarg_preload_offset 0
		.amdhsa_user_sgpr_private_segment_size 0
		.amdhsa_uses_dynamic_stack 0
		.amdhsa_system_sgpr_private_segment_wavefront_offset 0
		.amdhsa_system_sgpr_workgroup_id_x 1
		.amdhsa_system_sgpr_workgroup_id_y 0
		.amdhsa_system_sgpr_workgroup_id_z 0
		.amdhsa_system_sgpr_workgroup_info 0
		.amdhsa_system_vgpr_workitem_id 0
		.amdhsa_next_free_vgpr 1
		.amdhsa_next_free_sgpr 0
		.amdhsa_accum_offset 4
		.amdhsa_reserve_vcc 0
		.amdhsa_reserve_flat_scratch 0
		.amdhsa_float_round_mode_32 0
		.amdhsa_float_round_mode_16_64 0
		.amdhsa_float_denorm_mode_32 3
		.amdhsa_float_denorm_mode_16_64 3
		.amdhsa_dx10_clamp 1
		.amdhsa_ieee_mode 1
		.amdhsa_fp16_overflow 0
		.amdhsa_tg_split 0
		.amdhsa_exception_fp_ieee_invalid_op 0
		.amdhsa_exception_fp_denorm_src 0
		.amdhsa_exception_fp_ieee_div_zero 0
		.amdhsa_exception_fp_ieee_overflow 0
		.amdhsa_exception_fp_ieee_underflow 0
		.amdhsa_exception_fp_ieee_inexact 0
		.amdhsa_exception_int_div_zero 0
	.end_amdhsa_kernel
	.section	.text._ZN7rocprim17ROCPRIM_400000_NS6detail17trampoline_kernelINS0_14default_configENS1_29binary_search_config_selectorIxiEEZNS1_14transform_implILb0ES3_S5_N6thrust23THRUST_200600_302600_NS6detail15normal_iteratorINS8_10device_ptrIxEEEENSA_INSB_IiEEEEZNS1_13binary_searchIS3_S5_SD_SD_SF_NS1_16binary_search_opENS9_16wrapped_functionINS0_4lessIvEEbEEEE10hipError_tPvRmT1_T2_T3_mmT4_T5_P12ihipStream_tbEUlRKxE_EESM_SQ_SR_mSS_SV_bEUlT_E_NS1_11comp_targetILNS1_3genE5ELNS1_11target_archE942ELNS1_3gpuE9ELNS1_3repE0EEENS1_30default_config_static_selectorELNS0_4arch9wavefront6targetE1EEEvSP_,"axG",@progbits,_ZN7rocprim17ROCPRIM_400000_NS6detail17trampoline_kernelINS0_14default_configENS1_29binary_search_config_selectorIxiEEZNS1_14transform_implILb0ES3_S5_N6thrust23THRUST_200600_302600_NS6detail15normal_iteratorINS8_10device_ptrIxEEEENSA_INSB_IiEEEEZNS1_13binary_searchIS3_S5_SD_SD_SF_NS1_16binary_search_opENS9_16wrapped_functionINS0_4lessIvEEbEEEE10hipError_tPvRmT1_T2_T3_mmT4_T5_P12ihipStream_tbEUlRKxE_EESM_SQ_SR_mSS_SV_bEUlT_E_NS1_11comp_targetILNS1_3genE5ELNS1_11target_archE942ELNS1_3gpuE9ELNS1_3repE0EEENS1_30default_config_static_selectorELNS0_4arch9wavefront6targetE1EEEvSP_,comdat
.Lfunc_end502:
	.size	_ZN7rocprim17ROCPRIM_400000_NS6detail17trampoline_kernelINS0_14default_configENS1_29binary_search_config_selectorIxiEEZNS1_14transform_implILb0ES3_S5_N6thrust23THRUST_200600_302600_NS6detail15normal_iteratorINS8_10device_ptrIxEEEENSA_INSB_IiEEEEZNS1_13binary_searchIS3_S5_SD_SD_SF_NS1_16binary_search_opENS9_16wrapped_functionINS0_4lessIvEEbEEEE10hipError_tPvRmT1_T2_T3_mmT4_T5_P12ihipStream_tbEUlRKxE_EESM_SQ_SR_mSS_SV_bEUlT_E_NS1_11comp_targetILNS1_3genE5ELNS1_11target_archE942ELNS1_3gpuE9ELNS1_3repE0EEENS1_30default_config_static_selectorELNS0_4arch9wavefront6targetE1EEEvSP_, .Lfunc_end502-_ZN7rocprim17ROCPRIM_400000_NS6detail17trampoline_kernelINS0_14default_configENS1_29binary_search_config_selectorIxiEEZNS1_14transform_implILb0ES3_S5_N6thrust23THRUST_200600_302600_NS6detail15normal_iteratorINS8_10device_ptrIxEEEENSA_INSB_IiEEEEZNS1_13binary_searchIS3_S5_SD_SD_SF_NS1_16binary_search_opENS9_16wrapped_functionINS0_4lessIvEEbEEEE10hipError_tPvRmT1_T2_T3_mmT4_T5_P12ihipStream_tbEUlRKxE_EESM_SQ_SR_mSS_SV_bEUlT_E_NS1_11comp_targetILNS1_3genE5ELNS1_11target_archE942ELNS1_3gpuE9ELNS1_3repE0EEENS1_30default_config_static_selectorELNS0_4arch9wavefront6targetE1EEEvSP_
                                        ; -- End function
	.section	.AMDGPU.csdata,"",@progbits
; Kernel info:
; codeLenInByte = 0
; NumSgprs: 4
; NumVgprs: 0
; NumAgprs: 0
; TotalNumVgprs: 0
; ScratchSize: 0
; MemoryBound: 0
; FloatMode: 240
; IeeeMode: 1
; LDSByteSize: 0 bytes/workgroup (compile time only)
; SGPRBlocks: 0
; VGPRBlocks: 0
; NumSGPRsForWavesPerEU: 4
; NumVGPRsForWavesPerEU: 1
; AccumOffset: 4
; Occupancy: 8
; WaveLimiterHint : 0
; COMPUTE_PGM_RSRC2:SCRATCH_EN: 0
; COMPUTE_PGM_RSRC2:USER_SGPR: 6
; COMPUTE_PGM_RSRC2:TRAP_HANDLER: 0
; COMPUTE_PGM_RSRC2:TGID_X_EN: 1
; COMPUTE_PGM_RSRC2:TGID_Y_EN: 0
; COMPUTE_PGM_RSRC2:TGID_Z_EN: 0
; COMPUTE_PGM_RSRC2:TIDIG_COMP_CNT: 0
; COMPUTE_PGM_RSRC3_GFX90A:ACCUM_OFFSET: 0
; COMPUTE_PGM_RSRC3_GFX90A:TG_SPLIT: 0
	.section	.text._ZN7rocprim17ROCPRIM_400000_NS6detail17trampoline_kernelINS0_14default_configENS1_29binary_search_config_selectorIxiEEZNS1_14transform_implILb0ES3_S5_N6thrust23THRUST_200600_302600_NS6detail15normal_iteratorINS8_10device_ptrIxEEEENSA_INSB_IiEEEEZNS1_13binary_searchIS3_S5_SD_SD_SF_NS1_16binary_search_opENS9_16wrapped_functionINS0_4lessIvEEbEEEE10hipError_tPvRmT1_T2_T3_mmT4_T5_P12ihipStream_tbEUlRKxE_EESM_SQ_SR_mSS_SV_bEUlT_E_NS1_11comp_targetILNS1_3genE4ELNS1_11target_archE910ELNS1_3gpuE8ELNS1_3repE0EEENS1_30default_config_static_selectorELNS0_4arch9wavefront6targetE1EEEvSP_,"axG",@progbits,_ZN7rocprim17ROCPRIM_400000_NS6detail17trampoline_kernelINS0_14default_configENS1_29binary_search_config_selectorIxiEEZNS1_14transform_implILb0ES3_S5_N6thrust23THRUST_200600_302600_NS6detail15normal_iteratorINS8_10device_ptrIxEEEENSA_INSB_IiEEEEZNS1_13binary_searchIS3_S5_SD_SD_SF_NS1_16binary_search_opENS9_16wrapped_functionINS0_4lessIvEEbEEEE10hipError_tPvRmT1_T2_T3_mmT4_T5_P12ihipStream_tbEUlRKxE_EESM_SQ_SR_mSS_SV_bEUlT_E_NS1_11comp_targetILNS1_3genE4ELNS1_11target_archE910ELNS1_3gpuE8ELNS1_3repE0EEENS1_30default_config_static_selectorELNS0_4arch9wavefront6targetE1EEEvSP_,comdat
	.protected	_ZN7rocprim17ROCPRIM_400000_NS6detail17trampoline_kernelINS0_14default_configENS1_29binary_search_config_selectorIxiEEZNS1_14transform_implILb0ES3_S5_N6thrust23THRUST_200600_302600_NS6detail15normal_iteratorINS8_10device_ptrIxEEEENSA_INSB_IiEEEEZNS1_13binary_searchIS3_S5_SD_SD_SF_NS1_16binary_search_opENS9_16wrapped_functionINS0_4lessIvEEbEEEE10hipError_tPvRmT1_T2_T3_mmT4_T5_P12ihipStream_tbEUlRKxE_EESM_SQ_SR_mSS_SV_bEUlT_E_NS1_11comp_targetILNS1_3genE4ELNS1_11target_archE910ELNS1_3gpuE8ELNS1_3repE0EEENS1_30default_config_static_selectorELNS0_4arch9wavefront6targetE1EEEvSP_ ; -- Begin function _ZN7rocprim17ROCPRIM_400000_NS6detail17trampoline_kernelINS0_14default_configENS1_29binary_search_config_selectorIxiEEZNS1_14transform_implILb0ES3_S5_N6thrust23THRUST_200600_302600_NS6detail15normal_iteratorINS8_10device_ptrIxEEEENSA_INSB_IiEEEEZNS1_13binary_searchIS3_S5_SD_SD_SF_NS1_16binary_search_opENS9_16wrapped_functionINS0_4lessIvEEbEEEE10hipError_tPvRmT1_T2_T3_mmT4_T5_P12ihipStream_tbEUlRKxE_EESM_SQ_SR_mSS_SV_bEUlT_E_NS1_11comp_targetILNS1_3genE4ELNS1_11target_archE910ELNS1_3gpuE8ELNS1_3repE0EEENS1_30default_config_static_selectorELNS0_4arch9wavefront6targetE1EEEvSP_
	.globl	_ZN7rocprim17ROCPRIM_400000_NS6detail17trampoline_kernelINS0_14default_configENS1_29binary_search_config_selectorIxiEEZNS1_14transform_implILb0ES3_S5_N6thrust23THRUST_200600_302600_NS6detail15normal_iteratorINS8_10device_ptrIxEEEENSA_INSB_IiEEEEZNS1_13binary_searchIS3_S5_SD_SD_SF_NS1_16binary_search_opENS9_16wrapped_functionINS0_4lessIvEEbEEEE10hipError_tPvRmT1_T2_T3_mmT4_T5_P12ihipStream_tbEUlRKxE_EESM_SQ_SR_mSS_SV_bEUlT_E_NS1_11comp_targetILNS1_3genE4ELNS1_11target_archE910ELNS1_3gpuE8ELNS1_3repE0EEENS1_30default_config_static_selectorELNS0_4arch9wavefront6targetE1EEEvSP_
	.p2align	8
	.type	_ZN7rocprim17ROCPRIM_400000_NS6detail17trampoline_kernelINS0_14default_configENS1_29binary_search_config_selectorIxiEEZNS1_14transform_implILb0ES3_S5_N6thrust23THRUST_200600_302600_NS6detail15normal_iteratorINS8_10device_ptrIxEEEENSA_INSB_IiEEEEZNS1_13binary_searchIS3_S5_SD_SD_SF_NS1_16binary_search_opENS9_16wrapped_functionINS0_4lessIvEEbEEEE10hipError_tPvRmT1_T2_T3_mmT4_T5_P12ihipStream_tbEUlRKxE_EESM_SQ_SR_mSS_SV_bEUlT_E_NS1_11comp_targetILNS1_3genE4ELNS1_11target_archE910ELNS1_3gpuE8ELNS1_3repE0EEENS1_30default_config_static_selectorELNS0_4arch9wavefront6targetE1EEEvSP_,@function
_ZN7rocprim17ROCPRIM_400000_NS6detail17trampoline_kernelINS0_14default_configENS1_29binary_search_config_selectorIxiEEZNS1_14transform_implILb0ES3_S5_N6thrust23THRUST_200600_302600_NS6detail15normal_iteratorINS8_10device_ptrIxEEEENSA_INSB_IiEEEEZNS1_13binary_searchIS3_S5_SD_SD_SF_NS1_16binary_search_opENS9_16wrapped_functionINS0_4lessIvEEbEEEE10hipError_tPvRmT1_T2_T3_mmT4_T5_P12ihipStream_tbEUlRKxE_EESM_SQ_SR_mSS_SV_bEUlT_E_NS1_11comp_targetILNS1_3genE4ELNS1_11target_archE910ELNS1_3gpuE8ELNS1_3repE0EEENS1_30default_config_static_selectorELNS0_4arch9wavefront6targetE1EEEvSP_: ; @_ZN7rocprim17ROCPRIM_400000_NS6detail17trampoline_kernelINS0_14default_configENS1_29binary_search_config_selectorIxiEEZNS1_14transform_implILb0ES3_S5_N6thrust23THRUST_200600_302600_NS6detail15normal_iteratorINS8_10device_ptrIxEEEENSA_INSB_IiEEEEZNS1_13binary_searchIS3_S5_SD_SD_SF_NS1_16binary_search_opENS9_16wrapped_functionINS0_4lessIvEEbEEEE10hipError_tPvRmT1_T2_T3_mmT4_T5_P12ihipStream_tbEUlRKxE_EESM_SQ_SR_mSS_SV_bEUlT_E_NS1_11comp_targetILNS1_3genE4ELNS1_11target_archE910ELNS1_3gpuE8ELNS1_3repE0EEENS1_30default_config_static_selectorELNS0_4arch9wavefront6targetE1EEEvSP_
; %bb.0:
	s_load_dwordx4 s[16:19], s[4:5], 0x0
	s_load_dwordx4 s[0:3], s[4:5], 0x18
	s_load_dwordx2 s[10:11], s[4:5], 0x28
	s_load_dword s15, s[4:5], 0x38
	s_waitcnt lgkmcnt(0)
	s_lshl_b64 s[8:9], s[18:19], 3
	s_add_u32 s7, s16, s8
	s_addc_u32 s14, s17, s9
	s_lshl_b64 s[8:9], s[18:19], 2
	s_add_u32 s12, s0, s8
	s_addc_u32 s13, s1, s9
	s_lshl_b32 s8, s6, 6
	s_add_i32 s15, s15, -1
	s_mov_b32 s9, 0
	s_cmp_lg_u32 s6, s15
	s_mov_b64 s[0:1], -1
	s_cbranch_scc0 .LBB503_8
; %bb.1:
	s_lshl_b64 s[0:1], s[8:9], 3
	s_add_u32 s0, s7, s0
	s_addc_u32 s1, s14, s1
	v_lshlrev_b32_e32 v1, 3, v0
	v_mov_b32_e32 v3, s1
	v_add_co_u32_e32 v2, vcc, s0, v1
	v_addc_co_u32_e32 v3, vcc, 0, v3, vcc
	flat_load_dwordx2 v[2:3], v[2:3]
	s_mov_b64 s[0:1], 0
	s_cmp_eq_u64 s[10:11], 0
	v_pk_mov_b32 v[4:5], 0, 0
	s_cbranch_scc1 .LBB503_5
; %bb.2:
	v_pk_mov_b32 v[4:5], 0, 0
	v_pk_mov_b32 v[6:7], s[10:11], s[10:11] op_sel:[0,1]
	v_mov_b32_e32 v1, s3
.LBB503_3:                              ; =>This Inner Loop Header: Depth=1
	v_sub_co_u32_e32 v8, vcc, v6, v4
	v_subb_co_u32_e32 v9, vcc, v7, v5, vcc
	v_lshrrev_b64 v[10:11], 1, v[8:9]
	v_add_co_u32_e32 v10, vcc, v10, v4
	v_lshrrev_b64 v[8:9], 6, v[8:9]
	v_addc_co_u32_e32 v11, vcc, v11, v5, vcc
	v_add_co_u32_e32 v8, vcc, v10, v8
	v_addc_co_u32_e32 v9, vcc, v11, v9, vcc
	v_lshlrev_b64 v[10:11], 3, v[8:9]
	v_add_co_u32_e32 v10, vcc, s2, v10
	v_addc_co_u32_e32 v11, vcc, v1, v11, vcc
	global_load_dwordx2 v[10:11], v[10:11], off
	v_add_co_u32_e32 v12, vcc, 1, v8
	v_addc_co_u32_e32 v13, vcc, 0, v9, vcc
	s_waitcnt vmcnt(0) lgkmcnt(0)
	v_cmp_lt_i64_e32 vcc, v[10:11], v[2:3]
	v_cndmask_b32_e32 v7, v9, v7, vcc
	v_cndmask_b32_e32 v6, v8, v6, vcc
	;; [unrolled: 1-line block ×4, first 2 shown]
	v_cmp_ge_u64_e32 vcc, v[4:5], v[6:7]
	s_or_b64 s[0:1], vcc, s[0:1]
	s_andn2_b64 exec, exec, s[0:1]
	s_cbranch_execnz .LBB503_3
; %bb.4:
	s_or_b64 exec, exec, s[0:1]
.LBB503_5:
	v_cmp_ne_u64_e32 vcc, s[10:11], v[4:5]
	v_mov_b32_e32 v1, 0
	s_and_saveexec_b64 s[0:1], vcc
	s_cbranch_execz .LBB503_7
; %bb.6:
	v_lshlrev_b64 v[4:5], 3, v[4:5]
	v_mov_b32_e32 v1, s3
	v_add_co_u32_e32 v4, vcc, s2, v4
	v_addc_co_u32_e32 v5, vcc, v1, v5, vcc
	global_load_dwordx2 v[4:5], v[4:5], off
	s_waitcnt vmcnt(0) lgkmcnt(0)
	v_cmp_le_i64_e32 vcc, v[4:5], v[2:3]
	v_cndmask_b32_e64 v1, 0, 1, vcc
.LBB503_7:
	s_or_b64 exec, exec, s[0:1]
	s_lshl_b64 s[0:1], s[8:9], 2
	s_add_u32 s0, s12, s0
	s_addc_u32 s1, s13, s1
	s_waitcnt vmcnt(0) lgkmcnt(0)
	v_lshlrev_b32_e32 v2, 2, v0
	v_mov_b32_e32 v3, s1
	v_add_co_u32_e32 v2, vcc, s0, v2
	v_addc_co_u32_e32 v3, vcc, 0, v3, vcc
	s_mov_b64 s[0:1], 0
	flat_store_dword v[2:3], v1
.LBB503_8:
	s_and_b64 vcc, exec, s[0:1]
	s_cbranch_vccz .LBB503_13
; %bb.9:
	s_load_dword s0, s[4:5], 0x10
                                        ; implicit-def: $vgpr2_vgpr3
	s_waitcnt lgkmcnt(0)
	s_sub_i32 s0, s0, s8
	v_cmp_gt_u32_e32 vcc, s0, v0
	s_and_saveexec_b64 s[4:5], vcc
	s_cbranch_execnz .LBB503_14
; %bb.10:
	s_or_b64 exec, exec, s[4:5]
                                        ; implicit-def: $vgpr1
	s_and_saveexec_b64 s[4:5], vcc
	s_cbranch_execnz .LBB503_15
.LBB503_11:
	s_or_b64 exec, exec, s[4:5]
	s_and_saveexec_b64 s[0:1], vcc
	s_cbranch_execz .LBB503_13
.LBB503_12:
	s_lshl_b64 s[0:1], s[8:9], 2
	s_add_u32 s0, s12, s0
	s_addc_u32 s1, s13, s1
	v_lshlrev_b32_e32 v0, 2, v0
	s_waitcnt vmcnt(0) lgkmcnt(0)
	v_mov_b32_e32 v3, s1
	v_add_co_u32_e32 v2, vcc, s0, v0
	v_addc_co_u32_e32 v3, vcc, 0, v3, vcc
	flat_store_dword v[2:3], v1
.LBB503_13:
	s_endpgm
.LBB503_14:
	s_lshl_b64 s[0:1], s[8:9], 3
	s_add_u32 s0, s7, s0
	s_addc_u32 s1, s14, s1
	v_lshlrev_b32_e32 v1, 3, v0
	v_mov_b32_e32 v3, s1
	v_add_co_u32_e64 v2, s[0:1], s0, v1
	v_addc_co_u32_e64 v3, s[0:1], 0, v3, s[0:1]
	flat_load_dwordx2 v[2:3], v[2:3]
	s_or_b64 exec, exec, s[4:5]
                                        ; implicit-def: $vgpr1
	s_and_saveexec_b64 s[4:5], vcc
	s_cbranch_execz .LBB503_11
.LBB503_15:
	s_mov_b64 s[6:7], 0
	s_cmp_eq_u64 s[10:11], 0
	v_pk_mov_b32 v[4:5], 0, 0
	s_cbranch_scc1 .LBB503_19
; %bb.16:
	v_pk_mov_b32 v[4:5], 0, 0
	v_pk_mov_b32 v[6:7], s[10:11], s[10:11] op_sel:[0,1]
	v_mov_b32_e32 v1, s3
.LBB503_17:                             ; =>This Inner Loop Header: Depth=1
	v_sub_co_u32_e64 v8, s[0:1], v6, v4
	v_subb_co_u32_e64 v9, s[0:1], v7, v5, s[0:1]
	v_lshrrev_b64 v[10:11], 1, v[8:9]
	v_add_co_u32_e64 v10, s[0:1], v10, v4
	v_lshrrev_b64 v[8:9], 6, v[8:9]
	v_addc_co_u32_e64 v11, s[0:1], v11, v5, s[0:1]
	v_add_co_u32_e64 v8, s[0:1], v10, v8
	v_addc_co_u32_e64 v9, s[0:1], v11, v9, s[0:1]
	v_lshlrev_b64 v[10:11], 3, v[8:9]
	v_add_co_u32_e64 v10, s[0:1], s2, v10
	v_addc_co_u32_e64 v11, s[0:1], v1, v11, s[0:1]
	global_load_dwordx2 v[10:11], v[10:11], off
	v_add_co_u32_e64 v12, s[0:1], 1, v8
	v_addc_co_u32_e64 v13, s[0:1], 0, v9, s[0:1]
	s_waitcnt vmcnt(0) lgkmcnt(0)
	v_cmp_lt_i64_e64 s[0:1], v[10:11], v[2:3]
	v_cndmask_b32_e64 v7, v9, v7, s[0:1]
	v_cndmask_b32_e64 v6, v8, v6, s[0:1]
	;; [unrolled: 1-line block ×4, first 2 shown]
	v_cmp_ge_u64_e64 s[0:1], v[4:5], v[6:7]
	s_or_b64 s[6:7], s[0:1], s[6:7]
	s_andn2_b64 exec, exec, s[6:7]
	s_cbranch_execnz .LBB503_17
; %bb.18:
	s_or_b64 exec, exec, s[6:7]
.LBB503_19:
	v_cmp_ne_u64_e64 s[0:1], s[10:11], v[4:5]
	v_mov_b32_e32 v1, 0
	s_and_saveexec_b64 s[6:7], s[0:1]
	s_cbranch_execz .LBB503_21
; %bb.20:
	v_lshlrev_b64 v[4:5], 3, v[4:5]
	v_mov_b32_e32 v1, s3
	v_add_co_u32_e64 v4, s[0:1], s2, v4
	v_addc_co_u32_e64 v5, s[0:1], v1, v5, s[0:1]
	global_load_dwordx2 v[4:5], v[4:5], off
	s_waitcnt vmcnt(0) lgkmcnt(0)
	v_cmp_le_i64_e64 s[0:1], v[4:5], v[2:3]
	v_cndmask_b32_e64 v1, 0, 1, s[0:1]
.LBB503_21:
	s_or_b64 exec, exec, s[6:7]
	s_or_b64 exec, exec, s[4:5]
	s_and_saveexec_b64 s[0:1], vcc
	s_cbranch_execnz .LBB503_12
	s_branch .LBB503_13
	.section	.rodata,"a",@progbits
	.p2align	6, 0x0
	.amdhsa_kernel _ZN7rocprim17ROCPRIM_400000_NS6detail17trampoline_kernelINS0_14default_configENS1_29binary_search_config_selectorIxiEEZNS1_14transform_implILb0ES3_S5_N6thrust23THRUST_200600_302600_NS6detail15normal_iteratorINS8_10device_ptrIxEEEENSA_INSB_IiEEEEZNS1_13binary_searchIS3_S5_SD_SD_SF_NS1_16binary_search_opENS9_16wrapped_functionINS0_4lessIvEEbEEEE10hipError_tPvRmT1_T2_T3_mmT4_T5_P12ihipStream_tbEUlRKxE_EESM_SQ_SR_mSS_SV_bEUlT_E_NS1_11comp_targetILNS1_3genE4ELNS1_11target_archE910ELNS1_3gpuE8ELNS1_3repE0EEENS1_30default_config_static_selectorELNS0_4arch9wavefront6targetE1EEEvSP_
		.amdhsa_group_segment_fixed_size 0
		.amdhsa_private_segment_fixed_size 0
		.amdhsa_kernarg_size 312
		.amdhsa_user_sgpr_count 6
		.amdhsa_user_sgpr_private_segment_buffer 1
		.amdhsa_user_sgpr_dispatch_ptr 0
		.amdhsa_user_sgpr_queue_ptr 0
		.amdhsa_user_sgpr_kernarg_segment_ptr 1
		.amdhsa_user_sgpr_dispatch_id 0
		.amdhsa_user_sgpr_flat_scratch_init 0
		.amdhsa_user_sgpr_kernarg_preload_length 0
		.amdhsa_user_sgpr_kernarg_preload_offset 0
		.amdhsa_user_sgpr_private_segment_size 0
		.amdhsa_uses_dynamic_stack 0
		.amdhsa_system_sgpr_private_segment_wavefront_offset 0
		.amdhsa_system_sgpr_workgroup_id_x 1
		.amdhsa_system_sgpr_workgroup_id_y 0
		.amdhsa_system_sgpr_workgroup_id_z 0
		.amdhsa_system_sgpr_workgroup_info 0
		.amdhsa_system_vgpr_workitem_id 0
		.amdhsa_next_free_vgpr 14
		.amdhsa_next_free_sgpr 20
		.amdhsa_accum_offset 16
		.amdhsa_reserve_vcc 1
		.amdhsa_reserve_flat_scratch 0
		.amdhsa_float_round_mode_32 0
		.amdhsa_float_round_mode_16_64 0
		.amdhsa_float_denorm_mode_32 3
		.amdhsa_float_denorm_mode_16_64 3
		.amdhsa_dx10_clamp 1
		.amdhsa_ieee_mode 1
		.amdhsa_fp16_overflow 0
		.amdhsa_tg_split 0
		.amdhsa_exception_fp_ieee_invalid_op 0
		.amdhsa_exception_fp_denorm_src 0
		.amdhsa_exception_fp_ieee_div_zero 0
		.amdhsa_exception_fp_ieee_overflow 0
		.amdhsa_exception_fp_ieee_underflow 0
		.amdhsa_exception_fp_ieee_inexact 0
		.amdhsa_exception_int_div_zero 0
	.end_amdhsa_kernel
	.section	.text._ZN7rocprim17ROCPRIM_400000_NS6detail17trampoline_kernelINS0_14default_configENS1_29binary_search_config_selectorIxiEEZNS1_14transform_implILb0ES3_S5_N6thrust23THRUST_200600_302600_NS6detail15normal_iteratorINS8_10device_ptrIxEEEENSA_INSB_IiEEEEZNS1_13binary_searchIS3_S5_SD_SD_SF_NS1_16binary_search_opENS9_16wrapped_functionINS0_4lessIvEEbEEEE10hipError_tPvRmT1_T2_T3_mmT4_T5_P12ihipStream_tbEUlRKxE_EESM_SQ_SR_mSS_SV_bEUlT_E_NS1_11comp_targetILNS1_3genE4ELNS1_11target_archE910ELNS1_3gpuE8ELNS1_3repE0EEENS1_30default_config_static_selectorELNS0_4arch9wavefront6targetE1EEEvSP_,"axG",@progbits,_ZN7rocprim17ROCPRIM_400000_NS6detail17trampoline_kernelINS0_14default_configENS1_29binary_search_config_selectorIxiEEZNS1_14transform_implILb0ES3_S5_N6thrust23THRUST_200600_302600_NS6detail15normal_iteratorINS8_10device_ptrIxEEEENSA_INSB_IiEEEEZNS1_13binary_searchIS3_S5_SD_SD_SF_NS1_16binary_search_opENS9_16wrapped_functionINS0_4lessIvEEbEEEE10hipError_tPvRmT1_T2_T3_mmT4_T5_P12ihipStream_tbEUlRKxE_EESM_SQ_SR_mSS_SV_bEUlT_E_NS1_11comp_targetILNS1_3genE4ELNS1_11target_archE910ELNS1_3gpuE8ELNS1_3repE0EEENS1_30default_config_static_selectorELNS0_4arch9wavefront6targetE1EEEvSP_,comdat
.Lfunc_end503:
	.size	_ZN7rocprim17ROCPRIM_400000_NS6detail17trampoline_kernelINS0_14default_configENS1_29binary_search_config_selectorIxiEEZNS1_14transform_implILb0ES3_S5_N6thrust23THRUST_200600_302600_NS6detail15normal_iteratorINS8_10device_ptrIxEEEENSA_INSB_IiEEEEZNS1_13binary_searchIS3_S5_SD_SD_SF_NS1_16binary_search_opENS9_16wrapped_functionINS0_4lessIvEEbEEEE10hipError_tPvRmT1_T2_T3_mmT4_T5_P12ihipStream_tbEUlRKxE_EESM_SQ_SR_mSS_SV_bEUlT_E_NS1_11comp_targetILNS1_3genE4ELNS1_11target_archE910ELNS1_3gpuE8ELNS1_3repE0EEENS1_30default_config_static_selectorELNS0_4arch9wavefront6targetE1EEEvSP_, .Lfunc_end503-_ZN7rocprim17ROCPRIM_400000_NS6detail17trampoline_kernelINS0_14default_configENS1_29binary_search_config_selectorIxiEEZNS1_14transform_implILb0ES3_S5_N6thrust23THRUST_200600_302600_NS6detail15normal_iteratorINS8_10device_ptrIxEEEENSA_INSB_IiEEEEZNS1_13binary_searchIS3_S5_SD_SD_SF_NS1_16binary_search_opENS9_16wrapped_functionINS0_4lessIvEEbEEEE10hipError_tPvRmT1_T2_T3_mmT4_T5_P12ihipStream_tbEUlRKxE_EESM_SQ_SR_mSS_SV_bEUlT_E_NS1_11comp_targetILNS1_3genE4ELNS1_11target_archE910ELNS1_3gpuE8ELNS1_3repE0EEENS1_30default_config_static_selectorELNS0_4arch9wavefront6targetE1EEEvSP_
                                        ; -- End function
	.section	.AMDGPU.csdata,"",@progbits
; Kernel info:
; codeLenInByte = 860
; NumSgprs: 24
; NumVgprs: 14
; NumAgprs: 0
; TotalNumVgprs: 14
; ScratchSize: 0
; MemoryBound: 0
; FloatMode: 240
; IeeeMode: 1
; LDSByteSize: 0 bytes/workgroup (compile time only)
; SGPRBlocks: 2
; VGPRBlocks: 1
; NumSGPRsForWavesPerEU: 24
; NumVGPRsForWavesPerEU: 14
; AccumOffset: 16
; Occupancy: 8
; WaveLimiterHint : 0
; COMPUTE_PGM_RSRC2:SCRATCH_EN: 0
; COMPUTE_PGM_RSRC2:USER_SGPR: 6
; COMPUTE_PGM_RSRC2:TRAP_HANDLER: 0
; COMPUTE_PGM_RSRC2:TGID_X_EN: 1
; COMPUTE_PGM_RSRC2:TGID_Y_EN: 0
; COMPUTE_PGM_RSRC2:TGID_Z_EN: 0
; COMPUTE_PGM_RSRC2:TIDIG_COMP_CNT: 0
; COMPUTE_PGM_RSRC3_GFX90A:ACCUM_OFFSET: 3
; COMPUTE_PGM_RSRC3_GFX90A:TG_SPLIT: 0
	.section	.text._ZN7rocprim17ROCPRIM_400000_NS6detail17trampoline_kernelINS0_14default_configENS1_29binary_search_config_selectorIxiEEZNS1_14transform_implILb0ES3_S5_N6thrust23THRUST_200600_302600_NS6detail15normal_iteratorINS8_10device_ptrIxEEEENSA_INSB_IiEEEEZNS1_13binary_searchIS3_S5_SD_SD_SF_NS1_16binary_search_opENS9_16wrapped_functionINS0_4lessIvEEbEEEE10hipError_tPvRmT1_T2_T3_mmT4_T5_P12ihipStream_tbEUlRKxE_EESM_SQ_SR_mSS_SV_bEUlT_E_NS1_11comp_targetILNS1_3genE3ELNS1_11target_archE908ELNS1_3gpuE7ELNS1_3repE0EEENS1_30default_config_static_selectorELNS0_4arch9wavefront6targetE1EEEvSP_,"axG",@progbits,_ZN7rocprim17ROCPRIM_400000_NS6detail17trampoline_kernelINS0_14default_configENS1_29binary_search_config_selectorIxiEEZNS1_14transform_implILb0ES3_S5_N6thrust23THRUST_200600_302600_NS6detail15normal_iteratorINS8_10device_ptrIxEEEENSA_INSB_IiEEEEZNS1_13binary_searchIS3_S5_SD_SD_SF_NS1_16binary_search_opENS9_16wrapped_functionINS0_4lessIvEEbEEEE10hipError_tPvRmT1_T2_T3_mmT4_T5_P12ihipStream_tbEUlRKxE_EESM_SQ_SR_mSS_SV_bEUlT_E_NS1_11comp_targetILNS1_3genE3ELNS1_11target_archE908ELNS1_3gpuE7ELNS1_3repE0EEENS1_30default_config_static_selectorELNS0_4arch9wavefront6targetE1EEEvSP_,comdat
	.protected	_ZN7rocprim17ROCPRIM_400000_NS6detail17trampoline_kernelINS0_14default_configENS1_29binary_search_config_selectorIxiEEZNS1_14transform_implILb0ES3_S5_N6thrust23THRUST_200600_302600_NS6detail15normal_iteratorINS8_10device_ptrIxEEEENSA_INSB_IiEEEEZNS1_13binary_searchIS3_S5_SD_SD_SF_NS1_16binary_search_opENS9_16wrapped_functionINS0_4lessIvEEbEEEE10hipError_tPvRmT1_T2_T3_mmT4_T5_P12ihipStream_tbEUlRKxE_EESM_SQ_SR_mSS_SV_bEUlT_E_NS1_11comp_targetILNS1_3genE3ELNS1_11target_archE908ELNS1_3gpuE7ELNS1_3repE0EEENS1_30default_config_static_selectorELNS0_4arch9wavefront6targetE1EEEvSP_ ; -- Begin function _ZN7rocprim17ROCPRIM_400000_NS6detail17trampoline_kernelINS0_14default_configENS1_29binary_search_config_selectorIxiEEZNS1_14transform_implILb0ES3_S5_N6thrust23THRUST_200600_302600_NS6detail15normal_iteratorINS8_10device_ptrIxEEEENSA_INSB_IiEEEEZNS1_13binary_searchIS3_S5_SD_SD_SF_NS1_16binary_search_opENS9_16wrapped_functionINS0_4lessIvEEbEEEE10hipError_tPvRmT1_T2_T3_mmT4_T5_P12ihipStream_tbEUlRKxE_EESM_SQ_SR_mSS_SV_bEUlT_E_NS1_11comp_targetILNS1_3genE3ELNS1_11target_archE908ELNS1_3gpuE7ELNS1_3repE0EEENS1_30default_config_static_selectorELNS0_4arch9wavefront6targetE1EEEvSP_
	.globl	_ZN7rocprim17ROCPRIM_400000_NS6detail17trampoline_kernelINS0_14default_configENS1_29binary_search_config_selectorIxiEEZNS1_14transform_implILb0ES3_S5_N6thrust23THRUST_200600_302600_NS6detail15normal_iteratorINS8_10device_ptrIxEEEENSA_INSB_IiEEEEZNS1_13binary_searchIS3_S5_SD_SD_SF_NS1_16binary_search_opENS9_16wrapped_functionINS0_4lessIvEEbEEEE10hipError_tPvRmT1_T2_T3_mmT4_T5_P12ihipStream_tbEUlRKxE_EESM_SQ_SR_mSS_SV_bEUlT_E_NS1_11comp_targetILNS1_3genE3ELNS1_11target_archE908ELNS1_3gpuE7ELNS1_3repE0EEENS1_30default_config_static_selectorELNS0_4arch9wavefront6targetE1EEEvSP_
	.p2align	8
	.type	_ZN7rocprim17ROCPRIM_400000_NS6detail17trampoline_kernelINS0_14default_configENS1_29binary_search_config_selectorIxiEEZNS1_14transform_implILb0ES3_S5_N6thrust23THRUST_200600_302600_NS6detail15normal_iteratorINS8_10device_ptrIxEEEENSA_INSB_IiEEEEZNS1_13binary_searchIS3_S5_SD_SD_SF_NS1_16binary_search_opENS9_16wrapped_functionINS0_4lessIvEEbEEEE10hipError_tPvRmT1_T2_T3_mmT4_T5_P12ihipStream_tbEUlRKxE_EESM_SQ_SR_mSS_SV_bEUlT_E_NS1_11comp_targetILNS1_3genE3ELNS1_11target_archE908ELNS1_3gpuE7ELNS1_3repE0EEENS1_30default_config_static_selectorELNS0_4arch9wavefront6targetE1EEEvSP_,@function
_ZN7rocprim17ROCPRIM_400000_NS6detail17trampoline_kernelINS0_14default_configENS1_29binary_search_config_selectorIxiEEZNS1_14transform_implILb0ES3_S5_N6thrust23THRUST_200600_302600_NS6detail15normal_iteratorINS8_10device_ptrIxEEEENSA_INSB_IiEEEEZNS1_13binary_searchIS3_S5_SD_SD_SF_NS1_16binary_search_opENS9_16wrapped_functionINS0_4lessIvEEbEEEE10hipError_tPvRmT1_T2_T3_mmT4_T5_P12ihipStream_tbEUlRKxE_EESM_SQ_SR_mSS_SV_bEUlT_E_NS1_11comp_targetILNS1_3genE3ELNS1_11target_archE908ELNS1_3gpuE7ELNS1_3repE0EEENS1_30default_config_static_selectorELNS0_4arch9wavefront6targetE1EEEvSP_: ; @_ZN7rocprim17ROCPRIM_400000_NS6detail17trampoline_kernelINS0_14default_configENS1_29binary_search_config_selectorIxiEEZNS1_14transform_implILb0ES3_S5_N6thrust23THRUST_200600_302600_NS6detail15normal_iteratorINS8_10device_ptrIxEEEENSA_INSB_IiEEEEZNS1_13binary_searchIS3_S5_SD_SD_SF_NS1_16binary_search_opENS9_16wrapped_functionINS0_4lessIvEEbEEEE10hipError_tPvRmT1_T2_T3_mmT4_T5_P12ihipStream_tbEUlRKxE_EESM_SQ_SR_mSS_SV_bEUlT_E_NS1_11comp_targetILNS1_3genE3ELNS1_11target_archE908ELNS1_3gpuE7ELNS1_3repE0EEENS1_30default_config_static_selectorELNS0_4arch9wavefront6targetE1EEEvSP_
; %bb.0:
	.section	.rodata,"a",@progbits
	.p2align	6, 0x0
	.amdhsa_kernel _ZN7rocprim17ROCPRIM_400000_NS6detail17trampoline_kernelINS0_14default_configENS1_29binary_search_config_selectorIxiEEZNS1_14transform_implILb0ES3_S5_N6thrust23THRUST_200600_302600_NS6detail15normal_iteratorINS8_10device_ptrIxEEEENSA_INSB_IiEEEEZNS1_13binary_searchIS3_S5_SD_SD_SF_NS1_16binary_search_opENS9_16wrapped_functionINS0_4lessIvEEbEEEE10hipError_tPvRmT1_T2_T3_mmT4_T5_P12ihipStream_tbEUlRKxE_EESM_SQ_SR_mSS_SV_bEUlT_E_NS1_11comp_targetILNS1_3genE3ELNS1_11target_archE908ELNS1_3gpuE7ELNS1_3repE0EEENS1_30default_config_static_selectorELNS0_4arch9wavefront6targetE1EEEvSP_
		.amdhsa_group_segment_fixed_size 0
		.amdhsa_private_segment_fixed_size 0
		.amdhsa_kernarg_size 56
		.amdhsa_user_sgpr_count 6
		.amdhsa_user_sgpr_private_segment_buffer 1
		.amdhsa_user_sgpr_dispatch_ptr 0
		.amdhsa_user_sgpr_queue_ptr 0
		.amdhsa_user_sgpr_kernarg_segment_ptr 1
		.amdhsa_user_sgpr_dispatch_id 0
		.amdhsa_user_sgpr_flat_scratch_init 0
		.amdhsa_user_sgpr_kernarg_preload_length 0
		.amdhsa_user_sgpr_kernarg_preload_offset 0
		.amdhsa_user_sgpr_private_segment_size 0
		.amdhsa_uses_dynamic_stack 0
		.amdhsa_system_sgpr_private_segment_wavefront_offset 0
		.amdhsa_system_sgpr_workgroup_id_x 1
		.amdhsa_system_sgpr_workgroup_id_y 0
		.amdhsa_system_sgpr_workgroup_id_z 0
		.amdhsa_system_sgpr_workgroup_info 0
		.amdhsa_system_vgpr_workitem_id 0
		.amdhsa_next_free_vgpr 1
		.amdhsa_next_free_sgpr 0
		.amdhsa_accum_offset 4
		.amdhsa_reserve_vcc 0
		.amdhsa_reserve_flat_scratch 0
		.amdhsa_float_round_mode_32 0
		.amdhsa_float_round_mode_16_64 0
		.amdhsa_float_denorm_mode_32 3
		.amdhsa_float_denorm_mode_16_64 3
		.amdhsa_dx10_clamp 1
		.amdhsa_ieee_mode 1
		.amdhsa_fp16_overflow 0
		.amdhsa_tg_split 0
		.amdhsa_exception_fp_ieee_invalid_op 0
		.amdhsa_exception_fp_denorm_src 0
		.amdhsa_exception_fp_ieee_div_zero 0
		.amdhsa_exception_fp_ieee_overflow 0
		.amdhsa_exception_fp_ieee_underflow 0
		.amdhsa_exception_fp_ieee_inexact 0
		.amdhsa_exception_int_div_zero 0
	.end_amdhsa_kernel
	.section	.text._ZN7rocprim17ROCPRIM_400000_NS6detail17trampoline_kernelINS0_14default_configENS1_29binary_search_config_selectorIxiEEZNS1_14transform_implILb0ES3_S5_N6thrust23THRUST_200600_302600_NS6detail15normal_iteratorINS8_10device_ptrIxEEEENSA_INSB_IiEEEEZNS1_13binary_searchIS3_S5_SD_SD_SF_NS1_16binary_search_opENS9_16wrapped_functionINS0_4lessIvEEbEEEE10hipError_tPvRmT1_T2_T3_mmT4_T5_P12ihipStream_tbEUlRKxE_EESM_SQ_SR_mSS_SV_bEUlT_E_NS1_11comp_targetILNS1_3genE3ELNS1_11target_archE908ELNS1_3gpuE7ELNS1_3repE0EEENS1_30default_config_static_selectorELNS0_4arch9wavefront6targetE1EEEvSP_,"axG",@progbits,_ZN7rocprim17ROCPRIM_400000_NS6detail17trampoline_kernelINS0_14default_configENS1_29binary_search_config_selectorIxiEEZNS1_14transform_implILb0ES3_S5_N6thrust23THRUST_200600_302600_NS6detail15normal_iteratorINS8_10device_ptrIxEEEENSA_INSB_IiEEEEZNS1_13binary_searchIS3_S5_SD_SD_SF_NS1_16binary_search_opENS9_16wrapped_functionINS0_4lessIvEEbEEEE10hipError_tPvRmT1_T2_T3_mmT4_T5_P12ihipStream_tbEUlRKxE_EESM_SQ_SR_mSS_SV_bEUlT_E_NS1_11comp_targetILNS1_3genE3ELNS1_11target_archE908ELNS1_3gpuE7ELNS1_3repE0EEENS1_30default_config_static_selectorELNS0_4arch9wavefront6targetE1EEEvSP_,comdat
.Lfunc_end504:
	.size	_ZN7rocprim17ROCPRIM_400000_NS6detail17trampoline_kernelINS0_14default_configENS1_29binary_search_config_selectorIxiEEZNS1_14transform_implILb0ES3_S5_N6thrust23THRUST_200600_302600_NS6detail15normal_iteratorINS8_10device_ptrIxEEEENSA_INSB_IiEEEEZNS1_13binary_searchIS3_S5_SD_SD_SF_NS1_16binary_search_opENS9_16wrapped_functionINS0_4lessIvEEbEEEE10hipError_tPvRmT1_T2_T3_mmT4_T5_P12ihipStream_tbEUlRKxE_EESM_SQ_SR_mSS_SV_bEUlT_E_NS1_11comp_targetILNS1_3genE3ELNS1_11target_archE908ELNS1_3gpuE7ELNS1_3repE0EEENS1_30default_config_static_selectorELNS0_4arch9wavefront6targetE1EEEvSP_, .Lfunc_end504-_ZN7rocprim17ROCPRIM_400000_NS6detail17trampoline_kernelINS0_14default_configENS1_29binary_search_config_selectorIxiEEZNS1_14transform_implILb0ES3_S5_N6thrust23THRUST_200600_302600_NS6detail15normal_iteratorINS8_10device_ptrIxEEEENSA_INSB_IiEEEEZNS1_13binary_searchIS3_S5_SD_SD_SF_NS1_16binary_search_opENS9_16wrapped_functionINS0_4lessIvEEbEEEE10hipError_tPvRmT1_T2_T3_mmT4_T5_P12ihipStream_tbEUlRKxE_EESM_SQ_SR_mSS_SV_bEUlT_E_NS1_11comp_targetILNS1_3genE3ELNS1_11target_archE908ELNS1_3gpuE7ELNS1_3repE0EEENS1_30default_config_static_selectorELNS0_4arch9wavefront6targetE1EEEvSP_
                                        ; -- End function
	.section	.AMDGPU.csdata,"",@progbits
; Kernel info:
; codeLenInByte = 0
; NumSgprs: 4
; NumVgprs: 0
; NumAgprs: 0
; TotalNumVgprs: 0
; ScratchSize: 0
; MemoryBound: 0
; FloatMode: 240
; IeeeMode: 1
; LDSByteSize: 0 bytes/workgroup (compile time only)
; SGPRBlocks: 0
; VGPRBlocks: 0
; NumSGPRsForWavesPerEU: 4
; NumVGPRsForWavesPerEU: 1
; AccumOffset: 4
; Occupancy: 8
; WaveLimiterHint : 0
; COMPUTE_PGM_RSRC2:SCRATCH_EN: 0
; COMPUTE_PGM_RSRC2:USER_SGPR: 6
; COMPUTE_PGM_RSRC2:TRAP_HANDLER: 0
; COMPUTE_PGM_RSRC2:TGID_X_EN: 1
; COMPUTE_PGM_RSRC2:TGID_Y_EN: 0
; COMPUTE_PGM_RSRC2:TGID_Z_EN: 0
; COMPUTE_PGM_RSRC2:TIDIG_COMP_CNT: 0
; COMPUTE_PGM_RSRC3_GFX90A:ACCUM_OFFSET: 0
; COMPUTE_PGM_RSRC3_GFX90A:TG_SPLIT: 0
	.section	.text._ZN7rocprim17ROCPRIM_400000_NS6detail17trampoline_kernelINS0_14default_configENS1_29binary_search_config_selectorIxiEEZNS1_14transform_implILb0ES3_S5_N6thrust23THRUST_200600_302600_NS6detail15normal_iteratorINS8_10device_ptrIxEEEENSA_INSB_IiEEEEZNS1_13binary_searchIS3_S5_SD_SD_SF_NS1_16binary_search_opENS9_16wrapped_functionINS0_4lessIvEEbEEEE10hipError_tPvRmT1_T2_T3_mmT4_T5_P12ihipStream_tbEUlRKxE_EESM_SQ_SR_mSS_SV_bEUlT_E_NS1_11comp_targetILNS1_3genE2ELNS1_11target_archE906ELNS1_3gpuE6ELNS1_3repE0EEENS1_30default_config_static_selectorELNS0_4arch9wavefront6targetE1EEEvSP_,"axG",@progbits,_ZN7rocprim17ROCPRIM_400000_NS6detail17trampoline_kernelINS0_14default_configENS1_29binary_search_config_selectorIxiEEZNS1_14transform_implILb0ES3_S5_N6thrust23THRUST_200600_302600_NS6detail15normal_iteratorINS8_10device_ptrIxEEEENSA_INSB_IiEEEEZNS1_13binary_searchIS3_S5_SD_SD_SF_NS1_16binary_search_opENS9_16wrapped_functionINS0_4lessIvEEbEEEE10hipError_tPvRmT1_T2_T3_mmT4_T5_P12ihipStream_tbEUlRKxE_EESM_SQ_SR_mSS_SV_bEUlT_E_NS1_11comp_targetILNS1_3genE2ELNS1_11target_archE906ELNS1_3gpuE6ELNS1_3repE0EEENS1_30default_config_static_selectorELNS0_4arch9wavefront6targetE1EEEvSP_,comdat
	.protected	_ZN7rocprim17ROCPRIM_400000_NS6detail17trampoline_kernelINS0_14default_configENS1_29binary_search_config_selectorIxiEEZNS1_14transform_implILb0ES3_S5_N6thrust23THRUST_200600_302600_NS6detail15normal_iteratorINS8_10device_ptrIxEEEENSA_INSB_IiEEEEZNS1_13binary_searchIS3_S5_SD_SD_SF_NS1_16binary_search_opENS9_16wrapped_functionINS0_4lessIvEEbEEEE10hipError_tPvRmT1_T2_T3_mmT4_T5_P12ihipStream_tbEUlRKxE_EESM_SQ_SR_mSS_SV_bEUlT_E_NS1_11comp_targetILNS1_3genE2ELNS1_11target_archE906ELNS1_3gpuE6ELNS1_3repE0EEENS1_30default_config_static_selectorELNS0_4arch9wavefront6targetE1EEEvSP_ ; -- Begin function _ZN7rocprim17ROCPRIM_400000_NS6detail17trampoline_kernelINS0_14default_configENS1_29binary_search_config_selectorIxiEEZNS1_14transform_implILb0ES3_S5_N6thrust23THRUST_200600_302600_NS6detail15normal_iteratorINS8_10device_ptrIxEEEENSA_INSB_IiEEEEZNS1_13binary_searchIS3_S5_SD_SD_SF_NS1_16binary_search_opENS9_16wrapped_functionINS0_4lessIvEEbEEEE10hipError_tPvRmT1_T2_T3_mmT4_T5_P12ihipStream_tbEUlRKxE_EESM_SQ_SR_mSS_SV_bEUlT_E_NS1_11comp_targetILNS1_3genE2ELNS1_11target_archE906ELNS1_3gpuE6ELNS1_3repE0EEENS1_30default_config_static_selectorELNS0_4arch9wavefront6targetE1EEEvSP_
	.globl	_ZN7rocprim17ROCPRIM_400000_NS6detail17trampoline_kernelINS0_14default_configENS1_29binary_search_config_selectorIxiEEZNS1_14transform_implILb0ES3_S5_N6thrust23THRUST_200600_302600_NS6detail15normal_iteratorINS8_10device_ptrIxEEEENSA_INSB_IiEEEEZNS1_13binary_searchIS3_S5_SD_SD_SF_NS1_16binary_search_opENS9_16wrapped_functionINS0_4lessIvEEbEEEE10hipError_tPvRmT1_T2_T3_mmT4_T5_P12ihipStream_tbEUlRKxE_EESM_SQ_SR_mSS_SV_bEUlT_E_NS1_11comp_targetILNS1_3genE2ELNS1_11target_archE906ELNS1_3gpuE6ELNS1_3repE0EEENS1_30default_config_static_selectorELNS0_4arch9wavefront6targetE1EEEvSP_
	.p2align	8
	.type	_ZN7rocprim17ROCPRIM_400000_NS6detail17trampoline_kernelINS0_14default_configENS1_29binary_search_config_selectorIxiEEZNS1_14transform_implILb0ES3_S5_N6thrust23THRUST_200600_302600_NS6detail15normal_iteratorINS8_10device_ptrIxEEEENSA_INSB_IiEEEEZNS1_13binary_searchIS3_S5_SD_SD_SF_NS1_16binary_search_opENS9_16wrapped_functionINS0_4lessIvEEbEEEE10hipError_tPvRmT1_T2_T3_mmT4_T5_P12ihipStream_tbEUlRKxE_EESM_SQ_SR_mSS_SV_bEUlT_E_NS1_11comp_targetILNS1_3genE2ELNS1_11target_archE906ELNS1_3gpuE6ELNS1_3repE0EEENS1_30default_config_static_selectorELNS0_4arch9wavefront6targetE1EEEvSP_,@function
_ZN7rocprim17ROCPRIM_400000_NS6detail17trampoline_kernelINS0_14default_configENS1_29binary_search_config_selectorIxiEEZNS1_14transform_implILb0ES3_S5_N6thrust23THRUST_200600_302600_NS6detail15normal_iteratorINS8_10device_ptrIxEEEENSA_INSB_IiEEEEZNS1_13binary_searchIS3_S5_SD_SD_SF_NS1_16binary_search_opENS9_16wrapped_functionINS0_4lessIvEEbEEEE10hipError_tPvRmT1_T2_T3_mmT4_T5_P12ihipStream_tbEUlRKxE_EESM_SQ_SR_mSS_SV_bEUlT_E_NS1_11comp_targetILNS1_3genE2ELNS1_11target_archE906ELNS1_3gpuE6ELNS1_3repE0EEENS1_30default_config_static_selectorELNS0_4arch9wavefront6targetE1EEEvSP_: ; @_ZN7rocprim17ROCPRIM_400000_NS6detail17trampoline_kernelINS0_14default_configENS1_29binary_search_config_selectorIxiEEZNS1_14transform_implILb0ES3_S5_N6thrust23THRUST_200600_302600_NS6detail15normal_iteratorINS8_10device_ptrIxEEEENSA_INSB_IiEEEEZNS1_13binary_searchIS3_S5_SD_SD_SF_NS1_16binary_search_opENS9_16wrapped_functionINS0_4lessIvEEbEEEE10hipError_tPvRmT1_T2_T3_mmT4_T5_P12ihipStream_tbEUlRKxE_EESM_SQ_SR_mSS_SV_bEUlT_E_NS1_11comp_targetILNS1_3genE2ELNS1_11target_archE906ELNS1_3gpuE6ELNS1_3repE0EEENS1_30default_config_static_selectorELNS0_4arch9wavefront6targetE1EEEvSP_
; %bb.0:
	.section	.rodata,"a",@progbits
	.p2align	6, 0x0
	.amdhsa_kernel _ZN7rocprim17ROCPRIM_400000_NS6detail17trampoline_kernelINS0_14default_configENS1_29binary_search_config_selectorIxiEEZNS1_14transform_implILb0ES3_S5_N6thrust23THRUST_200600_302600_NS6detail15normal_iteratorINS8_10device_ptrIxEEEENSA_INSB_IiEEEEZNS1_13binary_searchIS3_S5_SD_SD_SF_NS1_16binary_search_opENS9_16wrapped_functionINS0_4lessIvEEbEEEE10hipError_tPvRmT1_T2_T3_mmT4_T5_P12ihipStream_tbEUlRKxE_EESM_SQ_SR_mSS_SV_bEUlT_E_NS1_11comp_targetILNS1_3genE2ELNS1_11target_archE906ELNS1_3gpuE6ELNS1_3repE0EEENS1_30default_config_static_selectorELNS0_4arch9wavefront6targetE1EEEvSP_
		.amdhsa_group_segment_fixed_size 0
		.amdhsa_private_segment_fixed_size 0
		.amdhsa_kernarg_size 56
		.amdhsa_user_sgpr_count 6
		.amdhsa_user_sgpr_private_segment_buffer 1
		.amdhsa_user_sgpr_dispatch_ptr 0
		.amdhsa_user_sgpr_queue_ptr 0
		.amdhsa_user_sgpr_kernarg_segment_ptr 1
		.amdhsa_user_sgpr_dispatch_id 0
		.amdhsa_user_sgpr_flat_scratch_init 0
		.amdhsa_user_sgpr_kernarg_preload_length 0
		.amdhsa_user_sgpr_kernarg_preload_offset 0
		.amdhsa_user_sgpr_private_segment_size 0
		.amdhsa_uses_dynamic_stack 0
		.amdhsa_system_sgpr_private_segment_wavefront_offset 0
		.amdhsa_system_sgpr_workgroup_id_x 1
		.amdhsa_system_sgpr_workgroup_id_y 0
		.amdhsa_system_sgpr_workgroup_id_z 0
		.amdhsa_system_sgpr_workgroup_info 0
		.amdhsa_system_vgpr_workitem_id 0
		.amdhsa_next_free_vgpr 1
		.amdhsa_next_free_sgpr 0
		.amdhsa_accum_offset 4
		.amdhsa_reserve_vcc 0
		.amdhsa_reserve_flat_scratch 0
		.amdhsa_float_round_mode_32 0
		.amdhsa_float_round_mode_16_64 0
		.amdhsa_float_denorm_mode_32 3
		.amdhsa_float_denorm_mode_16_64 3
		.amdhsa_dx10_clamp 1
		.amdhsa_ieee_mode 1
		.amdhsa_fp16_overflow 0
		.amdhsa_tg_split 0
		.amdhsa_exception_fp_ieee_invalid_op 0
		.amdhsa_exception_fp_denorm_src 0
		.amdhsa_exception_fp_ieee_div_zero 0
		.amdhsa_exception_fp_ieee_overflow 0
		.amdhsa_exception_fp_ieee_underflow 0
		.amdhsa_exception_fp_ieee_inexact 0
		.amdhsa_exception_int_div_zero 0
	.end_amdhsa_kernel
	.section	.text._ZN7rocprim17ROCPRIM_400000_NS6detail17trampoline_kernelINS0_14default_configENS1_29binary_search_config_selectorIxiEEZNS1_14transform_implILb0ES3_S5_N6thrust23THRUST_200600_302600_NS6detail15normal_iteratorINS8_10device_ptrIxEEEENSA_INSB_IiEEEEZNS1_13binary_searchIS3_S5_SD_SD_SF_NS1_16binary_search_opENS9_16wrapped_functionINS0_4lessIvEEbEEEE10hipError_tPvRmT1_T2_T3_mmT4_T5_P12ihipStream_tbEUlRKxE_EESM_SQ_SR_mSS_SV_bEUlT_E_NS1_11comp_targetILNS1_3genE2ELNS1_11target_archE906ELNS1_3gpuE6ELNS1_3repE0EEENS1_30default_config_static_selectorELNS0_4arch9wavefront6targetE1EEEvSP_,"axG",@progbits,_ZN7rocprim17ROCPRIM_400000_NS6detail17trampoline_kernelINS0_14default_configENS1_29binary_search_config_selectorIxiEEZNS1_14transform_implILb0ES3_S5_N6thrust23THRUST_200600_302600_NS6detail15normal_iteratorINS8_10device_ptrIxEEEENSA_INSB_IiEEEEZNS1_13binary_searchIS3_S5_SD_SD_SF_NS1_16binary_search_opENS9_16wrapped_functionINS0_4lessIvEEbEEEE10hipError_tPvRmT1_T2_T3_mmT4_T5_P12ihipStream_tbEUlRKxE_EESM_SQ_SR_mSS_SV_bEUlT_E_NS1_11comp_targetILNS1_3genE2ELNS1_11target_archE906ELNS1_3gpuE6ELNS1_3repE0EEENS1_30default_config_static_selectorELNS0_4arch9wavefront6targetE1EEEvSP_,comdat
.Lfunc_end505:
	.size	_ZN7rocprim17ROCPRIM_400000_NS6detail17trampoline_kernelINS0_14default_configENS1_29binary_search_config_selectorIxiEEZNS1_14transform_implILb0ES3_S5_N6thrust23THRUST_200600_302600_NS6detail15normal_iteratorINS8_10device_ptrIxEEEENSA_INSB_IiEEEEZNS1_13binary_searchIS3_S5_SD_SD_SF_NS1_16binary_search_opENS9_16wrapped_functionINS0_4lessIvEEbEEEE10hipError_tPvRmT1_T2_T3_mmT4_T5_P12ihipStream_tbEUlRKxE_EESM_SQ_SR_mSS_SV_bEUlT_E_NS1_11comp_targetILNS1_3genE2ELNS1_11target_archE906ELNS1_3gpuE6ELNS1_3repE0EEENS1_30default_config_static_selectorELNS0_4arch9wavefront6targetE1EEEvSP_, .Lfunc_end505-_ZN7rocprim17ROCPRIM_400000_NS6detail17trampoline_kernelINS0_14default_configENS1_29binary_search_config_selectorIxiEEZNS1_14transform_implILb0ES3_S5_N6thrust23THRUST_200600_302600_NS6detail15normal_iteratorINS8_10device_ptrIxEEEENSA_INSB_IiEEEEZNS1_13binary_searchIS3_S5_SD_SD_SF_NS1_16binary_search_opENS9_16wrapped_functionINS0_4lessIvEEbEEEE10hipError_tPvRmT1_T2_T3_mmT4_T5_P12ihipStream_tbEUlRKxE_EESM_SQ_SR_mSS_SV_bEUlT_E_NS1_11comp_targetILNS1_3genE2ELNS1_11target_archE906ELNS1_3gpuE6ELNS1_3repE0EEENS1_30default_config_static_selectorELNS0_4arch9wavefront6targetE1EEEvSP_
                                        ; -- End function
	.section	.AMDGPU.csdata,"",@progbits
; Kernel info:
; codeLenInByte = 0
; NumSgprs: 4
; NumVgprs: 0
; NumAgprs: 0
; TotalNumVgprs: 0
; ScratchSize: 0
; MemoryBound: 0
; FloatMode: 240
; IeeeMode: 1
; LDSByteSize: 0 bytes/workgroup (compile time only)
; SGPRBlocks: 0
; VGPRBlocks: 0
; NumSGPRsForWavesPerEU: 4
; NumVGPRsForWavesPerEU: 1
; AccumOffset: 4
; Occupancy: 8
; WaveLimiterHint : 0
; COMPUTE_PGM_RSRC2:SCRATCH_EN: 0
; COMPUTE_PGM_RSRC2:USER_SGPR: 6
; COMPUTE_PGM_RSRC2:TRAP_HANDLER: 0
; COMPUTE_PGM_RSRC2:TGID_X_EN: 1
; COMPUTE_PGM_RSRC2:TGID_Y_EN: 0
; COMPUTE_PGM_RSRC2:TGID_Z_EN: 0
; COMPUTE_PGM_RSRC2:TIDIG_COMP_CNT: 0
; COMPUTE_PGM_RSRC3_GFX90A:ACCUM_OFFSET: 0
; COMPUTE_PGM_RSRC3_GFX90A:TG_SPLIT: 0
	.section	.text._ZN7rocprim17ROCPRIM_400000_NS6detail17trampoline_kernelINS0_14default_configENS1_29binary_search_config_selectorIxiEEZNS1_14transform_implILb0ES3_S5_N6thrust23THRUST_200600_302600_NS6detail15normal_iteratorINS8_10device_ptrIxEEEENSA_INSB_IiEEEEZNS1_13binary_searchIS3_S5_SD_SD_SF_NS1_16binary_search_opENS9_16wrapped_functionINS0_4lessIvEEbEEEE10hipError_tPvRmT1_T2_T3_mmT4_T5_P12ihipStream_tbEUlRKxE_EESM_SQ_SR_mSS_SV_bEUlT_E_NS1_11comp_targetILNS1_3genE10ELNS1_11target_archE1201ELNS1_3gpuE5ELNS1_3repE0EEENS1_30default_config_static_selectorELNS0_4arch9wavefront6targetE1EEEvSP_,"axG",@progbits,_ZN7rocprim17ROCPRIM_400000_NS6detail17trampoline_kernelINS0_14default_configENS1_29binary_search_config_selectorIxiEEZNS1_14transform_implILb0ES3_S5_N6thrust23THRUST_200600_302600_NS6detail15normal_iteratorINS8_10device_ptrIxEEEENSA_INSB_IiEEEEZNS1_13binary_searchIS3_S5_SD_SD_SF_NS1_16binary_search_opENS9_16wrapped_functionINS0_4lessIvEEbEEEE10hipError_tPvRmT1_T2_T3_mmT4_T5_P12ihipStream_tbEUlRKxE_EESM_SQ_SR_mSS_SV_bEUlT_E_NS1_11comp_targetILNS1_3genE10ELNS1_11target_archE1201ELNS1_3gpuE5ELNS1_3repE0EEENS1_30default_config_static_selectorELNS0_4arch9wavefront6targetE1EEEvSP_,comdat
	.protected	_ZN7rocprim17ROCPRIM_400000_NS6detail17trampoline_kernelINS0_14default_configENS1_29binary_search_config_selectorIxiEEZNS1_14transform_implILb0ES3_S5_N6thrust23THRUST_200600_302600_NS6detail15normal_iteratorINS8_10device_ptrIxEEEENSA_INSB_IiEEEEZNS1_13binary_searchIS3_S5_SD_SD_SF_NS1_16binary_search_opENS9_16wrapped_functionINS0_4lessIvEEbEEEE10hipError_tPvRmT1_T2_T3_mmT4_T5_P12ihipStream_tbEUlRKxE_EESM_SQ_SR_mSS_SV_bEUlT_E_NS1_11comp_targetILNS1_3genE10ELNS1_11target_archE1201ELNS1_3gpuE5ELNS1_3repE0EEENS1_30default_config_static_selectorELNS0_4arch9wavefront6targetE1EEEvSP_ ; -- Begin function _ZN7rocprim17ROCPRIM_400000_NS6detail17trampoline_kernelINS0_14default_configENS1_29binary_search_config_selectorIxiEEZNS1_14transform_implILb0ES3_S5_N6thrust23THRUST_200600_302600_NS6detail15normal_iteratorINS8_10device_ptrIxEEEENSA_INSB_IiEEEEZNS1_13binary_searchIS3_S5_SD_SD_SF_NS1_16binary_search_opENS9_16wrapped_functionINS0_4lessIvEEbEEEE10hipError_tPvRmT1_T2_T3_mmT4_T5_P12ihipStream_tbEUlRKxE_EESM_SQ_SR_mSS_SV_bEUlT_E_NS1_11comp_targetILNS1_3genE10ELNS1_11target_archE1201ELNS1_3gpuE5ELNS1_3repE0EEENS1_30default_config_static_selectorELNS0_4arch9wavefront6targetE1EEEvSP_
	.globl	_ZN7rocprim17ROCPRIM_400000_NS6detail17trampoline_kernelINS0_14default_configENS1_29binary_search_config_selectorIxiEEZNS1_14transform_implILb0ES3_S5_N6thrust23THRUST_200600_302600_NS6detail15normal_iteratorINS8_10device_ptrIxEEEENSA_INSB_IiEEEEZNS1_13binary_searchIS3_S5_SD_SD_SF_NS1_16binary_search_opENS9_16wrapped_functionINS0_4lessIvEEbEEEE10hipError_tPvRmT1_T2_T3_mmT4_T5_P12ihipStream_tbEUlRKxE_EESM_SQ_SR_mSS_SV_bEUlT_E_NS1_11comp_targetILNS1_3genE10ELNS1_11target_archE1201ELNS1_3gpuE5ELNS1_3repE0EEENS1_30default_config_static_selectorELNS0_4arch9wavefront6targetE1EEEvSP_
	.p2align	8
	.type	_ZN7rocprim17ROCPRIM_400000_NS6detail17trampoline_kernelINS0_14default_configENS1_29binary_search_config_selectorIxiEEZNS1_14transform_implILb0ES3_S5_N6thrust23THRUST_200600_302600_NS6detail15normal_iteratorINS8_10device_ptrIxEEEENSA_INSB_IiEEEEZNS1_13binary_searchIS3_S5_SD_SD_SF_NS1_16binary_search_opENS9_16wrapped_functionINS0_4lessIvEEbEEEE10hipError_tPvRmT1_T2_T3_mmT4_T5_P12ihipStream_tbEUlRKxE_EESM_SQ_SR_mSS_SV_bEUlT_E_NS1_11comp_targetILNS1_3genE10ELNS1_11target_archE1201ELNS1_3gpuE5ELNS1_3repE0EEENS1_30default_config_static_selectorELNS0_4arch9wavefront6targetE1EEEvSP_,@function
_ZN7rocprim17ROCPRIM_400000_NS6detail17trampoline_kernelINS0_14default_configENS1_29binary_search_config_selectorIxiEEZNS1_14transform_implILb0ES3_S5_N6thrust23THRUST_200600_302600_NS6detail15normal_iteratorINS8_10device_ptrIxEEEENSA_INSB_IiEEEEZNS1_13binary_searchIS3_S5_SD_SD_SF_NS1_16binary_search_opENS9_16wrapped_functionINS0_4lessIvEEbEEEE10hipError_tPvRmT1_T2_T3_mmT4_T5_P12ihipStream_tbEUlRKxE_EESM_SQ_SR_mSS_SV_bEUlT_E_NS1_11comp_targetILNS1_3genE10ELNS1_11target_archE1201ELNS1_3gpuE5ELNS1_3repE0EEENS1_30default_config_static_selectorELNS0_4arch9wavefront6targetE1EEEvSP_: ; @_ZN7rocprim17ROCPRIM_400000_NS6detail17trampoline_kernelINS0_14default_configENS1_29binary_search_config_selectorIxiEEZNS1_14transform_implILb0ES3_S5_N6thrust23THRUST_200600_302600_NS6detail15normal_iteratorINS8_10device_ptrIxEEEENSA_INSB_IiEEEEZNS1_13binary_searchIS3_S5_SD_SD_SF_NS1_16binary_search_opENS9_16wrapped_functionINS0_4lessIvEEbEEEE10hipError_tPvRmT1_T2_T3_mmT4_T5_P12ihipStream_tbEUlRKxE_EESM_SQ_SR_mSS_SV_bEUlT_E_NS1_11comp_targetILNS1_3genE10ELNS1_11target_archE1201ELNS1_3gpuE5ELNS1_3repE0EEENS1_30default_config_static_selectorELNS0_4arch9wavefront6targetE1EEEvSP_
; %bb.0:
	.section	.rodata,"a",@progbits
	.p2align	6, 0x0
	.amdhsa_kernel _ZN7rocprim17ROCPRIM_400000_NS6detail17trampoline_kernelINS0_14default_configENS1_29binary_search_config_selectorIxiEEZNS1_14transform_implILb0ES3_S5_N6thrust23THRUST_200600_302600_NS6detail15normal_iteratorINS8_10device_ptrIxEEEENSA_INSB_IiEEEEZNS1_13binary_searchIS3_S5_SD_SD_SF_NS1_16binary_search_opENS9_16wrapped_functionINS0_4lessIvEEbEEEE10hipError_tPvRmT1_T2_T3_mmT4_T5_P12ihipStream_tbEUlRKxE_EESM_SQ_SR_mSS_SV_bEUlT_E_NS1_11comp_targetILNS1_3genE10ELNS1_11target_archE1201ELNS1_3gpuE5ELNS1_3repE0EEENS1_30default_config_static_selectorELNS0_4arch9wavefront6targetE1EEEvSP_
		.amdhsa_group_segment_fixed_size 0
		.amdhsa_private_segment_fixed_size 0
		.amdhsa_kernarg_size 56
		.amdhsa_user_sgpr_count 6
		.amdhsa_user_sgpr_private_segment_buffer 1
		.amdhsa_user_sgpr_dispatch_ptr 0
		.amdhsa_user_sgpr_queue_ptr 0
		.amdhsa_user_sgpr_kernarg_segment_ptr 1
		.amdhsa_user_sgpr_dispatch_id 0
		.amdhsa_user_sgpr_flat_scratch_init 0
		.amdhsa_user_sgpr_kernarg_preload_length 0
		.amdhsa_user_sgpr_kernarg_preload_offset 0
		.amdhsa_user_sgpr_private_segment_size 0
		.amdhsa_uses_dynamic_stack 0
		.amdhsa_system_sgpr_private_segment_wavefront_offset 0
		.amdhsa_system_sgpr_workgroup_id_x 1
		.amdhsa_system_sgpr_workgroup_id_y 0
		.amdhsa_system_sgpr_workgroup_id_z 0
		.amdhsa_system_sgpr_workgroup_info 0
		.amdhsa_system_vgpr_workitem_id 0
		.amdhsa_next_free_vgpr 1
		.amdhsa_next_free_sgpr 0
		.amdhsa_accum_offset 4
		.amdhsa_reserve_vcc 0
		.amdhsa_reserve_flat_scratch 0
		.amdhsa_float_round_mode_32 0
		.amdhsa_float_round_mode_16_64 0
		.amdhsa_float_denorm_mode_32 3
		.amdhsa_float_denorm_mode_16_64 3
		.amdhsa_dx10_clamp 1
		.amdhsa_ieee_mode 1
		.amdhsa_fp16_overflow 0
		.amdhsa_tg_split 0
		.amdhsa_exception_fp_ieee_invalid_op 0
		.amdhsa_exception_fp_denorm_src 0
		.amdhsa_exception_fp_ieee_div_zero 0
		.amdhsa_exception_fp_ieee_overflow 0
		.amdhsa_exception_fp_ieee_underflow 0
		.amdhsa_exception_fp_ieee_inexact 0
		.amdhsa_exception_int_div_zero 0
	.end_amdhsa_kernel
	.section	.text._ZN7rocprim17ROCPRIM_400000_NS6detail17trampoline_kernelINS0_14default_configENS1_29binary_search_config_selectorIxiEEZNS1_14transform_implILb0ES3_S5_N6thrust23THRUST_200600_302600_NS6detail15normal_iteratorINS8_10device_ptrIxEEEENSA_INSB_IiEEEEZNS1_13binary_searchIS3_S5_SD_SD_SF_NS1_16binary_search_opENS9_16wrapped_functionINS0_4lessIvEEbEEEE10hipError_tPvRmT1_T2_T3_mmT4_T5_P12ihipStream_tbEUlRKxE_EESM_SQ_SR_mSS_SV_bEUlT_E_NS1_11comp_targetILNS1_3genE10ELNS1_11target_archE1201ELNS1_3gpuE5ELNS1_3repE0EEENS1_30default_config_static_selectorELNS0_4arch9wavefront6targetE1EEEvSP_,"axG",@progbits,_ZN7rocprim17ROCPRIM_400000_NS6detail17trampoline_kernelINS0_14default_configENS1_29binary_search_config_selectorIxiEEZNS1_14transform_implILb0ES3_S5_N6thrust23THRUST_200600_302600_NS6detail15normal_iteratorINS8_10device_ptrIxEEEENSA_INSB_IiEEEEZNS1_13binary_searchIS3_S5_SD_SD_SF_NS1_16binary_search_opENS9_16wrapped_functionINS0_4lessIvEEbEEEE10hipError_tPvRmT1_T2_T3_mmT4_T5_P12ihipStream_tbEUlRKxE_EESM_SQ_SR_mSS_SV_bEUlT_E_NS1_11comp_targetILNS1_3genE10ELNS1_11target_archE1201ELNS1_3gpuE5ELNS1_3repE0EEENS1_30default_config_static_selectorELNS0_4arch9wavefront6targetE1EEEvSP_,comdat
.Lfunc_end506:
	.size	_ZN7rocprim17ROCPRIM_400000_NS6detail17trampoline_kernelINS0_14default_configENS1_29binary_search_config_selectorIxiEEZNS1_14transform_implILb0ES3_S5_N6thrust23THRUST_200600_302600_NS6detail15normal_iteratorINS8_10device_ptrIxEEEENSA_INSB_IiEEEEZNS1_13binary_searchIS3_S5_SD_SD_SF_NS1_16binary_search_opENS9_16wrapped_functionINS0_4lessIvEEbEEEE10hipError_tPvRmT1_T2_T3_mmT4_T5_P12ihipStream_tbEUlRKxE_EESM_SQ_SR_mSS_SV_bEUlT_E_NS1_11comp_targetILNS1_3genE10ELNS1_11target_archE1201ELNS1_3gpuE5ELNS1_3repE0EEENS1_30default_config_static_selectorELNS0_4arch9wavefront6targetE1EEEvSP_, .Lfunc_end506-_ZN7rocprim17ROCPRIM_400000_NS6detail17trampoline_kernelINS0_14default_configENS1_29binary_search_config_selectorIxiEEZNS1_14transform_implILb0ES3_S5_N6thrust23THRUST_200600_302600_NS6detail15normal_iteratorINS8_10device_ptrIxEEEENSA_INSB_IiEEEEZNS1_13binary_searchIS3_S5_SD_SD_SF_NS1_16binary_search_opENS9_16wrapped_functionINS0_4lessIvEEbEEEE10hipError_tPvRmT1_T2_T3_mmT4_T5_P12ihipStream_tbEUlRKxE_EESM_SQ_SR_mSS_SV_bEUlT_E_NS1_11comp_targetILNS1_3genE10ELNS1_11target_archE1201ELNS1_3gpuE5ELNS1_3repE0EEENS1_30default_config_static_selectorELNS0_4arch9wavefront6targetE1EEEvSP_
                                        ; -- End function
	.section	.AMDGPU.csdata,"",@progbits
; Kernel info:
; codeLenInByte = 0
; NumSgprs: 4
; NumVgprs: 0
; NumAgprs: 0
; TotalNumVgprs: 0
; ScratchSize: 0
; MemoryBound: 0
; FloatMode: 240
; IeeeMode: 1
; LDSByteSize: 0 bytes/workgroup (compile time only)
; SGPRBlocks: 0
; VGPRBlocks: 0
; NumSGPRsForWavesPerEU: 4
; NumVGPRsForWavesPerEU: 1
; AccumOffset: 4
; Occupancy: 8
; WaveLimiterHint : 0
; COMPUTE_PGM_RSRC2:SCRATCH_EN: 0
; COMPUTE_PGM_RSRC2:USER_SGPR: 6
; COMPUTE_PGM_RSRC2:TRAP_HANDLER: 0
; COMPUTE_PGM_RSRC2:TGID_X_EN: 1
; COMPUTE_PGM_RSRC2:TGID_Y_EN: 0
; COMPUTE_PGM_RSRC2:TGID_Z_EN: 0
; COMPUTE_PGM_RSRC2:TIDIG_COMP_CNT: 0
; COMPUTE_PGM_RSRC3_GFX90A:ACCUM_OFFSET: 0
; COMPUTE_PGM_RSRC3_GFX90A:TG_SPLIT: 0
	.section	.text._ZN7rocprim17ROCPRIM_400000_NS6detail17trampoline_kernelINS0_14default_configENS1_29binary_search_config_selectorIxiEEZNS1_14transform_implILb0ES3_S5_N6thrust23THRUST_200600_302600_NS6detail15normal_iteratorINS8_10device_ptrIxEEEENSA_INSB_IiEEEEZNS1_13binary_searchIS3_S5_SD_SD_SF_NS1_16binary_search_opENS9_16wrapped_functionINS0_4lessIvEEbEEEE10hipError_tPvRmT1_T2_T3_mmT4_T5_P12ihipStream_tbEUlRKxE_EESM_SQ_SR_mSS_SV_bEUlT_E_NS1_11comp_targetILNS1_3genE10ELNS1_11target_archE1200ELNS1_3gpuE4ELNS1_3repE0EEENS1_30default_config_static_selectorELNS0_4arch9wavefront6targetE1EEEvSP_,"axG",@progbits,_ZN7rocprim17ROCPRIM_400000_NS6detail17trampoline_kernelINS0_14default_configENS1_29binary_search_config_selectorIxiEEZNS1_14transform_implILb0ES3_S5_N6thrust23THRUST_200600_302600_NS6detail15normal_iteratorINS8_10device_ptrIxEEEENSA_INSB_IiEEEEZNS1_13binary_searchIS3_S5_SD_SD_SF_NS1_16binary_search_opENS9_16wrapped_functionINS0_4lessIvEEbEEEE10hipError_tPvRmT1_T2_T3_mmT4_T5_P12ihipStream_tbEUlRKxE_EESM_SQ_SR_mSS_SV_bEUlT_E_NS1_11comp_targetILNS1_3genE10ELNS1_11target_archE1200ELNS1_3gpuE4ELNS1_3repE0EEENS1_30default_config_static_selectorELNS0_4arch9wavefront6targetE1EEEvSP_,comdat
	.protected	_ZN7rocprim17ROCPRIM_400000_NS6detail17trampoline_kernelINS0_14default_configENS1_29binary_search_config_selectorIxiEEZNS1_14transform_implILb0ES3_S5_N6thrust23THRUST_200600_302600_NS6detail15normal_iteratorINS8_10device_ptrIxEEEENSA_INSB_IiEEEEZNS1_13binary_searchIS3_S5_SD_SD_SF_NS1_16binary_search_opENS9_16wrapped_functionINS0_4lessIvEEbEEEE10hipError_tPvRmT1_T2_T3_mmT4_T5_P12ihipStream_tbEUlRKxE_EESM_SQ_SR_mSS_SV_bEUlT_E_NS1_11comp_targetILNS1_3genE10ELNS1_11target_archE1200ELNS1_3gpuE4ELNS1_3repE0EEENS1_30default_config_static_selectorELNS0_4arch9wavefront6targetE1EEEvSP_ ; -- Begin function _ZN7rocprim17ROCPRIM_400000_NS6detail17trampoline_kernelINS0_14default_configENS1_29binary_search_config_selectorIxiEEZNS1_14transform_implILb0ES3_S5_N6thrust23THRUST_200600_302600_NS6detail15normal_iteratorINS8_10device_ptrIxEEEENSA_INSB_IiEEEEZNS1_13binary_searchIS3_S5_SD_SD_SF_NS1_16binary_search_opENS9_16wrapped_functionINS0_4lessIvEEbEEEE10hipError_tPvRmT1_T2_T3_mmT4_T5_P12ihipStream_tbEUlRKxE_EESM_SQ_SR_mSS_SV_bEUlT_E_NS1_11comp_targetILNS1_3genE10ELNS1_11target_archE1200ELNS1_3gpuE4ELNS1_3repE0EEENS1_30default_config_static_selectorELNS0_4arch9wavefront6targetE1EEEvSP_
	.globl	_ZN7rocprim17ROCPRIM_400000_NS6detail17trampoline_kernelINS0_14default_configENS1_29binary_search_config_selectorIxiEEZNS1_14transform_implILb0ES3_S5_N6thrust23THRUST_200600_302600_NS6detail15normal_iteratorINS8_10device_ptrIxEEEENSA_INSB_IiEEEEZNS1_13binary_searchIS3_S5_SD_SD_SF_NS1_16binary_search_opENS9_16wrapped_functionINS0_4lessIvEEbEEEE10hipError_tPvRmT1_T2_T3_mmT4_T5_P12ihipStream_tbEUlRKxE_EESM_SQ_SR_mSS_SV_bEUlT_E_NS1_11comp_targetILNS1_3genE10ELNS1_11target_archE1200ELNS1_3gpuE4ELNS1_3repE0EEENS1_30default_config_static_selectorELNS0_4arch9wavefront6targetE1EEEvSP_
	.p2align	8
	.type	_ZN7rocprim17ROCPRIM_400000_NS6detail17trampoline_kernelINS0_14default_configENS1_29binary_search_config_selectorIxiEEZNS1_14transform_implILb0ES3_S5_N6thrust23THRUST_200600_302600_NS6detail15normal_iteratorINS8_10device_ptrIxEEEENSA_INSB_IiEEEEZNS1_13binary_searchIS3_S5_SD_SD_SF_NS1_16binary_search_opENS9_16wrapped_functionINS0_4lessIvEEbEEEE10hipError_tPvRmT1_T2_T3_mmT4_T5_P12ihipStream_tbEUlRKxE_EESM_SQ_SR_mSS_SV_bEUlT_E_NS1_11comp_targetILNS1_3genE10ELNS1_11target_archE1200ELNS1_3gpuE4ELNS1_3repE0EEENS1_30default_config_static_selectorELNS0_4arch9wavefront6targetE1EEEvSP_,@function
_ZN7rocprim17ROCPRIM_400000_NS6detail17trampoline_kernelINS0_14default_configENS1_29binary_search_config_selectorIxiEEZNS1_14transform_implILb0ES3_S5_N6thrust23THRUST_200600_302600_NS6detail15normal_iteratorINS8_10device_ptrIxEEEENSA_INSB_IiEEEEZNS1_13binary_searchIS3_S5_SD_SD_SF_NS1_16binary_search_opENS9_16wrapped_functionINS0_4lessIvEEbEEEE10hipError_tPvRmT1_T2_T3_mmT4_T5_P12ihipStream_tbEUlRKxE_EESM_SQ_SR_mSS_SV_bEUlT_E_NS1_11comp_targetILNS1_3genE10ELNS1_11target_archE1200ELNS1_3gpuE4ELNS1_3repE0EEENS1_30default_config_static_selectorELNS0_4arch9wavefront6targetE1EEEvSP_: ; @_ZN7rocprim17ROCPRIM_400000_NS6detail17trampoline_kernelINS0_14default_configENS1_29binary_search_config_selectorIxiEEZNS1_14transform_implILb0ES3_S5_N6thrust23THRUST_200600_302600_NS6detail15normal_iteratorINS8_10device_ptrIxEEEENSA_INSB_IiEEEEZNS1_13binary_searchIS3_S5_SD_SD_SF_NS1_16binary_search_opENS9_16wrapped_functionINS0_4lessIvEEbEEEE10hipError_tPvRmT1_T2_T3_mmT4_T5_P12ihipStream_tbEUlRKxE_EESM_SQ_SR_mSS_SV_bEUlT_E_NS1_11comp_targetILNS1_3genE10ELNS1_11target_archE1200ELNS1_3gpuE4ELNS1_3repE0EEENS1_30default_config_static_selectorELNS0_4arch9wavefront6targetE1EEEvSP_
; %bb.0:
	.section	.rodata,"a",@progbits
	.p2align	6, 0x0
	.amdhsa_kernel _ZN7rocprim17ROCPRIM_400000_NS6detail17trampoline_kernelINS0_14default_configENS1_29binary_search_config_selectorIxiEEZNS1_14transform_implILb0ES3_S5_N6thrust23THRUST_200600_302600_NS6detail15normal_iteratorINS8_10device_ptrIxEEEENSA_INSB_IiEEEEZNS1_13binary_searchIS3_S5_SD_SD_SF_NS1_16binary_search_opENS9_16wrapped_functionINS0_4lessIvEEbEEEE10hipError_tPvRmT1_T2_T3_mmT4_T5_P12ihipStream_tbEUlRKxE_EESM_SQ_SR_mSS_SV_bEUlT_E_NS1_11comp_targetILNS1_3genE10ELNS1_11target_archE1200ELNS1_3gpuE4ELNS1_3repE0EEENS1_30default_config_static_selectorELNS0_4arch9wavefront6targetE1EEEvSP_
		.amdhsa_group_segment_fixed_size 0
		.amdhsa_private_segment_fixed_size 0
		.amdhsa_kernarg_size 56
		.amdhsa_user_sgpr_count 6
		.amdhsa_user_sgpr_private_segment_buffer 1
		.amdhsa_user_sgpr_dispatch_ptr 0
		.amdhsa_user_sgpr_queue_ptr 0
		.amdhsa_user_sgpr_kernarg_segment_ptr 1
		.amdhsa_user_sgpr_dispatch_id 0
		.amdhsa_user_sgpr_flat_scratch_init 0
		.amdhsa_user_sgpr_kernarg_preload_length 0
		.amdhsa_user_sgpr_kernarg_preload_offset 0
		.amdhsa_user_sgpr_private_segment_size 0
		.amdhsa_uses_dynamic_stack 0
		.amdhsa_system_sgpr_private_segment_wavefront_offset 0
		.amdhsa_system_sgpr_workgroup_id_x 1
		.amdhsa_system_sgpr_workgroup_id_y 0
		.amdhsa_system_sgpr_workgroup_id_z 0
		.amdhsa_system_sgpr_workgroup_info 0
		.amdhsa_system_vgpr_workitem_id 0
		.amdhsa_next_free_vgpr 1
		.amdhsa_next_free_sgpr 0
		.amdhsa_accum_offset 4
		.amdhsa_reserve_vcc 0
		.amdhsa_reserve_flat_scratch 0
		.amdhsa_float_round_mode_32 0
		.amdhsa_float_round_mode_16_64 0
		.amdhsa_float_denorm_mode_32 3
		.amdhsa_float_denorm_mode_16_64 3
		.amdhsa_dx10_clamp 1
		.amdhsa_ieee_mode 1
		.amdhsa_fp16_overflow 0
		.amdhsa_tg_split 0
		.amdhsa_exception_fp_ieee_invalid_op 0
		.amdhsa_exception_fp_denorm_src 0
		.amdhsa_exception_fp_ieee_div_zero 0
		.amdhsa_exception_fp_ieee_overflow 0
		.amdhsa_exception_fp_ieee_underflow 0
		.amdhsa_exception_fp_ieee_inexact 0
		.amdhsa_exception_int_div_zero 0
	.end_amdhsa_kernel
	.section	.text._ZN7rocprim17ROCPRIM_400000_NS6detail17trampoline_kernelINS0_14default_configENS1_29binary_search_config_selectorIxiEEZNS1_14transform_implILb0ES3_S5_N6thrust23THRUST_200600_302600_NS6detail15normal_iteratorINS8_10device_ptrIxEEEENSA_INSB_IiEEEEZNS1_13binary_searchIS3_S5_SD_SD_SF_NS1_16binary_search_opENS9_16wrapped_functionINS0_4lessIvEEbEEEE10hipError_tPvRmT1_T2_T3_mmT4_T5_P12ihipStream_tbEUlRKxE_EESM_SQ_SR_mSS_SV_bEUlT_E_NS1_11comp_targetILNS1_3genE10ELNS1_11target_archE1200ELNS1_3gpuE4ELNS1_3repE0EEENS1_30default_config_static_selectorELNS0_4arch9wavefront6targetE1EEEvSP_,"axG",@progbits,_ZN7rocprim17ROCPRIM_400000_NS6detail17trampoline_kernelINS0_14default_configENS1_29binary_search_config_selectorIxiEEZNS1_14transform_implILb0ES3_S5_N6thrust23THRUST_200600_302600_NS6detail15normal_iteratorINS8_10device_ptrIxEEEENSA_INSB_IiEEEEZNS1_13binary_searchIS3_S5_SD_SD_SF_NS1_16binary_search_opENS9_16wrapped_functionINS0_4lessIvEEbEEEE10hipError_tPvRmT1_T2_T3_mmT4_T5_P12ihipStream_tbEUlRKxE_EESM_SQ_SR_mSS_SV_bEUlT_E_NS1_11comp_targetILNS1_3genE10ELNS1_11target_archE1200ELNS1_3gpuE4ELNS1_3repE0EEENS1_30default_config_static_selectorELNS0_4arch9wavefront6targetE1EEEvSP_,comdat
.Lfunc_end507:
	.size	_ZN7rocprim17ROCPRIM_400000_NS6detail17trampoline_kernelINS0_14default_configENS1_29binary_search_config_selectorIxiEEZNS1_14transform_implILb0ES3_S5_N6thrust23THRUST_200600_302600_NS6detail15normal_iteratorINS8_10device_ptrIxEEEENSA_INSB_IiEEEEZNS1_13binary_searchIS3_S5_SD_SD_SF_NS1_16binary_search_opENS9_16wrapped_functionINS0_4lessIvEEbEEEE10hipError_tPvRmT1_T2_T3_mmT4_T5_P12ihipStream_tbEUlRKxE_EESM_SQ_SR_mSS_SV_bEUlT_E_NS1_11comp_targetILNS1_3genE10ELNS1_11target_archE1200ELNS1_3gpuE4ELNS1_3repE0EEENS1_30default_config_static_selectorELNS0_4arch9wavefront6targetE1EEEvSP_, .Lfunc_end507-_ZN7rocprim17ROCPRIM_400000_NS6detail17trampoline_kernelINS0_14default_configENS1_29binary_search_config_selectorIxiEEZNS1_14transform_implILb0ES3_S5_N6thrust23THRUST_200600_302600_NS6detail15normal_iteratorINS8_10device_ptrIxEEEENSA_INSB_IiEEEEZNS1_13binary_searchIS3_S5_SD_SD_SF_NS1_16binary_search_opENS9_16wrapped_functionINS0_4lessIvEEbEEEE10hipError_tPvRmT1_T2_T3_mmT4_T5_P12ihipStream_tbEUlRKxE_EESM_SQ_SR_mSS_SV_bEUlT_E_NS1_11comp_targetILNS1_3genE10ELNS1_11target_archE1200ELNS1_3gpuE4ELNS1_3repE0EEENS1_30default_config_static_selectorELNS0_4arch9wavefront6targetE1EEEvSP_
                                        ; -- End function
	.section	.AMDGPU.csdata,"",@progbits
; Kernel info:
; codeLenInByte = 0
; NumSgprs: 4
; NumVgprs: 0
; NumAgprs: 0
; TotalNumVgprs: 0
; ScratchSize: 0
; MemoryBound: 0
; FloatMode: 240
; IeeeMode: 1
; LDSByteSize: 0 bytes/workgroup (compile time only)
; SGPRBlocks: 0
; VGPRBlocks: 0
; NumSGPRsForWavesPerEU: 4
; NumVGPRsForWavesPerEU: 1
; AccumOffset: 4
; Occupancy: 8
; WaveLimiterHint : 0
; COMPUTE_PGM_RSRC2:SCRATCH_EN: 0
; COMPUTE_PGM_RSRC2:USER_SGPR: 6
; COMPUTE_PGM_RSRC2:TRAP_HANDLER: 0
; COMPUTE_PGM_RSRC2:TGID_X_EN: 1
; COMPUTE_PGM_RSRC2:TGID_Y_EN: 0
; COMPUTE_PGM_RSRC2:TGID_Z_EN: 0
; COMPUTE_PGM_RSRC2:TIDIG_COMP_CNT: 0
; COMPUTE_PGM_RSRC3_GFX90A:ACCUM_OFFSET: 0
; COMPUTE_PGM_RSRC3_GFX90A:TG_SPLIT: 0
	.section	.text._ZN7rocprim17ROCPRIM_400000_NS6detail17trampoline_kernelINS0_14default_configENS1_29binary_search_config_selectorIxiEEZNS1_14transform_implILb0ES3_S5_N6thrust23THRUST_200600_302600_NS6detail15normal_iteratorINS8_10device_ptrIxEEEENSA_INSB_IiEEEEZNS1_13binary_searchIS3_S5_SD_SD_SF_NS1_16binary_search_opENS9_16wrapped_functionINS0_4lessIvEEbEEEE10hipError_tPvRmT1_T2_T3_mmT4_T5_P12ihipStream_tbEUlRKxE_EESM_SQ_SR_mSS_SV_bEUlT_E_NS1_11comp_targetILNS1_3genE9ELNS1_11target_archE1100ELNS1_3gpuE3ELNS1_3repE0EEENS1_30default_config_static_selectorELNS0_4arch9wavefront6targetE1EEEvSP_,"axG",@progbits,_ZN7rocprim17ROCPRIM_400000_NS6detail17trampoline_kernelINS0_14default_configENS1_29binary_search_config_selectorIxiEEZNS1_14transform_implILb0ES3_S5_N6thrust23THRUST_200600_302600_NS6detail15normal_iteratorINS8_10device_ptrIxEEEENSA_INSB_IiEEEEZNS1_13binary_searchIS3_S5_SD_SD_SF_NS1_16binary_search_opENS9_16wrapped_functionINS0_4lessIvEEbEEEE10hipError_tPvRmT1_T2_T3_mmT4_T5_P12ihipStream_tbEUlRKxE_EESM_SQ_SR_mSS_SV_bEUlT_E_NS1_11comp_targetILNS1_3genE9ELNS1_11target_archE1100ELNS1_3gpuE3ELNS1_3repE0EEENS1_30default_config_static_selectorELNS0_4arch9wavefront6targetE1EEEvSP_,comdat
	.protected	_ZN7rocprim17ROCPRIM_400000_NS6detail17trampoline_kernelINS0_14default_configENS1_29binary_search_config_selectorIxiEEZNS1_14transform_implILb0ES3_S5_N6thrust23THRUST_200600_302600_NS6detail15normal_iteratorINS8_10device_ptrIxEEEENSA_INSB_IiEEEEZNS1_13binary_searchIS3_S5_SD_SD_SF_NS1_16binary_search_opENS9_16wrapped_functionINS0_4lessIvEEbEEEE10hipError_tPvRmT1_T2_T3_mmT4_T5_P12ihipStream_tbEUlRKxE_EESM_SQ_SR_mSS_SV_bEUlT_E_NS1_11comp_targetILNS1_3genE9ELNS1_11target_archE1100ELNS1_3gpuE3ELNS1_3repE0EEENS1_30default_config_static_selectorELNS0_4arch9wavefront6targetE1EEEvSP_ ; -- Begin function _ZN7rocprim17ROCPRIM_400000_NS6detail17trampoline_kernelINS0_14default_configENS1_29binary_search_config_selectorIxiEEZNS1_14transform_implILb0ES3_S5_N6thrust23THRUST_200600_302600_NS6detail15normal_iteratorINS8_10device_ptrIxEEEENSA_INSB_IiEEEEZNS1_13binary_searchIS3_S5_SD_SD_SF_NS1_16binary_search_opENS9_16wrapped_functionINS0_4lessIvEEbEEEE10hipError_tPvRmT1_T2_T3_mmT4_T5_P12ihipStream_tbEUlRKxE_EESM_SQ_SR_mSS_SV_bEUlT_E_NS1_11comp_targetILNS1_3genE9ELNS1_11target_archE1100ELNS1_3gpuE3ELNS1_3repE0EEENS1_30default_config_static_selectorELNS0_4arch9wavefront6targetE1EEEvSP_
	.globl	_ZN7rocprim17ROCPRIM_400000_NS6detail17trampoline_kernelINS0_14default_configENS1_29binary_search_config_selectorIxiEEZNS1_14transform_implILb0ES3_S5_N6thrust23THRUST_200600_302600_NS6detail15normal_iteratorINS8_10device_ptrIxEEEENSA_INSB_IiEEEEZNS1_13binary_searchIS3_S5_SD_SD_SF_NS1_16binary_search_opENS9_16wrapped_functionINS0_4lessIvEEbEEEE10hipError_tPvRmT1_T2_T3_mmT4_T5_P12ihipStream_tbEUlRKxE_EESM_SQ_SR_mSS_SV_bEUlT_E_NS1_11comp_targetILNS1_3genE9ELNS1_11target_archE1100ELNS1_3gpuE3ELNS1_3repE0EEENS1_30default_config_static_selectorELNS0_4arch9wavefront6targetE1EEEvSP_
	.p2align	8
	.type	_ZN7rocprim17ROCPRIM_400000_NS6detail17trampoline_kernelINS0_14default_configENS1_29binary_search_config_selectorIxiEEZNS1_14transform_implILb0ES3_S5_N6thrust23THRUST_200600_302600_NS6detail15normal_iteratorINS8_10device_ptrIxEEEENSA_INSB_IiEEEEZNS1_13binary_searchIS3_S5_SD_SD_SF_NS1_16binary_search_opENS9_16wrapped_functionINS0_4lessIvEEbEEEE10hipError_tPvRmT1_T2_T3_mmT4_T5_P12ihipStream_tbEUlRKxE_EESM_SQ_SR_mSS_SV_bEUlT_E_NS1_11comp_targetILNS1_3genE9ELNS1_11target_archE1100ELNS1_3gpuE3ELNS1_3repE0EEENS1_30default_config_static_selectorELNS0_4arch9wavefront6targetE1EEEvSP_,@function
_ZN7rocprim17ROCPRIM_400000_NS6detail17trampoline_kernelINS0_14default_configENS1_29binary_search_config_selectorIxiEEZNS1_14transform_implILb0ES3_S5_N6thrust23THRUST_200600_302600_NS6detail15normal_iteratorINS8_10device_ptrIxEEEENSA_INSB_IiEEEEZNS1_13binary_searchIS3_S5_SD_SD_SF_NS1_16binary_search_opENS9_16wrapped_functionINS0_4lessIvEEbEEEE10hipError_tPvRmT1_T2_T3_mmT4_T5_P12ihipStream_tbEUlRKxE_EESM_SQ_SR_mSS_SV_bEUlT_E_NS1_11comp_targetILNS1_3genE9ELNS1_11target_archE1100ELNS1_3gpuE3ELNS1_3repE0EEENS1_30default_config_static_selectorELNS0_4arch9wavefront6targetE1EEEvSP_: ; @_ZN7rocprim17ROCPRIM_400000_NS6detail17trampoline_kernelINS0_14default_configENS1_29binary_search_config_selectorIxiEEZNS1_14transform_implILb0ES3_S5_N6thrust23THRUST_200600_302600_NS6detail15normal_iteratorINS8_10device_ptrIxEEEENSA_INSB_IiEEEEZNS1_13binary_searchIS3_S5_SD_SD_SF_NS1_16binary_search_opENS9_16wrapped_functionINS0_4lessIvEEbEEEE10hipError_tPvRmT1_T2_T3_mmT4_T5_P12ihipStream_tbEUlRKxE_EESM_SQ_SR_mSS_SV_bEUlT_E_NS1_11comp_targetILNS1_3genE9ELNS1_11target_archE1100ELNS1_3gpuE3ELNS1_3repE0EEENS1_30default_config_static_selectorELNS0_4arch9wavefront6targetE1EEEvSP_
; %bb.0:
	.section	.rodata,"a",@progbits
	.p2align	6, 0x0
	.amdhsa_kernel _ZN7rocprim17ROCPRIM_400000_NS6detail17trampoline_kernelINS0_14default_configENS1_29binary_search_config_selectorIxiEEZNS1_14transform_implILb0ES3_S5_N6thrust23THRUST_200600_302600_NS6detail15normal_iteratorINS8_10device_ptrIxEEEENSA_INSB_IiEEEEZNS1_13binary_searchIS3_S5_SD_SD_SF_NS1_16binary_search_opENS9_16wrapped_functionINS0_4lessIvEEbEEEE10hipError_tPvRmT1_T2_T3_mmT4_T5_P12ihipStream_tbEUlRKxE_EESM_SQ_SR_mSS_SV_bEUlT_E_NS1_11comp_targetILNS1_3genE9ELNS1_11target_archE1100ELNS1_3gpuE3ELNS1_3repE0EEENS1_30default_config_static_selectorELNS0_4arch9wavefront6targetE1EEEvSP_
		.amdhsa_group_segment_fixed_size 0
		.amdhsa_private_segment_fixed_size 0
		.amdhsa_kernarg_size 56
		.amdhsa_user_sgpr_count 6
		.amdhsa_user_sgpr_private_segment_buffer 1
		.amdhsa_user_sgpr_dispatch_ptr 0
		.amdhsa_user_sgpr_queue_ptr 0
		.amdhsa_user_sgpr_kernarg_segment_ptr 1
		.amdhsa_user_sgpr_dispatch_id 0
		.amdhsa_user_sgpr_flat_scratch_init 0
		.amdhsa_user_sgpr_kernarg_preload_length 0
		.amdhsa_user_sgpr_kernarg_preload_offset 0
		.amdhsa_user_sgpr_private_segment_size 0
		.amdhsa_uses_dynamic_stack 0
		.amdhsa_system_sgpr_private_segment_wavefront_offset 0
		.amdhsa_system_sgpr_workgroup_id_x 1
		.amdhsa_system_sgpr_workgroup_id_y 0
		.amdhsa_system_sgpr_workgroup_id_z 0
		.amdhsa_system_sgpr_workgroup_info 0
		.amdhsa_system_vgpr_workitem_id 0
		.amdhsa_next_free_vgpr 1
		.amdhsa_next_free_sgpr 0
		.amdhsa_accum_offset 4
		.amdhsa_reserve_vcc 0
		.amdhsa_reserve_flat_scratch 0
		.amdhsa_float_round_mode_32 0
		.amdhsa_float_round_mode_16_64 0
		.amdhsa_float_denorm_mode_32 3
		.amdhsa_float_denorm_mode_16_64 3
		.amdhsa_dx10_clamp 1
		.amdhsa_ieee_mode 1
		.amdhsa_fp16_overflow 0
		.amdhsa_tg_split 0
		.amdhsa_exception_fp_ieee_invalid_op 0
		.amdhsa_exception_fp_denorm_src 0
		.amdhsa_exception_fp_ieee_div_zero 0
		.amdhsa_exception_fp_ieee_overflow 0
		.amdhsa_exception_fp_ieee_underflow 0
		.amdhsa_exception_fp_ieee_inexact 0
		.amdhsa_exception_int_div_zero 0
	.end_amdhsa_kernel
	.section	.text._ZN7rocprim17ROCPRIM_400000_NS6detail17trampoline_kernelINS0_14default_configENS1_29binary_search_config_selectorIxiEEZNS1_14transform_implILb0ES3_S5_N6thrust23THRUST_200600_302600_NS6detail15normal_iteratorINS8_10device_ptrIxEEEENSA_INSB_IiEEEEZNS1_13binary_searchIS3_S5_SD_SD_SF_NS1_16binary_search_opENS9_16wrapped_functionINS0_4lessIvEEbEEEE10hipError_tPvRmT1_T2_T3_mmT4_T5_P12ihipStream_tbEUlRKxE_EESM_SQ_SR_mSS_SV_bEUlT_E_NS1_11comp_targetILNS1_3genE9ELNS1_11target_archE1100ELNS1_3gpuE3ELNS1_3repE0EEENS1_30default_config_static_selectorELNS0_4arch9wavefront6targetE1EEEvSP_,"axG",@progbits,_ZN7rocprim17ROCPRIM_400000_NS6detail17trampoline_kernelINS0_14default_configENS1_29binary_search_config_selectorIxiEEZNS1_14transform_implILb0ES3_S5_N6thrust23THRUST_200600_302600_NS6detail15normal_iteratorINS8_10device_ptrIxEEEENSA_INSB_IiEEEEZNS1_13binary_searchIS3_S5_SD_SD_SF_NS1_16binary_search_opENS9_16wrapped_functionINS0_4lessIvEEbEEEE10hipError_tPvRmT1_T2_T3_mmT4_T5_P12ihipStream_tbEUlRKxE_EESM_SQ_SR_mSS_SV_bEUlT_E_NS1_11comp_targetILNS1_3genE9ELNS1_11target_archE1100ELNS1_3gpuE3ELNS1_3repE0EEENS1_30default_config_static_selectorELNS0_4arch9wavefront6targetE1EEEvSP_,comdat
.Lfunc_end508:
	.size	_ZN7rocprim17ROCPRIM_400000_NS6detail17trampoline_kernelINS0_14default_configENS1_29binary_search_config_selectorIxiEEZNS1_14transform_implILb0ES3_S5_N6thrust23THRUST_200600_302600_NS6detail15normal_iteratorINS8_10device_ptrIxEEEENSA_INSB_IiEEEEZNS1_13binary_searchIS3_S5_SD_SD_SF_NS1_16binary_search_opENS9_16wrapped_functionINS0_4lessIvEEbEEEE10hipError_tPvRmT1_T2_T3_mmT4_T5_P12ihipStream_tbEUlRKxE_EESM_SQ_SR_mSS_SV_bEUlT_E_NS1_11comp_targetILNS1_3genE9ELNS1_11target_archE1100ELNS1_3gpuE3ELNS1_3repE0EEENS1_30default_config_static_selectorELNS0_4arch9wavefront6targetE1EEEvSP_, .Lfunc_end508-_ZN7rocprim17ROCPRIM_400000_NS6detail17trampoline_kernelINS0_14default_configENS1_29binary_search_config_selectorIxiEEZNS1_14transform_implILb0ES3_S5_N6thrust23THRUST_200600_302600_NS6detail15normal_iteratorINS8_10device_ptrIxEEEENSA_INSB_IiEEEEZNS1_13binary_searchIS3_S5_SD_SD_SF_NS1_16binary_search_opENS9_16wrapped_functionINS0_4lessIvEEbEEEE10hipError_tPvRmT1_T2_T3_mmT4_T5_P12ihipStream_tbEUlRKxE_EESM_SQ_SR_mSS_SV_bEUlT_E_NS1_11comp_targetILNS1_3genE9ELNS1_11target_archE1100ELNS1_3gpuE3ELNS1_3repE0EEENS1_30default_config_static_selectorELNS0_4arch9wavefront6targetE1EEEvSP_
                                        ; -- End function
	.section	.AMDGPU.csdata,"",@progbits
; Kernel info:
; codeLenInByte = 0
; NumSgprs: 4
; NumVgprs: 0
; NumAgprs: 0
; TotalNumVgprs: 0
; ScratchSize: 0
; MemoryBound: 0
; FloatMode: 240
; IeeeMode: 1
; LDSByteSize: 0 bytes/workgroup (compile time only)
; SGPRBlocks: 0
; VGPRBlocks: 0
; NumSGPRsForWavesPerEU: 4
; NumVGPRsForWavesPerEU: 1
; AccumOffset: 4
; Occupancy: 8
; WaveLimiterHint : 0
; COMPUTE_PGM_RSRC2:SCRATCH_EN: 0
; COMPUTE_PGM_RSRC2:USER_SGPR: 6
; COMPUTE_PGM_RSRC2:TRAP_HANDLER: 0
; COMPUTE_PGM_RSRC2:TGID_X_EN: 1
; COMPUTE_PGM_RSRC2:TGID_Y_EN: 0
; COMPUTE_PGM_RSRC2:TGID_Z_EN: 0
; COMPUTE_PGM_RSRC2:TIDIG_COMP_CNT: 0
; COMPUTE_PGM_RSRC3_GFX90A:ACCUM_OFFSET: 0
; COMPUTE_PGM_RSRC3_GFX90A:TG_SPLIT: 0
	.section	.text._ZN7rocprim17ROCPRIM_400000_NS6detail17trampoline_kernelINS0_14default_configENS1_29binary_search_config_selectorIxiEEZNS1_14transform_implILb0ES3_S5_N6thrust23THRUST_200600_302600_NS6detail15normal_iteratorINS8_10device_ptrIxEEEENSA_INSB_IiEEEEZNS1_13binary_searchIS3_S5_SD_SD_SF_NS1_16binary_search_opENS9_16wrapped_functionINS0_4lessIvEEbEEEE10hipError_tPvRmT1_T2_T3_mmT4_T5_P12ihipStream_tbEUlRKxE_EESM_SQ_SR_mSS_SV_bEUlT_E_NS1_11comp_targetILNS1_3genE8ELNS1_11target_archE1030ELNS1_3gpuE2ELNS1_3repE0EEENS1_30default_config_static_selectorELNS0_4arch9wavefront6targetE1EEEvSP_,"axG",@progbits,_ZN7rocprim17ROCPRIM_400000_NS6detail17trampoline_kernelINS0_14default_configENS1_29binary_search_config_selectorIxiEEZNS1_14transform_implILb0ES3_S5_N6thrust23THRUST_200600_302600_NS6detail15normal_iteratorINS8_10device_ptrIxEEEENSA_INSB_IiEEEEZNS1_13binary_searchIS3_S5_SD_SD_SF_NS1_16binary_search_opENS9_16wrapped_functionINS0_4lessIvEEbEEEE10hipError_tPvRmT1_T2_T3_mmT4_T5_P12ihipStream_tbEUlRKxE_EESM_SQ_SR_mSS_SV_bEUlT_E_NS1_11comp_targetILNS1_3genE8ELNS1_11target_archE1030ELNS1_3gpuE2ELNS1_3repE0EEENS1_30default_config_static_selectorELNS0_4arch9wavefront6targetE1EEEvSP_,comdat
	.protected	_ZN7rocprim17ROCPRIM_400000_NS6detail17trampoline_kernelINS0_14default_configENS1_29binary_search_config_selectorIxiEEZNS1_14transform_implILb0ES3_S5_N6thrust23THRUST_200600_302600_NS6detail15normal_iteratorINS8_10device_ptrIxEEEENSA_INSB_IiEEEEZNS1_13binary_searchIS3_S5_SD_SD_SF_NS1_16binary_search_opENS9_16wrapped_functionINS0_4lessIvEEbEEEE10hipError_tPvRmT1_T2_T3_mmT4_T5_P12ihipStream_tbEUlRKxE_EESM_SQ_SR_mSS_SV_bEUlT_E_NS1_11comp_targetILNS1_3genE8ELNS1_11target_archE1030ELNS1_3gpuE2ELNS1_3repE0EEENS1_30default_config_static_selectorELNS0_4arch9wavefront6targetE1EEEvSP_ ; -- Begin function _ZN7rocprim17ROCPRIM_400000_NS6detail17trampoline_kernelINS0_14default_configENS1_29binary_search_config_selectorIxiEEZNS1_14transform_implILb0ES3_S5_N6thrust23THRUST_200600_302600_NS6detail15normal_iteratorINS8_10device_ptrIxEEEENSA_INSB_IiEEEEZNS1_13binary_searchIS3_S5_SD_SD_SF_NS1_16binary_search_opENS9_16wrapped_functionINS0_4lessIvEEbEEEE10hipError_tPvRmT1_T2_T3_mmT4_T5_P12ihipStream_tbEUlRKxE_EESM_SQ_SR_mSS_SV_bEUlT_E_NS1_11comp_targetILNS1_3genE8ELNS1_11target_archE1030ELNS1_3gpuE2ELNS1_3repE0EEENS1_30default_config_static_selectorELNS0_4arch9wavefront6targetE1EEEvSP_
	.globl	_ZN7rocprim17ROCPRIM_400000_NS6detail17trampoline_kernelINS0_14default_configENS1_29binary_search_config_selectorIxiEEZNS1_14transform_implILb0ES3_S5_N6thrust23THRUST_200600_302600_NS6detail15normal_iteratorINS8_10device_ptrIxEEEENSA_INSB_IiEEEEZNS1_13binary_searchIS3_S5_SD_SD_SF_NS1_16binary_search_opENS9_16wrapped_functionINS0_4lessIvEEbEEEE10hipError_tPvRmT1_T2_T3_mmT4_T5_P12ihipStream_tbEUlRKxE_EESM_SQ_SR_mSS_SV_bEUlT_E_NS1_11comp_targetILNS1_3genE8ELNS1_11target_archE1030ELNS1_3gpuE2ELNS1_3repE0EEENS1_30default_config_static_selectorELNS0_4arch9wavefront6targetE1EEEvSP_
	.p2align	8
	.type	_ZN7rocprim17ROCPRIM_400000_NS6detail17trampoline_kernelINS0_14default_configENS1_29binary_search_config_selectorIxiEEZNS1_14transform_implILb0ES3_S5_N6thrust23THRUST_200600_302600_NS6detail15normal_iteratorINS8_10device_ptrIxEEEENSA_INSB_IiEEEEZNS1_13binary_searchIS3_S5_SD_SD_SF_NS1_16binary_search_opENS9_16wrapped_functionINS0_4lessIvEEbEEEE10hipError_tPvRmT1_T2_T3_mmT4_T5_P12ihipStream_tbEUlRKxE_EESM_SQ_SR_mSS_SV_bEUlT_E_NS1_11comp_targetILNS1_3genE8ELNS1_11target_archE1030ELNS1_3gpuE2ELNS1_3repE0EEENS1_30default_config_static_selectorELNS0_4arch9wavefront6targetE1EEEvSP_,@function
_ZN7rocprim17ROCPRIM_400000_NS6detail17trampoline_kernelINS0_14default_configENS1_29binary_search_config_selectorIxiEEZNS1_14transform_implILb0ES3_S5_N6thrust23THRUST_200600_302600_NS6detail15normal_iteratorINS8_10device_ptrIxEEEENSA_INSB_IiEEEEZNS1_13binary_searchIS3_S5_SD_SD_SF_NS1_16binary_search_opENS9_16wrapped_functionINS0_4lessIvEEbEEEE10hipError_tPvRmT1_T2_T3_mmT4_T5_P12ihipStream_tbEUlRKxE_EESM_SQ_SR_mSS_SV_bEUlT_E_NS1_11comp_targetILNS1_3genE8ELNS1_11target_archE1030ELNS1_3gpuE2ELNS1_3repE0EEENS1_30default_config_static_selectorELNS0_4arch9wavefront6targetE1EEEvSP_: ; @_ZN7rocprim17ROCPRIM_400000_NS6detail17trampoline_kernelINS0_14default_configENS1_29binary_search_config_selectorIxiEEZNS1_14transform_implILb0ES3_S5_N6thrust23THRUST_200600_302600_NS6detail15normal_iteratorINS8_10device_ptrIxEEEENSA_INSB_IiEEEEZNS1_13binary_searchIS3_S5_SD_SD_SF_NS1_16binary_search_opENS9_16wrapped_functionINS0_4lessIvEEbEEEE10hipError_tPvRmT1_T2_T3_mmT4_T5_P12ihipStream_tbEUlRKxE_EESM_SQ_SR_mSS_SV_bEUlT_E_NS1_11comp_targetILNS1_3genE8ELNS1_11target_archE1030ELNS1_3gpuE2ELNS1_3repE0EEENS1_30default_config_static_selectorELNS0_4arch9wavefront6targetE1EEEvSP_
; %bb.0:
	.section	.rodata,"a",@progbits
	.p2align	6, 0x0
	.amdhsa_kernel _ZN7rocprim17ROCPRIM_400000_NS6detail17trampoline_kernelINS0_14default_configENS1_29binary_search_config_selectorIxiEEZNS1_14transform_implILb0ES3_S5_N6thrust23THRUST_200600_302600_NS6detail15normal_iteratorINS8_10device_ptrIxEEEENSA_INSB_IiEEEEZNS1_13binary_searchIS3_S5_SD_SD_SF_NS1_16binary_search_opENS9_16wrapped_functionINS0_4lessIvEEbEEEE10hipError_tPvRmT1_T2_T3_mmT4_T5_P12ihipStream_tbEUlRKxE_EESM_SQ_SR_mSS_SV_bEUlT_E_NS1_11comp_targetILNS1_3genE8ELNS1_11target_archE1030ELNS1_3gpuE2ELNS1_3repE0EEENS1_30default_config_static_selectorELNS0_4arch9wavefront6targetE1EEEvSP_
		.amdhsa_group_segment_fixed_size 0
		.amdhsa_private_segment_fixed_size 0
		.amdhsa_kernarg_size 56
		.amdhsa_user_sgpr_count 6
		.amdhsa_user_sgpr_private_segment_buffer 1
		.amdhsa_user_sgpr_dispatch_ptr 0
		.amdhsa_user_sgpr_queue_ptr 0
		.amdhsa_user_sgpr_kernarg_segment_ptr 1
		.amdhsa_user_sgpr_dispatch_id 0
		.amdhsa_user_sgpr_flat_scratch_init 0
		.amdhsa_user_sgpr_kernarg_preload_length 0
		.amdhsa_user_sgpr_kernarg_preload_offset 0
		.amdhsa_user_sgpr_private_segment_size 0
		.amdhsa_uses_dynamic_stack 0
		.amdhsa_system_sgpr_private_segment_wavefront_offset 0
		.amdhsa_system_sgpr_workgroup_id_x 1
		.amdhsa_system_sgpr_workgroup_id_y 0
		.amdhsa_system_sgpr_workgroup_id_z 0
		.amdhsa_system_sgpr_workgroup_info 0
		.amdhsa_system_vgpr_workitem_id 0
		.amdhsa_next_free_vgpr 1
		.amdhsa_next_free_sgpr 0
		.amdhsa_accum_offset 4
		.amdhsa_reserve_vcc 0
		.amdhsa_reserve_flat_scratch 0
		.amdhsa_float_round_mode_32 0
		.amdhsa_float_round_mode_16_64 0
		.amdhsa_float_denorm_mode_32 3
		.amdhsa_float_denorm_mode_16_64 3
		.amdhsa_dx10_clamp 1
		.amdhsa_ieee_mode 1
		.amdhsa_fp16_overflow 0
		.amdhsa_tg_split 0
		.amdhsa_exception_fp_ieee_invalid_op 0
		.amdhsa_exception_fp_denorm_src 0
		.amdhsa_exception_fp_ieee_div_zero 0
		.amdhsa_exception_fp_ieee_overflow 0
		.amdhsa_exception_fp_ieee_underflow 0
		.amdhsa_exception_fp_ieee_inexact 0
		.amdhsa_exception_int_div_zero 0
	.end_amdhsa_kernel
	.section	.text._ZN7rocprim17ROCPRIM_400000_NS6detail17trampoline_kernelINS0_14default_configENS1_29binary_search_config_selectorIxiEEZNS1_14transform_implILb0ES3_S5_N6thrust23THRUST_200600_302600_NS6detail15normal_iteratorINS8_10device_ptrIxEEEENSA_INSB_IiEEEEZNS1_13binary_searchIS3_S5_SD_SD_SF_NS1_16binary_search_opENS9_16wrapped_functionINS0_4lessIvEEbEEEE10hipError_tPvRmT1_T2_T3_mmT4_T5_P12ihipStream_tbEUlRKxE_EESM_SQ_SR_mSS_SV_bEUlT_E_NS1_11comp_targetILNS1_3genE8ELNS1_11target_archE1030ELNS1_3gpuE2ELNS1_3repE0EEENS1_30default_config_static_selectorELNS0_4arch9wavefront6targetE1EEEvSP_,"axG",@progbits,_ZN7rocprim17ROCPRIM_400000_NS6detail17trampoline_kernelINS0_14default_configENS1_29binary_search_config_selectorIxiEEZNS1_14transform_implILb0ES3_S5_N6thrust23THRUST_200600_302600_NS6detail15normal_iteratorINS8_10device_ptrIxEEEENSA_INSB_IiEEEEZNS1_13binary_searchIS3_S5_SD_SD_SF_NS1_16binary_search_opENS9_16wrapped_functionINS0_4lessIvEEbEEEE10hipError_tPvRmT1_T2_T3_mmT4_T5_P12ihipStream_tbEUlRKxE_EESM_SQ_SR_mSS_SV_bEUlT_E_NS1_11comp_targetILNS1_3genE8ELNS1_11target_archE1030ELNS1_3gpuE2ELNS1_3repE0EEENS1_30default_config_static_selectorELNS0_4arch9wavefront6targetE1EEEvSP_,comdat
.Lfunc_end509:
	.size	_ZN7rocprim17ROCPRIM_400000_NS6detail17trampoline_kernelINS0_14default_configENS1_29binary_search_config_selectorIxiEEZNS1_14transform_implILb0ES3_S5_N6thrust23THRUST_200600_302600_NS6detail15normal_iteratorINS8_10device_ptrIxEEEENSA_INSB_IiEEEEZNS1_13binary_searchIS3_S5_SD_SD_SF_NS1_16binary_search_opENS9_16wrapped_functionINS0_4lessIvEEbEEEE10hipError_tPvRmT1_T2_T3_mmT4_T5_P12ihipStream_tbEUlRKxE_EESM_SQ_SR_mSS_SV_bEUlT_E_NS1_11comp_targetILNS1_3genE8ELNS1_11target_archE1030ELNS1_3gpuE2ELNS1_3repE0EEENS1_30default_config_static_selectorELNS0_4arch9wavefront6targetE1EEEvSP_, .Lfunc_end509-_ZN7rocprim17ROCPRIM_400000_NS6detail17trampoline_kernelINS0_14default_configENS1_29binary_search_config_selectorIxiEEZNS1_14transform_implILb0ES3_S5_N6thrust23THRUST_200600_302600_NS6detail15normal_iteratorINS8_10device_ptrIxEEEENSA_INSB_IiEEEEZNS1_13binary_searchIS3_S5_SD_SD_SF_NS1_16binary_search_opENS9_16wrapped_functionINS0_4lessIvEEbEEEE10hipError_tPvRmT1_T2_T3_mmT4_T5_P12ihipStream_tbEUlRKxE_EESM_SQ_SR_mSS_SV_bEUlT_E_NS1_11comp_targetILNS1_3genE8ELNS1_11target_archE1030ELNS1_3gpuE2ELNS1_3repE0EEENS1_30default_config_static_selectorELNS0_4arch9wavefront6targetE1EEEvSP_
                                        ; -- End function
	.section	.AMDGPU.csdata,"",@progbits
; Kernel info:
; codeLenInByte = 0
; NumSgprs: 4
; NumVgprs: 0
; NumAgprs: 0
; TotalNumVgprs: 0
; ScratchSize: 0
; MemoryBound: 0
; FloatMode: 240
; IeeeMode: 1
; LDSByteSize: 0 bytes/workgroup (compile time only)
; SGPRBlocks: 0
; VGPRBlocks: 0
; NumSGPRsForWavesPerEU: 4
; NumVGPRsForWavesPerEU: 1
; AccumOffset: 4
; Occupancy: 8
; WaveLimiterHint : 0
; COMPUTE_PGM_RSRC2:SCRATCH_EN: 0
; COMPUTE_PGM_RSRC2:USER_SGPR: 6
; COMPUTE_PGM_RSRC2:TRAP_HANDLER: 0
; COMPUTE_PGM_RSRC2:TGID_X_EN: 1
; COMPUTE_PGM_RSRC2:TGID_Y_EN: 0
; COMPUTE_PGM_RSRC2:TGID_Z_EN: 0
; COMPUTE_PGM_RSRC2:TIDIG_COMP_CNT: 0
; COMPUTE_PGM_RSRC3_GFX90A:ACCUM_OFFSET: 0
; COMPUTE_PGM_RSRC3_GFX90A:TG_SPLIT: 0
	.section	.text._ZN7rocprim17ROCPRIM_400000_NS6detail17trampoline_kernelINS0_14default_configENS1_29binary_search_config_selectorIibEEZNS1_14transform_implILb0ES3_S5_N6thrust23THRUST_200600_302600_NS6detail15normal_iteratorINS8_10device_ptrIiEEEENSA_INSB_IbEEEEZNS1_13binary_searchIS3_S5_SD_SD_SF_NS1_16binary_search_opENS9_16wrapped_functionINS0_4lessIvEEbEEEE10hipError_tPvRmT1_T2_T3_mmT4_T5_P12ihipStream_tbEUlRKiE_EESM_SQ_SR_mSS_SV_bEUlT_E_NS1_11comp_targetILNS1_3genE0ELNS1_11target_archE4294967295ELNS1_3gpuE0ELNS1_3repE0EEENS1_30default_config_static_selectorELNS0_4arch9wavefront6targetE1EEEvSP_,"axG",@progbits,_ZN7rocprim17ROCPRIM_400000_NS6detail17trampoline_kernelINS0_14default_configENS1_29binary_search_config_selectorIibEEZNS1_14transform_implILb0ES3_S5_N6thrust23THRUST_200600_302600_NS6detail15normal_iteratorINS8_10device_ptrIiEEEENSA_INSB_IbEEEEZNS1_13binary_searchIS3_S5_SD_SD_SF_NS1_16binary_search_opENS9_16wrapped_functionINS0_4lessIvEEbEEEE10hipError_tPvRmT1_T2_T3_mmT4_T5_P12ihipStream_tbEUlRKiE_EESM_SQ_SR_mSS_SV_bEUlT_E_NS1_11comp_targetILNS1_3genE0ELNS1_11target_archE4294967295ELNS1_3gpuE0ELNS1_3repE0EEENS1_30default_config_static_selectorELNS0_4arch9wavefront6targetE1EEEvSP_,comdat
	.protected	_ZN7rocprim17ROCPRIM_400000_NS6detail17trampoline_kernelINS0_14default_configENS1_29binary_search_config_selectorIibEEZNS1_14transform_implILb0ES3_S5_N6thrust23THRUST_200600_302600_NS6detail15normal_iteratorINS8_10device_ptrIiEEEENSA_INSB_IbEEEEZNS1_13binary_searchIS3_S5_SD_SD_SF_NS1_16binary_search_opENS9_16wrapped_functionINS0_4lessIvEEbEEEE10hipError_tPvRmT1_T2_T3_mmT4_T5_P12ihipStream_tbEUlRKiE_EESM_SQ_SR_mSS_SV_bEUlT_E_NS1_11comp_targetILNS1_3genE0ELNS1_11target_archE4294967295ELNS1_3gpuE0ELNS1_3repE0EEENS1_30default_config_static_selectorELNS0_4arch9wavefront6targetE1EEEvSP_ ; -- Begin function _ZN7rocprim17ROCPRIM_400000_NS6detail17trampoline_kernelINS0_14default_configENS1_29binary_search_config_selectorIibEEZNS1_14transform_implILb0ES3_S5_N6thrust23THRUST_200600_302600_NS6detail15normal_iteratorINS8_10device_ptrIiEEEENSA_INSB_IbEEEEZNS1_13binary_searchIS3_S5_SD_SD_SF_NS1_16binary_search_opENS9_16wrapped_functionINS0_4lessIvEEbEEEE10hipError_tPvRmT1_T2_T3_mmT4_T5_P12ihipStream_tbEUlRKiE_EESM_SQ_SR_mSS_SV_bEUlT_E_NS1_11comp_targetILNS1_3genE0ELNS1_11target_archE4294967295ELNS1_3gpuE0ELNS1_3repE0EEENS1_30default_config_static_selectorELNS0_4arch9wavefront6targetE1EEEvSP_
	.globl	_ZN7rocprim17ROCPRIM_400000_NS6detail17trampoline_kernelINS0_14default_configENS1_29binary_search_config_selectorIibEEZNS1_14transform_implILb0ES3_S5_N6thrust23THRUST_200600_302600_NS6detail15normal_iteratorINS8_10device_ptrIiEEEENSA_INSB_IbEEEEZNS1_13binary_searchIS3_S5_SD_SD_SF_NS1_16binary_search_opENS9_16wrapped_functionINS0_4lessIvEEbEEEE10hipError_tPvRmT1_T2_T3_mmT4_T5_P12ihipStream_tbEUlRKiE_EESM_SQ_SR_mSS_SV_bEUlT_E_NS1_11comp_targetILNS1_3genE0ELNS1_11target_archE4294967295ELNS1_3gpuE0ELNS1_3repE0EEENS1_30default_config_static_selectorELNS0_4arch9wavefront6targetE1EEEvSP_
	.p2align	8
	.type	_ZN7rocprim17ROCPRIM_400000_NS6detail17trampoline_kernelINS0_14default_configENS1_29binary_search_config_selectorIibEEZNS1_14transform_implILb0ES3_S5_N6thrust23THRUST_200600_302600_NS6detail15normal_iteratorINS8_10device_ptrIiEEEENSA_INSB_IbEEEEZNS1_13binary_searchIS3_S5_SD_SD_SF_NS1_16binary_search_opENS9_16wrapped_functionINS0_4lessIvEEbEEEE10hipError_tPvRmT1_T2_T3_mmT4_T5_P12ihipStream_tbEUlRKiE_EESM_SQ_SR_mSS_SV_bEUlT_E_NS1_11comp_targetILNS1_3genE0ELNS1_11target_archE4294967295ELNS1_3gpuE0ELNS1_3repE0EEENS1_30default_config_static_selectorELNS0_4arch9wavefront6targetE1EEEvSP_,@function
_ZN7rocprim17ROCPRIM_400000_NS6detail17trampoline_kernelINS0_14default_configENS1_29binary_search_config_selectorIibEEZNS1_14transform_implILb0ES3_S5_N6thrust23THRUST_200600_302600_NS6detail15normal_iteratorINS8_10device_ptrIiEEEENSA_INSB_IbEEEEZNS1_13binary_searchIS3_S5_SD_SD_SF_NS1_16binary_search_opENS9_16wrapped_functionINS0_4lessIvEEbEEEE10hipError_tPvRmT1_T2_T3_mmT4_T5_P12ihipStream_tbEUlRKiE_EESM_SQ_SR_mSS_SV_bEUlT_E_NS1_11comp_targetILNS1_3genE0ELNS1_11target_archE4294967295ELNS1_3gpuE0ELNS1_3repE0EEENS1_30default_config_static_selectorELNS0_4arch9wavefront6targetE1EEEvSP_: ; @_ZN7rocprim17ROCPRIM_400000_NS6detail17trampoline_kernelINS0_14default_configENS1_29binary_search_config_selectorIibEEZNS1_14transform_implILb0ES3_S5_N6thrust23THRUST_200600_302600_NS6detail15normal_iteratorINS8_10device_ptrIiEEEENSA_INSB_IbEEEEZNS1_13binary_searchIS3_S5_SD_SD_SF_NS1_16binary_search_opENS9_16wrapped_functionINS0_4lessIvEEbEEEE10hipError_tPvRmT1_T2_T3_mmT4_T5_P12ihipStream_tbEUlRKiE_EESM_SQ_SR_mSS_SV_bEUlT_E_NS1_11comp_targetILNS1_3genE0ELNS1_11target_archE4294967295ELNS1_3gpuE0ELNS1_3repE0EEENS1_30default_config_static_selectorELNS0_4arch9wavefront6targetE1EEEvSP_
; %bb.0:
	.section	.rodata,"a",@progbits
	.p2align	6, 0x0
	.amdhsa_kernel _ZN7rocprim17ROCPRIM_400000_NS6detail17trampoline_kernelINS0_14default_configENS1_29binary_search_config_selectorIibEEZNS1_14transform_implILb0ES3_S5_N6thrust23THRUST_200600_302600_NS6detail15normal_iteratorINS8_10device_ptrIiEEEENSA_INSB_IbEEEEZNS1_13binary_searchIS3_S5_SD_SD_SF_NS1_16binary_search_opENS9_16wrapped_functionINS0_4lessIvEEbEEEE10hipError_tPvRmT1_T2_T3_mmT4_T5_P12ihipStream_tbEUlRKiE_EESM_SQ_SR_mSS_SV_bEUlT_E_NS1_11comp_targetILNS1_3genE0ELNS1_11target_archE4294967295ELNS1_3gpuE0ELNS1_3repE0EEENS1_30default_config_static_selectorELNS0_4arch9wavefront6targetE1EEEvSP_
		.amdhsa_group_segment_fixed_size 0
		.amdhsa_private_segment_fixed_size 0
		.amdhsa_kernarg_size 56
		.amdhsa_user_sgpr_count 6
		.amdhsa_user_sgpr_private_segment_buffer 1
		.amdhsa_user_sgpr_dispatch_ptr 0
		.amdhsa_user_sgpr_queue_ptr 0
		.amdhsa_user_sgpr_kernarg_segment_ptr 1
		.amdhsa_user_sgpr_dispatch_id 0
		.amdhsa_user_sgpr_flat_scratch_init 0
		.amdhsa_user_sgpr_kernarg_preload_length 0
		.amdhsa_user_sgpr_kernarg_preload_offset 0
		.amdhsa_user_sgpr_private_segment_size 0
		.amdhsa_uses_dynamic_stack 0
		.amdhsa_system_sgpr_private_segment_wavefront_offset 0
		.amdhsa_system_sgpr_workgroup_id_x 1
		.amdhsa_system_sgpr_workgroup_id_y 0
		.amdhsa_system_sgpr_workgroup_id_z 0
		.amdhsa_system_sgpr_workgroup_info 0
		.amdhsa_system_vgpr_workitem_id 0
		.amdhsa_next_free_vgpr 1
		.amdhsa_next_free_sgpr 0
		.amdhsa_accum_offset 4
		.amdhsa_reserve_vcc 0
		.amdhsa_reserve_flat_scratch 0
		.amdhsa_float_round_mode_32 0
		.amdhsa_float_round_mode_16_64 0
		.amdhsa_float_denorm_mode_32 3
		.amdhsa_float_denorm_mode_16_64 3
		.amdhsa_dx10_clamp 1
		.amdhsa_ieee_mode 1
		.amdhsa_fp16_overflow 0
		.amdhsa_tg_split 0
		.amdhsa_exception_fp_ieee_invalid_op 0
		.amdhsa_exception_fp_denorm_src 0
		.amdhsa_exception_fp_ieee_div_zero 0
		.amdhsa_exception_fp_ieee_overflow 0
		.amdhsa_exception_fp_ieee_underflow 0
		.amdhsa_exception_fp_ieee_inexact 0
		.amdhsa_exception_int_div_zero 0
	.end_amdhsa_kernel
	.section	.text._ZN7rocprim17ROCPRIM_400000_NS6detail17trampoline_kernelINS0_14default_configENS1_29binary_search_config_selectorIibEEZNS1_14transform_implILb0ES3_S5_N6thrust23THRUST_200600_302600_NS6detail15normal_iteratorINS8_10device_ptrIiEEEENSA_INSB_IbEEEEZNS1_13binary_searchIS3_S5_SD_SD_SF_NS1_16binary_search_opENS9_16wrapped_functionINS0_4lessIvEEbEEEE10hipError_tPvRmT1_T2_T3_mmT4_T5_P12ihipStream_tbEUlRKiE_EESM_SQ_SR_mSS_SV_bEUlT_E_NS1_11comp_targetILNS1_3genE0ELNS1_11target_archE4294967295ELNS1_3gpuE0ELNS1_3repE0EEENS1_30default_config_static_selectorELNS0_4arch9wavefront6targetE1EEEvSP_,"axG",@progbits,_ZN7rocprim17ROCPRIM_400000_NS6detail17trampoline_kernelINS0_14default_configENS1_29binary_search_config_selectorIibEEZNS1_14transform_implILb0ES3_S5_N6thrust23THRUST_200600_302600_NS6detail15normal_iteratorINS8_10device_ptrIiEEEENSA_INSB_IbEEEEZNS1_13binary_searchIS3_S5_SD_SD_SF_NS1_16binary_search_opENS9_16wrapped_functionINS0_4lessIvEEbEEEE10hipError_tPvRmT1_T2_T3_mmT4_T5_P12ihipStream_tbEUlRKiE_EESM_SQ_SR_mSS_SV_bEUlT_E_NS1_11comp_targetILNS1_3genE0ELNS1_11target_archE4294967295ELNS1_3gpuE0ELNS1_3repE0EEENS1_30default_config_static_selectorELNS0_4arch9wavefront6targetE1EEEvSP_,comdat
.Lfunc_end510:
	.size	_ZN7rocprim17ROCPRIM_400000_NS6detail17trampoline_kernelINS0_14default_configENS1_29binary_search_config_selectorIibEEZNS1_14transform_implILb0ES3_S5_N6thrust23THRUST_200600_302600_NS6detail15normal_iteratorINS8_10device_ptrIiEEEENSA_INSB_IbEEEEZNS1_13binary_searchIS3_S5_SD_SD_SF_NS1_16binary_search_opENS9_16wrapped_functionINS0_4lessIvEEbEEEE10hipError_tPvRmT1_T2_T3_mmT4_T5_P12ihipStream_tbEUlRKiE_EESM_SQ_SR_mSS_SV_bEUlT_E_NS1_11comp_targetILNS1_3genE0ELNS1_11target_archE4294967295ELNS1_3gpuE0ELNS1_3repE0EEENS1_30default_config_static_selectorELNS0_4arch9wavefront6targetE1EEEvSP_, .Lfunc_end510-_ZN7rocprim17ROCPRIM_400000_NS6detail17trampoline_kernelINS0_14default_configENS1_29binary_search_config_selectorIibEEZNS1_14transform_implILb0ES3_S5_N6thrust23THRUST_200600_302600_NS6detail15normal_iteratorINS8_10device_ptrIiEEEENSA_INSB_IbEEEEZNS1_13binary_searchIS3_S5_SD_SD_SF_NS1_16binary_search_opENS9_16wrapped_functionINS0_4lessIvEEbEEEE10hipError_tPvRmT1_T2_T3_mmT4_T5_P12ihipStream_tbEUlRKiE_EESM_SQ_SR_mSS_SV_bEUlT_E_NS1_11comp_targetILNS1_3genE0ELNS1_11target_archE4294967295ELNS1_3gpuE0ELNS1_3repE0EEENS1_30default_config_static_selectorELNS0_4arch9wavefront6targetE1EEEvSP_
                                        ; -- End function
	.section	.AMDGPU.csdata,"",@progbits
; Kernel info:
; codeLenInByte = 0
; NumSgprs: 4
; NumVgprs: 0
; NumAgprs: 0
; TotalNumVgprs: 0
; ScratchSize: 0
; MemoryBound: 0
; FloatMode: 240
; IeeeMode: 1
; LDSByteSize: 0 bytes/workgroup (compile time only)
; SGPRBlocks: 0
; VGPRBlocks: 0
; NumSGPRsForWavesPerEU: 4
; NumVGPRsForWavesPerEU: 1
; AccumOffset: 4
; Occupancy: 8
; WaveLimiterHint : 0
; COMPUTE_PGM_RSRC2:SCRATCH_EN: 0
; COMPUTE_PGM_RSRC2:USER_SGPR: 6
; COMPUTE_PGM_RSRC2:TRAP_HANDLER: 0
; COMPUTE_PGM_RSRC2:TGID_X_EN: 1
; COMPUTE_PGM_RSRC2:TGID_Y_EN: 0
; COMPUTE_PGM_RSRC2:TGID_Z_EN: 0
; COMPUTE_PGM_RSRC2:TIDIG_COMP_CNT: 0
; COMPUTE_PGM_RSRC3_GFX90A:ACCUM_OFFSET: 0
; COMPUTE_PGM_RSRC3_GFX90A:TG_SPLIT: 0
	.section	.text._ZN7rocprim17ROCPRIM_400000_NS6detail17trampoline_kernelINS0_14default_configENS1_29binary_search_config_selectorIibEEZNS1_14transform_implILb0ES3_S5_N6thrust23THRUST_200600_302600_NS6detail15normal_iteratorINS8_10device_ptrIiEEEENSA_INSB_IbEEEEZNS1_13binary_searchIS3_S5_SD_SD_SF_NS1_16binary_search_opENS9_16wrapped_functionINS0_4lessIvEEbEEEE10hipError_tPvRmT1_T2_T3_mmT4_T5_P12ihipStream_tbEUlRKiE_EESM_SQ_SR_mSS_SV_bEUlT_E_NS1_11comp_targetILNS1_3genE5ELNS1_11target_archE942ELNS1_3gpuE9ELNS1_3repE0EEENS1_30default_config_static_selectorELNS0_4arch9wavefront6targetE1EEEvSP_,"axG",@progbits,_ZN7rocprim17ROCPRIM_400000_NS6detail17trampoline_kernelINS0_14default_configENS1_29binary_search_config_selectorIibEEZNS1_14transform_implILb0ES3_S5_N6thrust23THRUST_200600_302600_NS6detail15normal_iteratorINS8_10device_ptrIiEEEENSA_INSB_IbEEEEZNS1_13binary_searchIS3_S5_SD_SD_SF_NS1_16binary_search_opENS9_16wrapped_functionINS0_4lessIvEEbEEEE10hipError_tPvRmT1_T2_T3_mmT4_T5_P12ihipStream_tbEUlRKiE_EESM_SQ_SR_mSS_SV_bEUlT_E_NS1_11comp_targetILNS1_3genE5ELNS1_11target_archE942ELNS1_3gpuE9ELNS1_3repE0EEENS1_30default_config_static_selectorELNS0_4arch9wavefront6targetE1EEEvSP_,comdat
	.protected	_ZN7rocprim17ROCPRIM_400000_NS6detail17trampoline_kernelINS0_14default_configENS1_29binary_search_config_selectorIibEEZNS1_14transform_implILb0ES3_S5_N6thrust23THRUST_200600_302600_NS6detail15normal_iteratorINS8_10device_ptrIiEEEENSA_INSB_IbEEEEZNS1_13binary_searchIS3_S5_SD_SD_SF_NS1_16binary_search_opENS9_16wrapped_functionINS0_4lessIvEEbEEEE10hipError_tPvRmT1_T2_T3_mmT4_T5_P12ihipStream_tbEUlRKiE_EESM_SQ_SR_mSS_SV_bEUlT_E_NS1_11comp_targetILNS1_3genE5ELNS1_11target_archE942ELNS1_3gpuE9ELNS1_3repE0EEENS1_30default_config_static_selectorELNS0_4arch9wavefront6targetE1EEEvSP_ ; -- Begin function _ZN7rocprim17ROCPRIM_400000_NS6detail17trampoline_kernelINS0_14default_configENS1_29binary_search_config_selectorIibEEZNS1_14transform_implILb0ES3_S5_N6thrust23THRUST_200600_302600_NS6detail15normal_iteratorINS8_10device_ptrIiEEEENSA_INSB_IbEEEEZNS1_13binary_searchIS3_S5_SD_SD_SF_NS1_16binary_search_opENS9_16wrapped_functionINS0_4lessIvEEbEEEE10hipError_tPvRmT1_T2_T3_mmT4_T5_P12ihipStream_tbEUlRKiE_EESM_SQ_SR_mSS_SV_bEUlT_E_NS1_11comp_targetILNS1_3genE5ELNS1_11target_archE942ELNS1_3gpuE9ELNS1_3repE0EEENS1_30default_config_static_selectorELNS0_4arch9wavefront6targetE1EEEvSP_
	.globl	_ZN7rocprim17ROCPRIM_400000_NS6detail17trampoline_kernelINS0_14default_configENS1_29binary_search_config_selectorIibEEZNS1_14transform_implILb0ES3_S5_N6thrust23THRUST_200600_302600_NS6detail15normal_iteratorINS8_10device_ptrIiEEEENSA_INSB_IbEEEEZNS1_13binary_searchIS3_S5_SD_SD_SF_NS1_16binary_search_opENS9_16wrapped_functionINS0_4lessIvEEbEEEE10hipError_tPvRmT1_T2_T3_mmT4_T5_P12ihipStream_tbEUlRKiE_EESM_SQ_SR_mSS_SV_bEUlT_E_NS1_11comp_targetILNS1_3genE5ELNS1_11target_archE942ELNS1_3gpuE9ELNS1_3repE0EEENS1_30default_config_static_selectorELNS0_4arch9wavefront6targetE1EEEvSP_
	.p2align	8
	.type	_ZN7rocprim17ROCPRIM_400000_NS6detail17trampoline_kernelINS0_14default_configENS1_29binary_search_config_selectorIibEEZNS1_14transform_implILb0ES3_S5_N6thrust23THRUST_200600_302600_NS6detail15normal_iteratorINS8_10device_ptrIiEEEENSA_INSB_IbEEEEZNS1_13binary_searchIS3_S5_SD_SD_SF_NS1_16binary_search_opENS9_16wrapped_functionINS0_4lessIvEEbEEEE10hipError_tPvRmT1_T2_T3_mmT4_T5_P12ihipStream_tbEUlRKiE_EESM_SQ_SR_mSS_SV_bEUlT_E_NS1_11comp_targetILNS1_3genE5ELNS1_11target_archE942ELNS1_3gpuE9ELNS1_3repE0EEENS1_30default_config_static_selectorELNS0_4arch9wavefront6targetE1EEEvSP_,@function
_ZN7rocprim17ROCPRIM_400000_NS6detail17trampoline_kernelINS0_14default_configENS1_29binary_search_config_selectorIibEEZNS1_14transform_implILb0ES3_S5_N6thrust23THRUST_200600_302600_NS6detail15normal_iteratorINS8_10device_ptrIiEEEENSA_INSB_IbEEEEZNS1_13binary_searchIS3_S5_SD_SD_SF_NS1_16binary_search_opENS9_16wrapped_functionINS0_4lessIvEEbEEEE10hipError_tPvRmT1_T2_T3_mmT4_T5_P12ihipStream_tbEUlRKiE_EESM_SQ_SR_mSS_SV_bEUlT_E_NS1_11comp_targetILNS1_3genE5ELNS1_11target_archE942ELNS1_3gpuE9ELNS1_3repE0EEENS1_30default_config_static_selectorELNS0_4arch9wavefront6targetE1EEEvSP_: ; @_ZN7rocprim17ROCPRIM_400000_NS6detail17trampoline_kernelINS0_14default_configENS1_29binary_search_config_selectorIibEEZNS1_14transform_implILb0ES3_S5_N6thrust23THRUST_200600_302600_NS6detail15normal_iteratorINS8_10device_ptrIiEEEENSA_INSB_IbEEEEZNS1_13binary_searchIS3_S5_SD_SD_SF_NS1_16binary_search_opENS9_16wrapped_functionINS0_4lessIvEEbEEEE10hipError_tPvRmT1_T2_T3_mmT4_T5_P12ihipStream_tbEUlRKiE_EESM_SQ_SR_mSS_SV_bEUlT_E_NS1_11comp_targetILNS1_3genE5ELNS1_11target_archE942ELNS1_3gpuE9ELNS1_3repE0EEENS1_30default_config_static_selectorELNS0_4arch9wavefront6targetE1EEEvSP_
; %bb.0:
	.section	.rodata,"a",@progbits
	.p2align	6, 0x0
	.amdhsa_kernel _ZN7rocprim17ROCPRIM_400000_NS6detail17trampoline_kernelINS0_14default_configENS1_29binary_search_config_selectorIibEEZNS1_14transform_implILb0ES3_S5_N6thrust23THRUST_200600_302600_NS6detail15normal_iteratorINS8_10device_ptrIiEEEENSA_INSB_IbEEEEZNS1_13binary_searchIS3_S5_SD_SD_SF_NS1_16binary_search_opENS9_16wrapped_functionINS0_4lessIvEEbEEEE10hipError_tPvRmT1_T2_T3_mmT4_T5_P12ihipStream_tbEUlRKiE_EESM_SQ_SR_mSS_SV_bEUlT_E_NS1_11comp_targetILNS1_3genE5ELNS1_11target_archE942ELNS1_3gpuE9ELNS1_3repE0EEENS1_30default_config_static_selectorELNS0_4arch9wavefront6targetE1EEEvSP_
		.amdhsa_group_segment_fixed_size 0
		.amdhsa_private_segment_fixed_size 0
		.amdhsa_kernarg_size 56
		.amdhsa_user_sgpr_count 6
		.amdhsa_user_sgpr_private_segment_buffer 1
		.amdhsa_user_sgpr_dispatch_ptr 0
		.amdhsa_user_sgpr_queue_ptr 0
		.amdhsa_user_sgpr_kernarg_segment_ptr 1
		.amdhsa_user_sgpr_dispatch_id 0
		.amdhsa_user_sgpr_flat_scratch_init 0
		.amdhsa_user_sgpr_kernarg_preload_length 0
		.amdhsa_user_sgpr_kernarg_preload_offset 0
		.amdhsa_user_sgpr_private_segment_size 0
		.amdhsa_uses_dynamic_stack 0
		.amdhsa_system_sgpr_private_segment_wavefront_offset 0
		.amdhsa_system_sgpr_workgroup_id_x 1
		.amdhsa_system_sgpr_workgroup_id_y 0
		.amdhsa_system_sgpr_workgroup_id_z 0
		.amdhsa_system_sgpr_workgroup_info 0
		.amdhsa_system_vgpr_workitem_id 0
		.amdhsa_next_free_vgpr 1
		.amdhsa_next_free_sgpr 0
		.amdhsa_accum_offset 4
		.amdhsa_reserve_vcc 0
		.amdhsa_reserve_flat_scratch 0
		.amdhsa_float_round_mode_32 0
		.amdhsa_float_round_mode_16_64 0
		.amdhsa_float_denorm_mode_32 3
		.amdhsa_float_denorm_mode_16_64 3
		.amdhsa_dx10_clamp 1
		.amdhsa_ieee_mode 1
		.amdhsa_fp16_overflow 0
		.amdhsa_tg_split 0
		.amdhsa_exception_fp_ieee_invalid_op 0
		.amdhsa_exception_fp_denorm_src 0
		.amdhsa_exception_fp_ieee_div_zero 0
		.amdhsa_exception_fp_ieee_overflow 0
		.amdhsa_exception_fp_ieee_underflow 0
		.amdhsa_exception_fp_ieee_inexact 0
		.amdhsa_exception_int_div_zero 0
	.end_amdhsa_kernel
	.section	.text._ZN7rocprim17ROCPRIM_400000_NS6detail17trampoline_kernelINS0_14default_configENS1_29binary_search_config_selectorIibEEZNS1_14transform_implILb0ES3_S5_N6thrust23THRUST_200600_302600_NS6detail15normal_iteratorINS8_10device_ptrIiEEEENSA_INSB_IbEEEEZNS1_13binary_searchIS3_S5_SD_SD_SF_NS1_16binary_search_opENS9_16wrapped_functionINS0_4lessIvEEbEEEE10hipError_tPvRmT1_T2_T3_mmT4_T5_P12ihipStream_tbEUlRKiE_EESM_SQ_SR_mSS_SV_bEUlT_E_NS1_11comp_targetILNS1_3genE5ELNS1_11target_archE942ELNS1_3gpuE9ELNS1_3repE0EEENS1_30default_config_static_selectorELNS0_4arch9wavefront6targetE1EEEvSP_,"axG",@progbits,_ZN7rocprim17ROCPRIM_400000_NS6detail17trampoline_kernelINS0_14default_configENS1_29binary_search_config_selectorIibEEZNS1_14transform_implILb0ES3_S5_N6thrust23THRUST_200600_302600_NS6detail15normal_iteratorINS8_10device_ptrIiEEEENSA_INSB_IbEEEEZNS1_13binary_searchIS3_S5_SD_SD_SF_NS1_16binary_search_opENS9_16wrapped_functionINS0_4lessIvEEbEEEE10hipError_tPvRmT1_T2_T3_mmT4_T5_P12ihipStream_tbEUlRKiE_EESM_SQ_SR_mSS_SV_bEUlT_E_NS1_11comp_targetILNS1_3genE5ELNS1_11target_archE942ELNS1_3gpuE9ELNS1_3repE0EEENS1_30default_config_static_selectorELNS0_4arch9wavefront6targetE1EEEvSP_,comdat
.Lfunc_end511:
	.size	_ZN7rocprim17ROCPRIM_400000_NS6detail17trampoline_kernelINS0_14default_configENS1_29binary_search_config_selectorIibEEZNS1_14transform_implILb0ES3_S5_N6thrust23THRUST_200600_302600_NS6detail15normal_iteratorINS8_10device_ptrIiEEEENSA_INSB_IbEEEEZNS1_13binary_searchIS3_S5_SD_SD_SF_NS1_16binary_search_opENS9_16wrapped_functionINS0_4lessIvEEbEEEE10hipError_tPvRmT1_T2_T3_mmT4_T5_P12ihipStream_tbEUlRKiE_EESM_SQ_SR_mSS_SV_bEUlT_E_NS1_11comp_targetILNS1_3genE5ELNS1_11target_archE942ELNS1_3gpuE9ELNS1_3repE0EEENS1_30default_config_static_selectorELNS0_4arch9wavefront6targetE1EEEvSP_, .Lfunc_end511-_ZN7rocprim17ROCPRIM_400000_NS6detail17trampoline_kernelINS0_14default_configENS1_29binary_search_config_selectorIibEEZNS1_14transform_implILb0ES3_S5_N6thrust23THRUST_200600_302600_NS6detail15normal_iteratorINS8_10device_ptrIiEEEENSA_INSB_IbEEEEZNS1_13binary_searchIS3_S5_SD_SD_SF_NS1_16binary_search_opENS9_16wrapped_functionINS0_4lessIvEEbEEEE10hipError_tPvRmT1_T2_T3_mmT4_T5_P12ihipStream_tbEUlRKiE_EESM_SQ_SR_mSS_SV_bEUlT_E_NS1_11comp_targetILNS1_3genE5ELNS1_11target_archE942ELNS1_3gpuE9ELNS1_3repE0EEENS1_30default_config_static_selectorELNS0_4arch9wavefront6targetE1EEEvSP_
                                        ; -- End function
	.section	.AMDGPU.csdata,"",@progbits
; Kernel info:
; codeLenInByte = 0
; NumSgprs: 4
; NumVgprs: 0
; NumAgprs: 0
; TotalNumVgprs: 0
; ScratchSize: 0
; MemoryBound: 0
; FloatMode: 240
; IeeeMode: 1
; LDSByteSize: 0 bytes/workgroup (compile time only)
; SGPRBlocks: 0
; VGPRBlocks: 0
; NumSGPRsForWavesPerEU: 4
; NumVGPRsForWavesPerEU: 1
; AccumOffset: 4
; Occupancy: 8
; WaveLimiterHint : 0
; COMPUTE_PGM_RSRC2:SCRATCH_EN: 0
; COMPUTE_PGM_RSRC2:USER_SGPR: 6
; COMPUTE_PGM_RSRC2:TRAP_HANDLER: 0
; COMPUTE_PGM_RSRC2:TGID_X_EN: 1
; COMPUTE_PGM_RSRC2:TGID_Y_EN: 0
; COMPUTE_PGM_RSRC2:TGID_Z_EN: 0
; COMPUTE_PGM_RSRC2:TIDIG_COMP_CNT: 0
; COMPUTE_PGM_RSRC3_GFX90A:ACCUM_OFFSET: 0
; COMPUTE_PGM_RSRC3_GFX90A:TG_SPLIT: 0
	.section	.text._ZN7rocprim17ROCPRIM_400000_NS6detail17trampoline_kernelINS0_14default_configENS1_29binary_search_config_selectorIibEEZNS1_14transform_implILb0ES3_S5_N6thrust23THRUST_200600_302600_NS6detail15normal_iteratorINS8_10device_ptrIiEEEENSA_INSB_IbEEEEZNS1_13binary_searchIS3_S5_SD_SD_SF_NS1_16binary_search_opENS9_16wrapped_functionINS0_4lessIvEEbEEEE10hipError_tPvRmT1_T2_T3_mmT4_T5_P12ihipStream_tbEUlRKiE_EESM_SQ_SR_mSS_SV_bEUlT_E_NS1_11comp_targetILNS1_3genE4ELNS1_11target_archE910ELNS1_3gpuE8ELNS1_3repE0EEENS1_30default_config_static_selectorELNS0_4arch9wavefront6targetE1EEEvSP_,"axG",@progbits,_ZN7rocprim17ROCPRIM_400000_NS6detail17trampoline_kernelINS0_14default_configENS1_29binary_search_config_selectorIibEEZNS1_14transform_implILb0ES3_S5_N6thrust23THRUST_200600_302600_NS6detail15normal_iteratorINS8_10device_ptrIiEEEENSA_INSB_IbEEEEZNS1_13binary_searchIS3_S5_SD_SD_SF_NS1_16binary_search_opENS9_16wrapped_functionINS0_4lessIvEEbEEEE10hipError_tPvRmT1_T2_T3_mmT4_T5_P12ihipStream_tbEUlRKiE_EESM_SQ_SR_mSS_SV_bEUlT_E_NS1_11comp_targetILNS1_3genE4ELNS1_11target_archE910ELNS1_3gpuE8ELNS1_3repE0EEENS1_30default_config_static_selectorELNS0_4arch9wavefront6targetE1EEEvSP_,comdat
	.protected	_ZN7rocprim17ROCPRIM_400000_NS6detail17trampoline_kernelINS0_14default_configENS1_29binary_search_config_selectorIibEEZNS1_14transform_implILb0ES3_S5_N6thrust23THRUST_200600_302600_NS6detail15normal_iteratorINS8_10device_ptrIiEEEENSA_INSB_IbEEEEZNS1_13binary_searchIS3_S5_SD_SD_SF_NS1_16binary_search_opENS9_16wrapped_functionINS0_4lessIvEEbEEEE10hipError_tPvRmT1_T2_T3_mmT4_T5_P12ihipStream_tbEUlRKiE_EESM_SQ_SR_mSS_SV_bEUlT_E_NS1_11comp_targetILNS1_3genE4ELNS1_11target_archE910ELNS1_3gpuE8ELNS1_3repE0EEENS1_30default_config_static_selectorELNS0_4arch9wavefront6targetE1EEEvSP_ ; -- Begin function _ZN7rocprim17ROCPRIM_400000_NS6detail17trampoline_kernelINS0_14default_configENS1_29binary_search_config_selectorIibEEZNS1_14transform_implILb0ES3_S5_N6thrust23THRUST_200600_302600_NS6detail15normal_iteratorINS8_10device_ptrIiEEEENSA_INSB_IbEEEEZNS1_13binary_searchIS3_S5_SD_SD_SF_NS1_16binary_search_opENS9_16wrapped_functionINS0_4lessIvEEbEEEE10hipError_tPvRmT1_T2_T3_mmT4_T5_P12ihipStream_tbEUlRKiE_EESM_SQ_SR_mSS_SV_bEUlT_E_NS1_11comp_targetILNS1_3genE4ELNS1_11target_archE910ELNS1_3gpuE8ELNS1_3repE0EEENS1_30default_config_static_selectorELNS0_4arch9wavefront6targetE1EEEvSP_
	.globl	_ZN7rocprim17ROCPRIM_400000_NS6detail17trampoline_kernelINS0_14default_configENS1_29binary_search_config_selectorIibEEZNS1_14transform_implILb0ES3_S5_N6thrust23THRUST_200600_302600_NS6detail15normal_iteratorINS8_10device_ptrIiEEEENSA_INSB_IbEEEEZNS1_13binary_searchIS3_S5_SD_SD_SF_NS1_16binary_search_opENS9_16wrapped_functionINS0_4lessIvEEbEEEE10hipError_tPvRmT1_T2_T3_mmT4_T5_P12ihipStream_tbEUlRKiE_EESM_SQ_SR_mSS_SV_bEUlT_E_NS1_11comp_targetILNS1_3genE4ELNS1_11target_archE910ELNS1_3gpuE8ELNS1_3repE0EEENS1_30default_config_static_selectorELNS0_4arch9wavefront6targetE1EEEvSP_
	.p2align	8
	.type	_ZN7rocprim17ROCPRIM_400000_NS6detail17trampoline_kernelINS0_14default_configENS1_29binary_search_config_selectorIibEEZNS1_14transform_implILb0ES3_S5_N6thrust23THRUST_200600_302600_NS6detail15normal_iteratorINS8_10device_ptrIiEEEENSA_INSB_IbEEEEZNS1_13binary_searchIS3_S5_SD_SD_SF_NS1_16binary_search_opENS9_16wrapped_functionINS0_4lessIvEEbEEEE10hipError_tPvRmT1_T2_T3_mmT4_T5_P12ihipStream_tbEUlRKiE_EESM_SQ_SR_mSS_SV_bEUlT_E_NS1_11comp_targetILNS1_3genE4ELNS1_11target_archE910ELNS1_3gpuE8ELNS1_3repE0EEENS1_30default_config_static_selectorELNS0_4arch9wavefront6targetE1EEEvSP_,@function
_ZN7rocprim17ROCPRIM_400000_NS6detail17trampoline_kernelINS0_14default_configENS1_29binary_search_config_selectorIibEEZNS1_14transform_implILb0ES3_S5_N6thrust23THRUST_200600_302600_NS6detail15normal_iteratorINS8_10device_ptrIiEEEENSA_INSB_IbEEEEZNS1_13binary_searchIS3_S5_SD_SD_SF_NS1_16binary_search_opENS9_16wrapped_functionINS0_4lessIvEEbEEEE10hipError_tPvRmT1_T2_T3_mmT4_T5_P12ihipStream_tbEUlRKiE_EESM_SQ_SR_mSS_SV_bEUlT_E_NS1_11comp_targetILNS1_3genE4ELNS1_11target_archE910ELNS1_3gpuE8ELNS1_3repE0EEENS1_30default_config_static_selectorELNS0_4arch9wavefront6targetE1EEEvSP_: ; @_ZN7rocprim17ROCPRIM_400000_NS6detail17trampoline_kernelINS0_14default_configENS1_29binary_search_config_selectorIibEEZNS1_14transform_implILb0ES3_S5_N6thrust23THRUST_200600_302600_NS6detail15normal_iteratorINS8_10device_ptrIiEEEENSA_INSB_IbEEEEZNS1_13binary_searchIS3_S5_SD_SD_SF_NS1_16binary_search_opENS9_16wrapped_functionINS0_4lessIvEEbEEEE10hipError_tPvRmT1_T2_T3_mmT4_T5_P12ihipStream_tbEUlRKiE_EESM_SQ_SR_mSS_SV_bEUlT_E_NS1_11comp_targetILNS1_3genE4ELNS1_11target_archE910ELNS1_3gpuE8ELNS1_3repE0EEENS1_30default_config_static_selectorELNS0_4arch9wavefront6targetE1EEEvSP_
; %bb.0:
	s_load_dwordx4 s[12:15], s[4:5], 0x0
	s_load_dwordx4 s[0:3], s[4:5], 0x18
	s_load_dwordx2 s[10:11], s[4:5], 0x28
	s_load_dword s7, s[4:5], 0x38
	s_waitcnt lgkmcnt(0)
	s_lshl_b64 s[8:9], s[14:15], 2
	s_add_u32 s16, s12, s8
	s_addc_u32 s17, s13, s9
	s_add_u32 s14, s0, s14
	s_addc_u32 s15, s1, s15
	s_lshl_b32 s8, s6, 8
	s_add_i32 s7, s7, -1
	s_mov_b32 s9, 0
	s_cmp_lg_u32 s6, s7
	s_mov_b64 s[0:1], -1
	s_cbranch_scc0 .LBB512_8
; %bb.1:
	s_lshl_b64 s[0:1], s[8:9], 2
	s_add_u32 s0, s16, s0
	s_addc_u32 s1, s17, s1
	v_lshlrev_b32_e32 v1, 2, v0
	v_mov_b32_e32 v3, s1
	v_add_co_u32_e32 v2, vcc, s0, v1
	v_addc_co_u32_e32 v3, vcc, 0, v3, vcc
	flat_load_dword v1, v[2:3]
	s_mov_b64 s[0:1], 0
	s_cmp_eq_u64 s[10:11], 0
	v_pk_mov_b32 v[2:3], 0, 0
	s_cbranch_scc1 .LBB512_5
; %bb.2:
	v_pk_mov_b32 v[2:3], 0, 0
	v_pk_mov_b32 v[4:5], s[10:11], s[10:11] op_sel:[0,1]
	v_mov_b32_e32 v6, s3
.LBB512_3:                              ; =>This Inner Loop Header: Depth=1
	v_sub_co_u32_e32 v8, vcc, v4, v2
	v_subb_co_u32_e32 v9, vcc, v5, v3, vcc
	v_lshrrev_b64 v[10:11], 1, v[8:9]
	v_add_co_u32_e32 v7, vcc, v10, v2
	v_lshrrev_b64 v[8:9], 6, v[8:9]
	v_addc_co_u32_e32 v10, vcc, v11, v3, vcc
	v_add_co_u32_e32 v8, vcc, v7, v8
	v_addc_co_u32_e32 v9, vcc, v10, v9, vcc
	v_lshlrev_b64 v[10:11], 2, v[8:9]
	v_add_co_u32_e32 v10, vcc, s2, v10
	v_addc_co_u32_e32 v11, vcc, v6, v11, vcc
	global_load_dword v7, v[10:11], off
	v_add_co_u32_e32 v10, vcc, 1, v8
	v_addc_co_u32_e32 v11, vcc, 0, v9, vcc
	s_waitcnt vmcnt(0) lgkmcnt(0)
	v_cmp_lt_i32_e32 vcc, v7, v1
	v_cndmask_b32_e32 v5, v9, v5, vcc
	v_cndmask_b32_e32 v4, v8, v4, vcc
	;; [unrolled: 1-line block ×4, first 2 shown]
	v_cmp_ge_u64_e32 vcc, v[2:3], v[4:5]
	s_or_b64 s[0:1], vcc, s[0:1]
	s_andn2_b64 exec, exec, s[0:1]
	s_cbranch_execnz .LBB512_3
; %bb.4:
	s_or_b64 exec, exec, s[0:1]
.LBB512_5:
	v_cmp_ne_u64_e32 vcc, s[10:11], v[2:3]
	s_mov_b64 s[0:1], 0
	s_mov_b64 s[12:13], 0
	s_and_saveexec_b64 s[6:7], vcc
	s_cbranch_execz .LBB512_7
; %bb.6:
	v_lshlrev_b64 v[2:3], 2, v[2:3]
	v_mov_b32_e32 v4, s3
	v_add_co_u32_e32 v2, vcc, s2, v2
	v_addc_co_u32_e32 v3, vcc, v4, v3, vcc
	global_load_dword v2, v[2:3], off
	s_waitcnt vmcnt(0) lgkmcnt(0)
	v_cmp_le_i32_e32 vcc, v2, v1
	s_and_b64 s[12:13], vcc, exec
.LBB512_7:
	s_or_b64 exec, exec, s[6:7]
	s_add_u32 s6, s14, s8
	s_addc_u32 s7, s15, 0
	v_mov_b32_e32 v3, s7
	v_add_co_u32_e32 v2, vcc, s6, v0
	s_waitcnt vmcnt(0) lgkmcnt(0)
	v_cndmask_b32_e64 v1, 0, 1, s[12:13]
	v_addc_co_u32_e32 v3, vcc, 0, v3, vcc
	flat_store_byte v[2:3], v1
.LBB512_8:
	s_and_b64 vcc, exec, s[0:1]
	s_cbranch_vccz .LBB512_13
; %bb.9:
	s_load_dword s0, s[4:5], 0x10
                                        ; implicit-def: $vgpr1
	s_waitcnt lgkmcnt(0)
	s_sub_i32 s0, s0, s8
	v_cmp_gt_u32_e32 vcc, s0, v0
	s_and_saveexec_b64 s[4:5], vcc
	s_cbranch_execnz .LBB512_14
; %bb.10:
	s_or_b64 exec, exec, s[4:5]
                                        ; implicit-def: $vgpr2
	s_and_saveexec_b64 s[4:5], vcc
	s_cbranch_execnz .LBB512_15
.LBB512_11:
	s_or_b64 exec, exec, s[4:5]
	s_and_saveexec_b64 s[0:1], vcc
	s_cbranch_execz .LBB512_13
.LBB512_12:
	s_add_u32 s0, s14, s8
	s_addc_u32 s1, s15, 0
	s_waitcnt vmcnt(0) lgkmcnt(0)
	v_mov_b32_e32 v1, s1
	v_add_co_u32_e32 v0, vcc, s0, v0
	v_addc_co_u32_e32 v1, vcc, 0, v1, vcc
	flat_store_byte v[0:1], v2
.LBB512_13:
	s_endpgm
.LBB512_14:
	s_lshl_b64 s[0:1], s[8:9], 2
	s_add_u32 s0, s16, s0
	s_addc_u32 s1, s17, s1
	v_lshlrev_b32_e32 v1, 2, v0
	v_mov_b32_e32 v3, s1
	v_add_co_u32_e64 v2, s[0:1], s0, v1
	v_addc_co_u32_e64 v3, s[0:1], 0, v3, s[0:1]
	flat_load_dword v1, v[2:3]
	s_or_b64 exec, exec, s[4:5]
                                        ; implicit-def: $vgpr2
	s_and_saveexec_b64 s[4:5], vcc
	s_cbranch_execz .LBB512_11
.LBB512_15:
	s_mov_b64 s[6:7], 0
	s_cmp_eq_u64 s[10:11], 0
	v_pk_mov_b32 v[2:3], 0, 0
	s_cbranch_scc1 .LBB512_19
; %bb.16:
	v_pk_mov_b32 v[2:3], 0, 0
	v_pk_mov_b32 v[4:5], s[10:11], s[10:11] op_sel:[0,1]
	v_mov_b32_e32 v6, s3
.LBB512_17:                             ; =>This Inner Loop Header: Depth=1
	v_sub_co_u32_e64 v8, s[0:1], v4, v2
	v_subb_co_u32_e64 v9, s[0:1], v5, v3, s[0:1]
	v_lshrrev_b64 v[10:11], 1, v[8:9]
	v_add_co_u32_e64 v7, s[0:1], v10, v2
	v_lshrrev_b64 v[8:9], 6, v[8:9]
	v_addc_co_u32_e64 v10, s[0:1], v11, v3, s[0:1]
	v_add_co_u32_e64 v8, s[0:1], v7, v8
	v_addc_co_u32_e64 v9, s[0:1], v10, v9, s[0:1]
	v_lshlrev_b64 v[10:11], 2, v[8:9]
	v_add_co_u32_e64 v10, s[0:1], s2, v10
	v_addc_co_u32_e64 v11, s[0:1], v6, v11, s[0:1]
	global_load_dword v7, v[10:11], off
	v_add_co_u32_e64 v10, s[0:1], 1, v8
	v_addc_co_u32_e64 v11, s[0:1], 0, v9, s[0:1]
	s_waitcnt vmcnt(0) lgkmcnt(0)
	v_cmp_lt_i32_e64 s[0:1], v7, v1
	v_cndmask_b32_e64 v5, v9, v5, s[0:1]
	v_cndmask_b32_e64 v4, v8, v4, s[0:1]
	;; [unrolled: 1-line block ×4, first 2 shown]
	v_cmp_ge_u64_e64 s[0:1], v[2:3], v[4:5]
	s_or_b64 s[6:7], s[0:1], s[6:7]
	s_andn2_b64 exec, exec, s[6:7]
	s_cbranch_execnz .LBB512_17
; %bb.18:
	s_or_b64 exec, exec, s[6:7]
.LBB512_19:
	v_cmp_ne_u64_e64 s[0:1], s[10:11], v[2:3]
	s_mov_b64 s[10:11], 0
	s_and_saveexec_b64 s[6:7], s[0:1]
	s_cbranch_execz .LBB512_21
; %bb.20:
	v_lshlrev_b64 v[2:3], 2, v[2:3]
	v_mov_b32_e32 v4, s3
	v_add_co_u32_e64 v2, s[0:1], s2, v2
	v_addc_co_u32_e64 v3, s[0:1], v4, v3, s[0:1]
	global_load_dword v2, v[2:3], off
	s_waitcnt vmcnt(0) lgkmcnt(0)
	v_cmp_le_i32_e64 s[0:1], v2, v1
	s_and_b64 s[10:11], s[0:1], exec
.LBB512_21:
	s_or_b64 exec, exec, s[6:7]
	v_cndmask_b32_e64 v2, 0, 1, s[10:11]
	s_or_b64 exec, exec, s[4:5]
	s_and_saveexec_b64 s[0:1], vcc
	s_cbranch_execnz .LBB512_12
	s_branch .LBB512_13
	.section	.rodata,"a",@progbits
	.p2align	6, 0x0
	.amdhsa_kernel _ZN7rocprim17ROCPRIM_400000_NS6detail17trampoline_kernelINS0_14default_configENS1_29binary_search_config_selectorIibEEZNS1_14transform_implILb0ES3_S5_N6thrust23THRUST_200600_302600_NS6detail15normal_iteratorINS8_10device_ptrIiEEEENSA_INSB_IbEEEEZNS1_13binary_searchIS3_S5_SD_SD_SF_NS1_16binary_search_opENS9_16wrapped_functionINS0_4lessIvEEbEEEE10hipError_tPvRmT1_T2_T3_mmT4_T5_P12ihipStream_tbEUlRKiE_EESM_SQ_SR_mSS_SV_bEUlT_E_NS1_11comp_targetILNS1_3genE4ELNS1_11target_archE910ELNS1_3gpuE8ELNS1_3repE0EEENS1_30default_config_static_selectorELNS0_4arch9wavefront6targetE1EEEvSP_
		.amdhsa_group_segment_fixed_size 0
		.amdhsa_private_segment_fixed_size 0
		.amdhsa_kernarg_size 312
		.amdhsa_user_sgpr_count 6
		.amdhsa_user_sgpr_private_segment_buffer 1
		.amdhsa_user_sgpr_dispatch_ptr 0
		.amdhsa_user_sgpr_queue_ptr 0
		.amdhsa_user_sgpr_kernarg_segment_ptr 1
		.amdhsa_user_sgpr_dispatch_id 0
		.amdhsa_user_sgpr_flat_scratch_init 0
		.amdhsa_user_sgpr_kernarg_preload_length 0
		.amdhsa_user_sgpr_kernarg_preload_offset 0
		.amdhsa_user_sgpr_private_segment_size 0
		.amdhsa_uses_dynamic_stack 0
		.amdhsa_system_sgpr_private_segment_wavefront_offset 0
		.amdhsa_system_sgpr_workgroup_id_x 1
		.amdhsa_system_sgpr_workgroup_id_y 0
		.amdhsa_system_sgpr_workgroup_id_z 0
		.amdhsa_system_sgpr_workgroup_info 0
		.amdhsa_system_vgpr_workitem_id 0
		.amdhsa_next_free_vgpr 12
		.amdhsa_next_free_sgpr 18
		.amdhsa_accum_offset 12
		.amdhsa_reserve_vcc 1
		.amdhsa_reserve_flat_scratch 0
		.amdhsa_float_round_mode_32 0
		.amdhsa_float_round_mode_16_64 0
		.amdhsa_float_denorm_mode_32 3
		.amdhsa_float_denorm_mode_16_64 3
		.amdhsa_dx10_clamp 1
		.amdhsa_ieee_mode 1
		.amdhsa_fp16_overflow 0
		.amdhsa_tg_split 0
		.amdhsa_exception_fp_ieee_invalid_op 0
		.amdhsa_exception_fp_denorm_src 0
		.amdhsa_exception_fp_ieee_div_zero 0
		.amdhsa_exception_fp_ieee_overflow 0
		.amdhsa_exception_fp_ieee_underflow 0
		.amdhsa_exception_fp_ieee_inexact 0
		.amdhsa_exception_int_div_zero 0
	.end_amdhsa_kernel
	.section	.text._ZN7rocprim17ROCPRIM_400000_NS6detail17trampoline_kernelINS0_14default_configENS1_29binary_search_config_selectorIibEEZNS1_14transform_implILb0ES3_S5_N6thrust23THRUST_200600_302600_NS6detail15normal_iteratorINS8_10device_ptrIiEEEENSA_INSB_IbEEEEZNS1_13binary_searchIS3_S5_SD_SD_SF_NS1_16binary_search_opENS9_16wrapped_functionINS0_4lessIvEEbEEEE10hipError_tPvRmT1_T2_T3_mmT4_T5_P12ihipStream_tbEUlRKiE_EESM_SQ_SR_mSS_SV_bEUlT_E_NS1_11comp_targetILNS1_3genE4ELNS1_11target_archE910ELNS1_3gpuE8ELNS1_3repE0EEENS1_30default_config_static_selectorELNS0_4arch9wavefront6targetE1EEEvSP_,"axG",@progbits,_ZN7rocprim17ROCPRIM_400000_NS6detail17trampoline_kernelINS0_14default_configENS1_29binary_search_config_selectorIibEEZNS1_14transform_implILb0ES3_S5_N6thrust23THRUST_200600_302600_NS6detail15normal_iteratorINS8_10device_ptrIiEEEENSA_INSB_IbEEEEZNS1_13binary_searchIS3_S5_SD_SD_SF_NS1_16binary_search_opENS9_16wrapped_functionINS0_4lessIvEEbEEEE10hipError_tPvRmT1_T2_T3_mmT4_T5_P12ihipStream_tbEUlRKiE_EESM_SQ_SR_mSS_SV_bEUlT_E_NS1_11comp_targetILNS1_3genE4ELNS1_11target_archE910ELNS1_3gpuE8ELNS1_3repE0EEENS1_30default_config_static_selectorELNS0_4arch9wavefront6targetE1EEEvSP_,comdat
.Lfunc_end512:
	.size	_ZN7rocprim17ROCPRIM_400000_NS6detail17trampoline_kernelINS0_14default_configENS1_29binary_search_config_selectorIibEEZNS1_14transform_implILb0ES3_S5_N6thrust23THRUST_200600_302600_NS6detail15normal_iteratorINS8_10device_ptrIiEEEENSA_INSB_IbEEEEZNS1_13binary_searchIS3_S5_SD_SD_SF_NS1_16binary_search_opENS9_16wrapped_functionINS0_4lessIvEEbEEEE10hipError_tPvRmT1_T2_T3_mmT4_T5_P12ihipStream_tbEUlRKiE_EESM_SQ_SR_mSS_SV_bEUlT_E_NS1_11comp_targetILNS1_3genE4ELNS1_11target_archE910ELNS1_3gpuE8ELNS1_3repE0EEENS1_30default_config_static_selectorELNS0_4arch9wavefront6targetE1EEEvSP_, .Lfunc_end512-_ZN7rocprim17ROCPRIM_400000_NS6detail17trampoline_kernelINS0_14default_configENS1_29binary_search_config_selectorIibEEZNS1_14transform_implILb0ES3_S5_N6thrust23THRUST_200600_302600_NS6detail15normal_iteratorINS8_10device_ptrIiEEEENSA_INSB_IbEEEEZNS1_13binary_searchIS3_S5_SD_SD_SF_NS1_16binary_search_opENS9_16wrapped_functionINS0_4lessIvEEbEEEE10hipError_tPvRmT1_T2_T3_mmT4_T5_P12ihipStream_tbEUlRKiE_EESM_SQ_SR_mSS_SV_bEUlT_E_NS1_11comp_targetILNS1_3genE4ELNS1_11target_archE910ELNS1_3gpuE8ELNS1_3repE0EEENS1_30default_config_static_selectorELNS0_4arch9wavefront6targetE1EEEvSP_
                                        ; -- End function
	.section	.AMDGPU.csdata,"",@progbits
; Kernel info:
; codeLenInByte = 848
; NumSgprs: 22
; NumVgprs: 12
; NumAgprs: 0
; TotalNumVgprs: 12
; ScratchSize: 0
; MemoryBound: 0
; FloatMode: 240
; IeeeMode: 1
; LDSByteSize: 0 bytes/workgroup (compile time only)
; SGPRBlocks: 2
; VGPRBlocks: 1
; NumSGPRsForWavesPerEU: 22
; NumVGPRsForWavesPerEU: 12
; AccumOffset: 12
; Occupancy: 8
; WaveLimiterHint : 0
; COMPUTE_PGM_RSRC2:SCRATCH_EN: 0
; COMPUTE_PGM_RSRC2:USER_SGPR: 6
; COMPUTE_PGM_RSRC2:TRAP_HANDLER: 0
; COMPUTE_PGM_RSRC2:TGID_X_EN: 1
; COMPUTE_PGM_RSRC2:TGID_Y_EN: 0
; COMPUTE_PGM_RSRC2:TGID_Z_EN: 0
; COMPUTE_PGM_RSRC2:TIDIG_COMP_CNT: 0
; COMPUTE_PGM_RSRC3_GFX90A:ACCUM_OFFSET: 2
; COMPUTE_PGM_RSRC3_GFX90A:TG_SPLIT: 0
	.section	.text._ZN7rocprim17ROCPRIM_400000_NS6detail17trampoline_kernelINS0_14default_configENS1_29binary_search_config_selectorIibEEZNS1_14transform_implILb0ES3_S5_N6thrust23THRUST_200600_302600_NS6detail15normal_iteratorINS8_10device_ptrIiEEEENSA_INSB_IbEEEEZNS1_13binary_searchIS3_S5_SD_SD_SF_NS1_16binary_search_opENS9_16wrapped_functionINS0_4lessIvEEbEEEE10hipError_tPvRmT1_T2_T3_mmT4_T5_P12ihipStream_tbEUlRKiE_EESM_SQ_SR_mSS_SV_bEUlT_E_NS1_11comp_targetILNS1_3genE3ELNS1_11target_archE908ELNS1_3gpuE7ELNS1_3repE0EEENS1_30default_config_static_selectorELNS0_4arch9wavefront6targetE1EEEvSP_,"axG",@progbits,_ZN7rocprim17ROCPRIM_400000_NS6detail17trampoline_kernelINS0_14default_configENS1_29binary_search_config_selectorIibEEZNS1_14transform_implILb0ES3_S5_N6thrust23THRUST_200600_302600_NS6detail15normal_iteratorINS8_10device_ptrIiEEEENSA_INSB_IbEEEEZNS1_13binary_searchIS3_S5_SD_SD_SF_NS1_16binary_search_opENS9_16wrapped_functionINS0_4lessIvEEbEEEE10hipError_tPvRmT1_T2_T3_mmT4_T5_P12ihipStream_tbEUlRKiE_EESM_SQ_SR_mSS_SV_bEUlT_E_NS1_11comp_targetILNS1_3genE3ELNS1_11target_archE908ELNS1_3gpuE7ELNS1_3repE0EEENS1_30default_config_static_selectorELNS0_4arch9wavefront6targetE1EEEvSP_,comdat
	.protected	_ZN7rocprim17ROCPRIM_400000_NS6detail17trampoline_kernelINS0_14default_configENS1_29binary_search_config_selectorIibEEZNS1_14transform_implILb0ES3_S5_N6thrust23THRUST_200600_302600_NS6detail15normal_iteratorINS8_10device_ptrIiEEEENSA_INSB_IbEEEEZNS1_13binary_searchIS3_S5_SD_SD_SF_NS1_16binary_search_opENS9_16wrapped_functionINS0_4lessIvEEbEEEE10hipError_tPvRmT1_T2_T3_mmT4_T5_P12ihipStream_tbEUlRKiE_EESM_SQ_SR_mSS_SV_bEUlT_E_NS1_11comp_targetILNS1_3genE3ELNS1_11target_archE908ELNS1_3gpuE7ELNS1_3repE0EEENS1_30default_config_static_selectorELNS0_4arch9wavefront6targetE1EEEvSP_ ; -- Begin function _ZN7rocprim17ROCPRIM_400000_NS6detail17trampoline_kernelINS0_14default_configENS1_29binary_search_config_selectorIibEEZNS1_14transform_implILb0ES3_S5_N6thrust23THRUST_200600_302600_NS6detail15normal_iteratorINS8_10device_ptrIiEEEENSA_INSB_IbEEEEZNS1_13binary_searchIS3_S5_SD_SD_SF_NS1_16binary_search_opENS9_16wrapped_functionINS0_4lessIvEEbEEEE10hipError_tPvRmT1_T2_T3_mmT4_T5_P12ihipStream_tbEUlRKiE_EESM_SQ_SR_mSS_SV_bEUlT_E_NS1_11comp_targetILNS1_3genE3ELNS1_11target_archE908ELNS1_3gpuE7ELNS1_3repE0EEENS1_30default_config_static_selectorELNS0_4arch9wavefront6targetE1EEEvSP_
	.globl	_ZN7rocprim17ROCPRIM_400000_NS6detail17trampoline_kernelINS0_14default_configENS1_29binary_search_config_selectorIibEEZNS1_14transform_implILb0ES3_S5_N6thrust23THRUST_200600_302600_NS6detail15normal_iteratorINS8_10device_ptrIiEEEENSA_INSB_IbEEEEZNS1_13binary_searchIS3_S5_SD_SD_SF_NS1_16binary_search_opENS9_16wrapped_functionINS0_4lessIvEEbEEEE10hipError_tPvRmT1_T2_T3_mmT4_T5_P12ihipStream_tbEUlRKiE_EESM_SQ_SR_mSS_SV_bEUlT_E_NS1_11comp_targetILNS1_3genE3ELNS1_11target_archE908ELNS1_3gpuE7ELNS1_3repE0EEENS1_30default_config_static_selectorELNS0_4arch9wavefront6targetE1EEEvSP_
	.p2align	8
	.type	_ZN7rocprim17ROCPRIM_400000_NS6detail17trampoline_kernelINS0_14default_configENS1_29binary_search_config_selectorIibEEZNS1_14transform_implILb0ES3_S5_N6thrust23THRUST_200600_302600_NS6detail15normal_iteratorINS8_10device_ptrIiEEEENSA_INSB_IbEEEEZNS1_13binary_searchIS3_S5_SD_SD_SF_NS1_16binary_search_opENS9_16wrapped_functionINS0_4lessIvEEbEEEE10hipError_tPvRmT1_T2_T3_mmT4_T5_P12ihipStream_tbEUlRKiE_EESM_SQ_SR_mSS_SV_bEUlT_E_NS1_11comp_targetILNS1_3genE3ELNS1_11target_archE908ELNS1_3gpuE7ELNS1_3repE0EEENS1_30default_config_static_selectorELNS0_4arch9wavefront6targetE1EEEvSP_,@function
_ZN7rocprim17ROCPRIM_400000_NS6detail17trampoline_kernelINS0_14default_configENS1_29binary_search_config_selectorIibEEZNS1_14transform_implILb0ES3_S5_N6thrust23THRUST_200600_302600_NS6detail15normal_iteratorINS8_10device_ptrIiEEEENSA_INSB_IbEEEEZNS1_13binary_searchIS3_S5_SD_SD_SF_NS1_16binary_search_opENS9_16wrapped_functionINS0_4lessIvEEbEEEE10hipError_tPvRmT1_T2_T3_mmT4_T5_P12ihipStream_tbEUlRKiE_EESM_SQ_SR_mSS_SV_bEUlT_E_NS1_11comp_targetILNS1_3genE3ELNS1_11target_archE908ELNS1_3gpuE7ELNS1_3repE0EEENS1_30default_config_static_selectorELNS0_4arch9wavefront6targetE1EEEvSP_: ; @_ZN7rocprim17ROCPRIM_400000_NS6detail17trampoline_kernelINS0_14default_configENS1_29binary_search_config_selectorIibEEZNS1_14transform_implILb0ES3_S5_N6thrust23THRUST_200600_302600_NS6detail15normal_iteratorINS8_10device_ptrIiEEEENSA_INSB_IbEEEEZNS1_13binary_searchIS3_S5_SD_SD_SF_NS1_16binary_search_opENS9_16wrapped_functionINS0_4lessIvEEbEEEE10hipError_tPvRmT1_T2_T3_mmT4_T5_P12ihipStream_tbEUlRKiE_EESM_SQ_SR_mSS_SV_bEUlT_E_NS1_11comp_targetILNS1_3genE3ELNS1_11target_archE908ELNS1_3gpuE7ELNS1_3repE0EEENS1_30default_config_static_selectorELNS0_4arch9wavefront6targetE1EEEvSP_
; %bb.0:
	.section	.rodata,"a",@progbits
	.p2align	6, 0x0
	.amdhsa_kernel _ZN7rocprim17ROCPRIM_400000_NS6detail17trampoline_kernelINS0_14default_configENS1_29binary_search_config_selectorIibEEZNS1_14transform_implILb0ES3_S5_N6thrust23THRUST_200600_302600_NS6detail15normal_iteratorINS8_10device_ptrIiEEEENSA_INSB_IbEEEEZNS1_13binary_searchIS3_S5_SD_SD_SF_NS1_16binary_search_opENS9_16wrapped_functionINS0_4lessIvEEbEEEE10hipError_tPvRmT1_T2_T3_mmT4_T5_P12ihipStream_tbEUlRKiE_EESM_SQ_SR_mSS_SV_bEUlT_E_NS1_11comp_targetILNS1_3genE3ELNS1_11target_archE908ELNS1_3gpuE7ELNS1_3repE0EEENS1_30default_config_static_selectorELNS0_4arch9wavefront6targetE1EEEvSP_
		.amdhsa_group_segment_fixed_size 0
		.amdhsa_private_segment_fixed_size 0
		.amdhsa_kernarg_size 56
		.amdhsa_user_sgpr_count 6
		.amdhsa_user_sgpr_private_segment_buffer 1
		.amdhsa_user_sgpr_dispatch_ptr 0
		.amdhsa_user_sgpr_queue_ptr 0
		.amdhsa_user_sgpr_kernarg_segment_ptr 1
		.amdhsa_user_sgpr_dispatch_id 0
		.amdhsa_user_sgpr_flat_scratch_init 0
		.amdhsa_user_sgpr_kernarg_preload_length 0
		.amdhsa_user_sgpr_kernarg_preload_offset 0
		.amdhsa_user_sgpr_private_segment_size 0
		.amdhsa_uses_dynamic_stack 0
		.amdhsa_system_sgpr_private_segment_wavefront_offset 0
		.amdhsa_system_sgpr_workgroup_id_x 1
		.amdhsa_system_sgpr_workgroup_id_y 0
		.amdhsa_system_sgpr_workgroup_id_z 0
		.amdhsa_system_sgpr_workgroup_info 0
		.amdhsa_system_vgpr_workitem_id 0
		.amdhsa_next_free_vgpr 1
		.amdhsa_next_free_sgpr 0
		.amdhsa_accum_offset 4
		.amdhsa_reserve_vcc 0
		.amdhsa_reserve_flat_scratch 0
		.amdhsa_float_round_mode_32 0
		.amdhsa_float_round_mode_16_64 0
		.amdhsa_float_denorm_mode_32 3
		.amdhsa_float_denorm_mode_16_64 3
		.amdhsa_dx10_clamp 1
		.amdhsa_ieee_mode 1
		.amdhsa_fp16_overflow 0
		.amdhsa_tg_split 0
		.amdhsa_exception_fp_ieee_invalid_op 0
		.amdhsa_exception_fp_denorm_src 0
		.amdhsa_exception_fp_ieee_div_zero 0
		.amdhsa_exception_fp_ieee_overflow 0
		.amdhsa_exception_fp_ieee_underflow 0
		.amdhsa_exception_fp_ieee_inexact 0
		.amdhsa_exception_int_div_zero 0
	.end_amdhsa_kernel
	.section	.text._ZN7rocprim17ROCPRIM_400000_NS6detail17trampoline_kernelINS0_14default_configENS1_29binary_search_config_selectorIibEEZNS1_14transform_implILb0ES3_S5_N6thrust23THRUST_200600_302600_NS6detail15normal_iteratorINS8_10device_ptrIiEEEENSA_INSB_IbEEEEZNS1_13binary_searchIS3_S5_SD_SD_SF_NS1_16binary_search_opENS9_16wrapped_functionINS0_4lessIvEEbEEEE10hipError_tPvRmT1_T2_T3_mmT4_T5_P12ihipStream_tbEUlRKiE_EESM_SQ_SR_mSS_SV_bEUlT_E_NS1_11comp_targetILNS1_3genE3ELNS1_11target_archE908ELNS1_3gpuE7ELNS1_3repE0EEENS1_30default_config_static_selectorELNS0_4arch9wavefront6targetE1EEEvSP_,"axG",@progbits,_ZN7rocprim17ROCPRIM_400000_NS6detail17trampoline_kernelINS0_14default_configENS1_29binary_search_config_selectorIibEEZNS1_14transform_implILb0ES3_S5_N6thrust23THRUST_200600_302600_NS6detail15normal_iteratorINS8_10device_ptrIiEEEENSA_INSB_IbEEEEZNS1_13binary_searchIS3_S5_SD_SD_SF_NS1_16binary_search_opENS9_16wrapped_functionINS0_4lessIvEEbEEEE10hipError_tPvRmT1_T2_T3_mmT4_T5_P12ihipStream_tbEUlRKiE_EESM_SQ_SR_mSS_SV_bEUlT_E_NS1_11comp_targetILNS1_3genE3ELNS1_11target_archE908ELNS1_3gpuE7ELNS1_3repE0EEENS1_30default_config_static_selectorELNS0_4arch9wavefront6targetE1EEEvSP_,comdat
.Lfunc_end513:
	.size	_ZN7rocprim17ROCPRIM_400000_NS6detail17trampoline_kernelINS0_14default_configENS1_29binary_search_config_selectorIibEEZNS1_14transform_implILb0ES3_S5_N6thrust23THRUST_200600_302600_NS6detail15normal_iteratorINS8_10device_ptrIiEEEENSA_INSB_IbEEEEZNS1_13binary_searchIS3_S5_SD_SD_SF_NS1_16binary_search_opENS9_16wrapped_functionINS0_4lessIvEEbEEEE10hipError_tPvRmT1_T2_T3_mmT4_T5_P12ihipStream_tbEUlRKiE_EESM_SQ_SR_mSS_SV_bEUlT_E_NS1_11comp_targetILNS1_3genE3ELNS1_11target_archE908ELNS1_3gpuE7ELNS1_3repE0EEENS1_30default_config_static_selectorELNS0_4arch9wavefront6targetE1EEEvSP_, .Lfunc_end513-_ZN7rocprim17ROCPRIM_400000_NS6detail17trampoline_kernelINS0_14default_configENS1_29binary_search_config_selectorIibEEZNS1_14transform_implILb0ES3_S5_N6thrust23THRUST_200600_302600_NS6detail15normal_iteratorINS8_10device_ptrIiEEEENSA_INSB_IbEEEEZNS1_13binary_searchIS3_S5_SD_SD_SF_NS1_16binary_search_opENS9_16wrapped_functionINS0_4lessIvEEbEEEE10hipError_tPvRmT1_T2_T3_mmT4_T5_P12ihipStream_tbEUlRKiE_EESM_SQ_SR_mSS_SV_bEUlT_E_NS1_11comp_targetILNS1_3genE3ELNS1_11target_archE908ELNS1_3gpuE7ELNS1_3repE0EEENS1_30default_config_static_selectorELNS0_4arch9wavefront6targetE1EEEvSP_
                                        ; -- End function
	.section	.AMDGPU.csdata,"",@progbits
; Kernel info:
; codeLenInByte = 0
; NumSgprs: 4
; NumVgprs: 0
; NumAgprs: 0
; TotalNumVgprs: 0
; ScratchSize: 0
; MemoryBound: 0
; FloatMode: 240
; IeeeMode: 1
; LDSByteSize: 0 bytes/workgroup (compile time only)
; SGPRBlocks: 0
; VGPRBlocks: 0
; NumSGPRsForWavesPerEU: 4
; NumVGPRsForWavesPerEU: 1
; AccumOffset: 4
; Occupancy: 8
; WaveLimiterHint : 0
; COMPUTE_PGM_RSRC2:SCRATCH_EN: 0
; COMPUTE_PGM_RSRC2:USER_SGPR: 6
; COMPUTE_PGM_RSRC2:TRAP_HANDLER: 0
; COMPUTE_PGM_RSRC2:TGID_X_EN: 1
; COMPUTE_PGM_RSRC2:TGID_Y_EN: 0
; COMPUTE_PGM_RSRC2:TGID_Z_EN: 0
; COMPUTE_PGM_RSRC2:TIDIG_COMP_CNT: 0
; COMPUTE_PGM_RSRC3_GFX90A:ACCUM_OFFSET: 0
; COMPUTE_PGM_RSRC3_GFX90A:TG_SPLIT: 0
	.section	.text._ZN7rocprim17ROCPRIM_400000_NS6detail17trampoline_kernelINS0_14default_configENS1_29binary_search_config_selectorIibEEZNS1_14transform_implILb0ES3_S5_N6thrust23THRUST_200600_302600_NS6detail15normal_iteratorINS8_10device_ptrIiEEEENSA_INSB_IbEEEEZNS1_13binary_searchIS3_S5_SD_SD_SF_NS1_16binary_search_opENS9_16wrapped_functionINS0_4lessIvEEbEEEE10hipError_tPvRmT1_T2_T3_mmT4_T5_P12ihipStream_tbEUlRKiE_EESM_SQ_SR_mSS_SV_bEUlT_E_NS1_11comp_targetILNS1_3genE2ELNS1_11target_archE906ELNS1_3gpuE6ELNS1_3repE0EEENS1_30default_config_static_selectorELNS0_4arch9wavefront6targetE1EEEvSP_,"axG",@progbits,_ZN7rocprim17ROCPRIM_400000_NS6detail17trampoline_kernelINS0_14default_configENS1_29binary_search_config_selectorIibEEZNS1_14transform_implILb0ES3_S5_N6thrust23THRUST_200600_302600_NS6detail15normal_iteratorINS8_10device_ptrIiEEEENSA_INSB_IbEEEEZNS1_13binary_searchIS3_S5_SD_SD_SF_NS1_16binary_search_opENS9_16wrapped_functionINS0_4lessIvEEbEEEE10hipError_tPvRmT1_T2_T3_mmT4_T5_P12ihipStream_tbEUlRKiE_EESM_SQ_SR_mSS_SV_bEUlT_E_NS1_11comp_targetILNS1_3genE2ELNS1_11target_archE906ELNS1_3gpuE6ELNS1_3repE0EEENS1_30default_config_static_selectorELNS0_4arch9wavefront6targetE1EEEvSP_,comdat
	.protected	_ZN7rocprim17ROCPRIM_400000_NS6detail17trampoline_kernelINS0_14default_configENS1_29binary_search_config_selectorIibEEZNS1_14transform_implILb0ES3_S5_N6thrust23THRUST_200600_302600_NS6detail15normal_iteratorINS8_10device_ptrIiEEEENSA_INSB_IbEEEEZNS1_13binary_searchIS3_S5_SD_SD_SF_NS1_16binary_search_opENS9_16wrapped_functionINS0_4lessIvEEbEEEE10hipError_tPvRmT1_T2_T3_mmT4_T5_P12ihipStream_tbEUlRKiE_EESM_SQ_SR_mSS_SV_bEUlT_E_NS1_11comp_targetILNS1_3genE2ELNS1_11target_archE906ELNS1_3gpuE6ELNS1_3repE0EEENS1_30default_config_static_selectorELNS0_4arch9wavefront6targetE1EEEvSP_ ; -- Begin function _ZN7rocprim17ROCPRIM_400000_NS6detail17trampoline_kernelINS0_14default_configENS1_29binary_search_config_selectorIibEEZNS1_14transform_implILb0ES3_S5_N6thrust23THRUST_200600_302600_NS6detail15normal_iteratorINS8_10device_ptrIiEEEENSA_INSB_IbEEEEZNS1_13binary_searchIS3_S5_SD_SD_SF_NS1_16binary_search_opENS9_16wrapped_functionINS0_4lessIvEEbEEEE10hipError_tPvRmT1_T2_T3_mmT4_T5_P12ihipStream_tbEUlRKiE_EESM_SQ_SR_mSS_SV_bEUlT_E_NS1_11comp_targetILNS1_3genE2ELNS1_11target_archE906ELNS1_3gpuE6ELNS1_3repE0EEENS1_30default_config_static_selectorELNS0_4arch9wavefront6targetE1EEEvSP_
	.globl	_ZN7rocprim17ROCPRIM_400000_NS6detail17trampoline_kernelINS0_14default_configENS1_29binary_search_config_selectorIibEEZNS1_14transform_implILb0ES3_S5_N6thrust23THRUST_200600_302600_NS6detail15normal_iteratorINS8_10device_ptrIiEEEENSA_INSB_IbEEEEZNS1_13binary_searchIS3_S5_SD_SD_SF_NS1_16binary_search_opENS9_16wrapped_functionINS0_4lessIvEEbEEEE10hipError_tPvRmT1_T2_T3_mmT4_T5_P12ihipStream_tbEUlRKiE_EESM_SQ_SR_mSS_SV_bEUlT_E_NS1_11comp_targetILNS1_3genE2ELNS1_11target_archE906ELNS1_3gpuE6ELNS1_3repE0EEENS1_30default_config_static_selectorELNS0_4arch9wavefront6targetE1EEEvSP_
	.p2align	8
	.type	_ZN7rocprim17ROCPRIM_400000_NS6detail17trampoline_kernelINS0_14default_configENS1_29binary_search_config_selectorIibEEZNS1_14transform_implILb0ES3_S5_N6thrust23THRUST_200600_302600_NS6detail15normal_iteratorINS8_10device_ptrIiEEEENSA_INSB_IbEEEEZNS1_13binary_searchIS3_S5_SD_SD_SF_NS1_16binary_search_opENS9_16wrapped_functionINS0_4lessIvEEbEEEE10hipError_tPvRmT1_T2_T3_mmT4_T5_P12ihipStream_tbEUlRKiE_EESM_SQ_SR_mSS_SV_bEUlT_E_NS1_11comp_targetILNS1_3genE2ELNS1_11target_archE906ELNS1_3gpuE6ELNS1_3repE0EEENS1_30default_config_static_selectorELNS0_4arch9wavefront6targetE1EEEvSP_,@function
_ZN7rocprim17ROCPRIM_400000_NS6detail17trampoline_kernelINS0_14default_configENS1_29binary_search_config_selectorIibEEZNS1_14transform_implILb0ES3_S5_N6thrust23THRUST_200600_302600_NS6detail15normal_iteratorINS8_10device_ptrIiEEEENSA_INSB_IbEEEEZNS1_13binary_searchIS3_S5_SD_SD_SF_NS1_16binary_search_opENS9_16wrapped_functionINS0_4lessIvEEbEEEE10hipError_tPvRmT1_T2_T3_mmT4_T5_P12ihipStream_tbEUlRKiE_EESM_SQ_SR_mSS_SV_bEUlT_E_NS1_11comp_targetILNS1_3genE2ELNS1_11target_archE906ELNS1_3gpuE6ELNS1_3repE0EEENS1_30default_config_static_selectorELNS0_4arch9wavefront6targetE1EEEvSP_: ; @_ZN7rocprim17ROCPRIM_400000_NS6detail17trampoline_kernelINS0_14default_configENS1_29binary_search_config_selectorIibEEZNS1_14transform_implILb0ES3_S5_N6thrust23THRUST_200600_302600_NS6detail15normal_iteratorINS8_10device_ptrIiEEEENSA_INSB_IbEEEEZNS1_13binary_searchIS3_S5_SD_SD_SF_NS1_16binary_search_opENS9_16wrapped_functionINS0_4lessIvEEbEEEE10hipError_tPvRmT1_T2_T3_mmT4_T5_P12ihipStream_tbEUlRKiE_EESM_SQ_SR_mSS_SV_bEUlT_E_NS1_11comp_targetILNS1_3genE2ELNS1_11target_archE906ELNS1_3gpuE6ELNS1_3repE0EEENS1_30default_config_static_selectorELNS0_4arch9wavefront6targetE1EEEvSP_
; %bb.0:
	.section	.rodata,"a",@progbits
	.p2align	6, 0x0
	.amdhsa_kernel _ZN7rocprim17ROCPRIM_400000_NS6detail17trampoline_kernelINS0_14default_configENS1_29binary_search_config_selectorIibEEZNS1_14transform_implILb0ES3_S5_N6thrust23THRUST_200600_302600_NS6detail15normal_iteratorINS8_10device_ptrIiEEEENSA_INSB_IbEEEEZNS1_13binary_searchIS3_S5_SD_SD_SF_NS1_16binary_search_opENS9_16wrapped_functionINS0_4lessIvEEbEEEE10hipError_tPvRmT1_T2_T3_mmT4_T5_P12ihipStream_tbEUlRKiE_EESM_SQ_SR_mSS_SV_bEUlT_E_NS1_11comp_targetILNS1_3genE2ELNS1_11target_archE906ELNS1_3gpuE6ELNS1_3repE0EEENS1_30default_config_static_selectorELNS0_4arch9wavefront6targetE1EEEvSP_
		.amdhsa_group_segment_fixed_size 0
		.amdhsa_private_segment_fixed_size 0
		.amdhsa_kernarg_size 56
		.amdhsa_user_sgpr_count 6
		.amdhsa_user_sgpr_private_segment_buffer 1
		.amdhsa_user_sgpr_dispatch_ptr 0
		.amdhsa_user_sgpr_queue_ptr 0
		.amdhsa_user_sgpr_kernarg_segment_ptr 1
		.amdhsa_user_sgpr_dispatch_id 0
		.amdhsa_user_sgpr_flat_scratch_init 0
		.amdhsa_user_sgpr_kernarg_preload_length 0
		.amdhsa_user_sgpr_kernarg_preload_offset 0
		.amdhsa_user_sgpr_private_segment_size 0
		.amdhsa_uses_dynamic_stack 0
		.amdhsa_system_sgpr_private_segment_wavefront_offset 0
		.amdhsa_system_sgpr_workgroup_id_x 1
		.amdhsa_system_sgpr_workgroup_id_y 0
		.amdhsa_system_sgpr_workgroup_id_z 0
		.amdhsa_system_sgpr_workgroup_info 0
		.amdhsa_system_vgpr_workitem_id 0
		.amdhsa_next_free_vgpr 1
		.amdhsa_next_free_sgpr 0
		.amdhsa_accum_offset 4
		.amdhsa_reserve_vcc 0
		.amdhsa_reserve_flat_scratch 0
		.amdhsa_float_round_mode_32 0
		.amdhsa_float_round_mode_16_64 0
		.amdhsa_float_denorm_mode_32 3
		.amdhsa_float_denorm_mode_16_64 3
		.amdhsa_dx10_clamp 1
		.amdhsa_ieee_mode 1
		.amdhsa_fp16_overflow 0
		.amdhsa_tg_split 0
		.amdhsa_exception_fp_ieee_invalid_op 0
		.amdhsa_exception_fp_denorm_src 0
		.amdhsa_exception_fp_ieee_div_zero 0
		.amdhsa_exception_fp_ieee_overflow 0
		.amdhsa_exception_fp_ieee_underflow 0
		.amdhsa_exception_fp_ieee_inexact 0
		.amdhsa_exception_int_div_zero 0
	.end_amdhsa_kernel
	.section	.text._ZN7rocprim17ROCPRIM_400000_NS6detail17trampoline_kernelINS0_14default_configENS1_29binary_search_config_selectorIibEEZNS1_14transform_implILb0ES3_S5_N6thrust23THRUST_200600_302600_NS6detail15normal_iteratorINS8_10device_ptrIiEEEENSA_INSB_IbEEEEZNS1_13binary_searchIS3_S5_SD_SD_SF_NS1_16binary_search_opENS9_16wrapped_functionINS0_4lessIvEEbEEEE10hipError_tPvRmT1_T2_T3_mmT4_T5_P12ihipStream_tbEUlRKiE_EESM_SQ_SR_mSS_SV_bEUlT_E_NS1_11comp_targetILNS1_3genE2ELNS1_11target_archE906ELNS1_3gpuE6ELNS1_3repE0EEENS1_30default_config_static_selectorELNS0_4arch9wavefront6targetE1EEEvSP_,"axG",@progbits,_ZN7rocprim17ROCPRIM_400000_NS6detail17trampoline_kernelINS0_14default_configENS1_29binary_search_config_selectorIibEEZNS1_14transform_implILb0ES3_S5_N6thrust23THRUST_200600_302600_NS6detail15normal_iteratorINS8_10device_ptrIiEEEENSA_INSB_IbEEEEZNS1_13binary_searchIS3_S5_SD_SD_SF_NS1_16binary_search_opENS9_16wrapped_functionINS0_4lessIvEEbEEEE10hipError_tPvRmT1_T2_T3_mmT4_T5_P12ihipStream_tbEUlRKiE_EESM_SQ_SR_mSS_SV_bEUlT_E_NS1_11comp_targetILNS1_3genE2ELNS1_11target_archE906ELNS1_3gpuE6ELNS1_3repE0EEENS1_30default_config_static_selectorELNS0_4arch9wavefront6targetE1EEEvSP_,comdat
.Lfunc_end514:
	.size	_ZN7rocprim17ROCPRIM_400000_NS6detail17trampoline_kernelINS0_14default_configENS1_29binary_search_config_selectorIibEEZNS1_14transform_implILb0ES3_S5_N6thrust23THRUST_200600_302600_NS6detail15normal_iteratorINS8_10device_ptrIiEEEENSA_INSB_IbEEEEZNS1_13binary_searchIS3_S5_SD_SD_SF_NS1_16binary_search_opENS9_16wrapped_functionINS0_4lessIvEEbEEEE10hipError_tPvRmT1_T2_T3_mmT4_T5_P12ihipStream_tbEUlRKiE_EESM_SQ_SR_mSS_SV_bEUlT_E_NS1_11comp_targetILNS1_3genE2ELNS1_11target_archE906ELNS1_3gpuE6ELNS1_3repE0EEENS1_30default_config_static_selectorELNS0_4arch9wavefront6targetE1EEEvSP_, .Lfunc_end514-_ZN7rocprim17ROCPRIM_400000_NS6detail17trampoline_kernelINS0_14default_configENS1_29binary_search_config_selectorIibEEZNS1_14transform_implILb0ES3_S5_N6thrust23THRUST_200600_302600_NS6detail15normal_iteratorINS8_10device_ptrIiEEEENSA_INSB_IbEEEEZNS1_13binary_searchIS3_S5_SD_SD_SF_NS1_16binary_search_opENS9_16wrapped_functionINS0_4lessIvEEbEEEE10hipError_tPvRmT1_T2_T3_mmT4_T5_P12ihipStream_tbEUlRKiE_EESM_SQ_SR_mSS_SV_bEUlT_E_NS1_11comp_targetILNS1_3genE2ELNS1_11target_archE906ELNS1_3gpuE6ELNS1_3repE0EEENS1_30default_config_static_selectorELNS0_4arch9wavefront6targetE1EEEvSP_
                                        ; -- End function
	.section	.AMDGPU.csdata,"",@progbits
; Kernel info:
; codeLenInByte = 0
; NumSgprs: 4
; NumVgprs: 0
; NumAgprs: 0
; TotalNumVgprs: 0
; ScratchSize: 0
; MemoryBound: 0
; FloatMode: 240
; IeeeMode: 1
; LDSByteSize: 0 bytes/workgroup (compile time only)
; SGPRBlocks: 0
; VGPRBlocks: 0
; NumSGPRsForWavesPerEU: 4
; NumVGPRsForWavesPerEU: 1
; AccumOffset: 4
; Occupancy: 8
; WaveLimiterHint : 0
; COMPUTE_PGM_RSRC2:SCRATCH_EN: 0
; COMPUTE_PGM_RSRC2:USER_SGPR: 6
; COMPUTE_PGM_RSRC2:TRAP_HANDLER: 0
; COMPUTE_PGM_RSRC2:TGID_X_EN: 1
; COMPUTE_PGM_RSRC2:TGID_Y_EN: 0
; COMPUTE_PGM_RSRC2:TGID_Z_EN: 0
; COMPUTE_PGM_RSRC2:TIDIG_COMP_CNT: 0
; COMPUTE_PGM_RSRC3_GFX90A:ACCUM_OFFSET: 0
; COMPUTE_PGM_RSRC3_GFX90A:TG_SPLIT: 0
	.section	.text._ZN7rocprim17ROCPRIM_400000_NS6detail17trampoline_kernelINS0_14default_configENS1_29binary_search_config_selectorIibEEZNS1_14transform_implILb0ES3_S5_N6thrust23THRUST_200600_302600_NS6detail15normal_iteratorINS8_10device_ptrIiEEEENSA_INSB_IbEEEEZNS1_13binary_searchIS3_S5_SD_SD_SF_NS1_16binary_search_opENS9_16wrapped_functionINS0_4lessIvEEbEEEE10hipError_tPvRmT1_T2_T3_mmT4_T5_P12ihipStream_tbEUlRKiE_EESM_SQ_SR_mSS_SV_bEUlT_E_NS1_11comp_targetILNS1_3genE10ELNS1_11target_archE1201ELNS1_3gpuE5ELNS1_3repE0EEENS1_30default_config_static_selectorELNS0_4arch9wavefront6targetE1EEEvSP_,"axG",@progbits,_ZN7rocprim17ROCPRIM_400000_NS6detail17trampoline_kernelINS0_14default_configENS1_29binary_search_config_selectorIibEEZNS1_14transform_implILb0ES3_S5_N6thrust23THRUST_200600_302600_NS6detail15normal_iteratorINS8_10device_ptrIiEEEENSA_INSB_IbEEEEZNS1_13binary_searchIS3_S5_SD_SD_SF_NS1_16binary_search_opENS9_16wrapped_functionINS0_4lessIvEEbEEEE10hipError_tPvRmT1_T2_T3_mmT4_T5_P12ihipStream_tbEUlRKiE_EESM_SQ_SR_mSS_SV_bEUlT_E_NS1_11comp_targetILNS1_3genE10ELNS1_11target_archE1201ELNS1_3gpuE5ELNS1_3repE0EEENS1_30default_config_static_selectorELNS0_4arch9wavefront6targetE1EEEvSP_,comdat
	.protected	_ZN7rocprim17ROCPRIM_400000_NS6detail17trampoline_kernelINS0_14default_configENS1_29binary_search_config_selectorIibEEZNS1_14transform_implILb0ES3_S5_N6thrust23THRUST_200600_302600_NS6detail15normal_iteratorINS8_10device_ptrIiEEEENSA_INSB_IbEEEEZNS1_13binary_searchIS3_S5_SD_SD_SF_NS1_16binary_search_opENS9_16wrapped_functionINS0_4lessIvEEbEEEE10hipError_tPvRmT1_T2_T3_mmT4_T5_P12ihipStream_tbEUlRKiE_EESM_SQ_SR_mSS_SV_bEUlT_E_NS1_11comp_targetILNS1_3genE10ELNS1_11target_archE1201ELNS1_3gpuE5ELNS1_3repE0EEENS1_30default_config_static_selectorELNS0_4arch9wavefront6targetE1EEEvSP_ ; -- Begin function _ZN7rocprim17ROCPRIM_400000_NS6detail17trampoline_kernelINS0_14default_configENS1_29binary_search_config_selectorIibEEZNS1_14transform_implILb0ES3_S5_N6thrust23THRUST_200600_302600_NS6detail15normal_iteratorINS8_10device_ptrIiEEEENSA_INSB_IbEEEEZNS1_13binary_searchIS3_S5_SD_SD_SF_NS1_16binary_search_opENS9_16wrapped_functionINS0_4lessIvEEbEEEE10hipError_tPvRmT1_T2_T3_mmT4_T5_P12ihipStream_tbEUlRKiE_EESM_SQ_SR_mSS_SV_bEUlT_E_NS1_11comp_targetILNS1_3genE10ELNS1_11target_archE1201ELNS1_3gpuE5ELNS1_3repE0EEENS1_30default_config_static_selectorELNS0_4arch9wavefront6targetE1EEEvSP_
	.globl	_ZN7rocprim17ROCPRIM_400000_NS6detail17trampoline_kernelINS0_14default_configENS1_29binary_search_config_selectorIibEEZNS1_14transform_implILb0ES3_S5_N6thrust23THRUST_200600_302600_NS6detail15normal_iteratorINS8_10device_ptrIiEEEENSA_INSB_IbEEEEZNS1_13binary_searchIS3_S5_SD_SD_SF_NS1_16binary_search_opENS9_16wrapped_functionINS0_4lessIvEEbEEEE10hipError_tPvRmT1_T2_T3_mmT4_T5_P12ihipStream_tbEUlRKiE_EESM_SQ_SR_mSS_SV_bEUlT_E_NS1_11comp_targetILNS1_3genE10ELNS1_11target_archE1201ELNS1_3gpuE5ELNS1_3repE0EEENS1_30default_config_static_selectorELNS0_4arch9wavefront6targetE1EEEvSP_
	.p2align	8
	.type	_ZN7rocprim17ROCPRIM_400000_NS6detail17trampoline_kernelINS0_14default_configENS1_29binary_search_config_selectorIibEEZNS1_14transform_implILb0ES3_S5_N6thrust23THRUST_200600_302600_NS6detail15normal_iteratorINS8_10device_ptrIiEEEENSA_INSB_IbEEEEZNS1_13binary_searchIS3_S5_SD_SD_SF_NS1_16binary_search_opENS9_16wrapped_functionINS0_4lessIvEEbEEEE10hipError_tPvRmT1_T2_T3_mmT4_T5_P12ihipStream_tbEUlRKiE_EESM_SQ_SR_mSS_SV_bEUlT_E_NS1_11comp_targetILNS1_3genE10ELNS1_11target_archE1201ELNS1_3gpuE5ELNS1_3repE0EEENS1_30default_config_static_selectorELNS0_4arch9wavefront6targetE1EEEvSP_,@function
_ZN7rocprim17ROCPRIM_400000_NS6detail17trampoline_kernelINS0_14default_configENS1_29binary_search_config_selectorIibEEZNS1_14transform_implILb0ES3_S5_N6thrust23THRUST_200600_302600_NS6detail15normal_iteratorINS8_10device_ptrIiEEEENSA_INSB_IbEEEEZNS1_13binary_searchIS3_S5_SD_SD_SF_NS1_16binary_search_opENS9_16wrapped_functionINS0_4lessIvEEbEEEE10hipError_tPvRmT1_T2_T3_mmT4_T5_P12ihipStream_tbEUlRKiE_EESM_SQ_SR_mSS_SV_bEUlT_E_NS1_11comp_targetILNS1_3genE10ELNS1_11target_archE1201ELNS1_3gpuE5ELNS1_3repE0EEENS1_30default_config_static_selectorELNS0_4arch9wavefront6targetE1EEEvSP_: ; @_ZN7rocprim17ROCPRIM_400000_NS6detail17trampoline_kernelINS0_14default_configENS1_29binary_search_config_selectorIibEEZNS1_14transform_implILb0ES3_S5_N6thrust23THRUST_200600_302600_NS6detail15normal_iteratorINS8_10device_ptrIiEEEENSA_INSB_IbEEEEZNS1_13binary_searchIS3_S5_SD_SD_SF_NS1_16binary_search_opENS9_16wrapped_functionINS0_4lessIvEEbEEEE10hipError_tPvRmT1_T2_T3_mmT4_T5_P12ihipStream_tbEUlRKiE_EESM_SQ_SR_mSS_SV_bEUlT_E_NS1_11comp_targetILNS1_3genE10ELNS1_11target_archE1201ELNS1_3gpuE5ELNS1_3repE0EEENS1_30default_config_static_selectorELNS0_4arch9wavefront6targetE1EEEvSP_
; %bb.0:
	.section	.rodata,"a",@progbits
	.p2align	6, 0x0
	.amdhsa_kernel _ZN7rocprim17ROCPRIM_400000_NS6detail17trampoline_kernelINS0_14default_configENS1_29binary_search_config_selectorIibEEZNS1_14transform_implILb0ES3_S5_N6thrust23THRUST_200600_302600_NS6detail15normal_iteratorINS8_10device_ptrIiEEEENSA_INSB_IbEEEEZNS1_13binary_searchIS3_S5_SD_SD_SF_NS1_16binary_search_opENS9_16wrapped_functionINS0_4lessIvEEbEEEE10hipError_tPvRmT1_T2_T3_mmT4_T5_P12ihipStream_tbEUlRKiE_EESM_SQ_SR_mSS_SV_bEUlT_E_NS1_11comp_targetILNS1_3genE10ELNS1_11target_archE1201ELNS1_3gpuE5ELNS1_3repE0EEENS1_30default_config_static_selectorELNS0_4arch9wavefront6targetE1EEEvSP_
		.amdhsa_group_segment_fixed_size 0
		.amdhsa_private_segment_fixed_size 0
		.amdhsa_kernarg_size 56
		.amdhsa_user_sgpr_count 6
		.amdhsa_user_sgpr_private_segment_buffer 1
		.amdhsa_user_sgpr_dispatch_ptr 0
		.amdhsa_user_sgpr_queue_ptr 0
		.amdhsa_user_sgpr_kernarg_segment_ptr 1
		.amdhsa_user_sgpr_dispatch_id 0
		.amdhsa_user_sgpr_flat_scratch_init 0
		.amdhsa_user_sgpr_kernarg_preload_length 0
		.amdhsa_user_sgpr_kernarg_preload_offset 0
		.amdhsa_user_sgpr_private_segment_size 0
		.amdhsa_uses_dynamic_stack 0
		.amdhsa_system_sgpr_private_segment_wavefront_offset 0
		.amdhsa_system_sgpr_workgroup_id_x 1
		.amdhsa_system_sgpr_workgroup_id_y 0
		.amdhsa_system_sgpr_workgroup_id_z 0
		.amdhsa_system_sgpr_workgroup_info 0
		.amdhsa_system_vgpr_workitem_id 0
		.amdhsa_next_free_vgpr 1
		.amdhsa_next_free_sgpr 0
		.amdhsa_accum_offset 4
		.amdhsa_reserve_vcc 0
		.amdhsa_reserve_flat_scratch 0
		.amdhsa_float_round_mode_32 0
		.amdhsa_float_round_mode_16_64 0
		.amdhsa_float_denorm_mode_32 3
		.amdhsa_float_denorm_mode_16_64 3
		.amdhsa_dx10_clamp 1
		.amdhsa_ieee_mode 1
		.amdhsa_fp16_overflow 0
		.amdhsa_tg_split 0
		.amdhsa_exception_fp_ieee_invalid_op 0
		.amdhsa_exception_fp_denorm_src 0
		.amdhsa_exception_fp_ieee_div_zero 0
		.amdhsa_exception_fp_ieee_overflow 0
		.amdhsa_exception_fp_ieee_underflow 0
		.amdhsa_exception_fp_ieee_inexact 0
		.amdhsa_exception_int_div_zero 0
	.end_amdhsa_kernel
	.section	.text._ZN7rocprim17ROCPRIM_400000_NS6detail17trampoline_kernelINS0_14default_configENS1_29binary_search_config_selectorIibEEZNS1_14transform_implILb0ES3_S5_N6thrust23THRUST_200600_302600_NS6detail15normal_iteratorINS8_10device_ptrIiEEEENSA_INSB_IbEEEEZNS1_13binary_searchIS3_S5_SD_SD_SF_NS1_16binary_search_opENS9_16wrapped_functionINS0_4lessIvEEbEEEE10hipError_tPvRmT1_T2_T3_mmT4_T5_P12ihipStream_tbEUlRKiE_EESM_SQ_SR_mSS_SV_bEUlT_E_NS1_11comp_targetILNS1_3genE10ELNS1_11target_archE1201ELNS1_3gpuE5ELNS1_3repE0EEENS1_30default_config_static_selectorELNS0_4arch9wavefront6targetE1EEEvSP_,"axG",@progbits,_ZN7rocprim17ROCPRIM_400000_NS6detail17trampoline_kernelINS0_14default_configENS1_29binary_search_config_selectorIibEEZNS1_14transform_implILb0ES3_S5_N6thrust23THRUST_200600_302600_NS6detail15normal_iteratorINS8_10device_ptrIiEEEENSA_INSB_IbEEEEZNS1_13binary_searchIS3_S5_SD_SD_SF_NS1_16binary_search_opENS9_16wrapped_functionINS0_4lessIvEEbEEEE10hipError_tPvRmT1_T2_T3_mmT4_T5_P12ihipStream_tbEUlRKiE_EESM_SQ_SR_mSS_SV_bEUlT_E_NS1_11comp_targetILNS1_3genE10ELNS1_11target_archE1201ELNS1_3gpuE5ELNS1_3repE0EEENS1_30default_config_static_selectorELNS0_4arch9wavefront6targetE1EEEvSP_,comdat
.Lfunc_end515:
	.size	_ZN7rocprim17ROCPRIM_400000_NS6detail17trampoline_kernelINS0_14default_configENS1_29binary_search_config_selectorIibEEZNS1_14transform_implILb0ES3_S5_N6thrust23THRUST_200600_302600_NS6detail15normal_iteratorINS8_10device_ptrIiEEEENSA_INSB_IbEEEEZNS1_13binary_searchIS3_S5_SD_SD_SF_NS1_16binary_search_opENS9_16wrapped_functionINS0_4lessIvEEbEEEE10hipError_tPvRmT1_T2_T3_mmT4_T5_P12ihipStream_tbEUlRKiE_EESM_SQ_SR_mSS_SV_bEUlT_E_NS1_11comp_targetILNS1_3genE10ELNS1_11target_archE1201ELNS1_3gpuE5ELNS1_3repE0EEENS1_30default_config_static_selectorELNS0_4arch9wavefront6targetE1EEEvSP_, .Lfunc_end515-_ZN7rocprim17ROCPRIM_400000_NS6detail17trampoline_kernelINS0_14default_configENS1_29binary_search_config_selectorIibEEZNS1_14transform_implILb0ES3_S5_N6thrust23THRUST_200600_302600_NS6detail15normal_iteratorINS8_10device_ptrIiEEEENSA_INSB_IbEEEEZNS1_13binary_searchIS3_S5_SD_SD_SF_NS1_16binary_search_opENS9_16wrapped_functionINS0_4lessIvEEbEEEE10hipError_tPvRmT1_T2_T3_mmT4_T5_P12ihipStream_tbEUlRKiE_EESM_SQ_SR_mSS_SV_bEUlT_E_NS1_11comp_targetILNS1_3genE10ELNS1_11target_archE1201ELNS1_3gpuE5ELNS1_3repE0EEENS1_30default_config_static_selectorELNS0_4arch9wavefront6targetE1EEEvSP_
                                        ; -- End function
	.section	.AMDGPU.csdata,"",@progbits
; Kernel info:
; codeLenInByte = 0
; NumSgprs: 4
; NumVgprs: 0
; NumAgprs: 0
; TotalNumVgprs: 0
; ScratchSize: 0
; MemoryBound: 0
; FloatMode: 240
; IeeeMode: 1
; LDSByteSize: 0 bytes/workgroup (compile time only)
; SGPRBlocks: 0
; VGPRBlocks: 0
; NumSGPRsForWavesPerEU: 4
; NumVGPRsForWavesPerEU: 1
; AccumOffset: 4
; Occupancy: 8
; WaveLimiterHint : 0
; COMPUTE_PGM_RSRC2:SCRATCH_EN: 0
; COMPUTE_PGM_RSRC2:USER_SGPR: 6
; COMPUTE_PGM_RSRC2:TRAP_HANDLER: 0
; COMPUTE_PGM_RSRC2:TGID_X_EN: 1
; COMPUTE_PGM_RSRC2:TGID_Y_EN: 0
; COMPUTE_PGM_RSRC2:TGID_Z_EN: 0
; COMPUTE_PGM_RSRC2:TIDIG_COMP_CNT: 0
; COMPUTE_PGM_RSRC3_GFX90A:ACCUM_OFFSET: 0
; COMPUTE_PGM_RSRC3_GFX90A:TG_SPLIT: 0
	.section	.text._ZN7rocprim17ROCPRIM_400000_NS6detail17trampoline_kernelINS0_14default_configENS1_29binary_search_config_selectorIibEEZNS1_14transform_implILb0ES3_S5_N6thrust23THRUST_200600_302600_NS6detail15normal_iteratorINS8_10device_ptrIiEEEENSA_INSB_IbEEEEZNS1_13binary_searchIS3_S5_SD_SD_SF_NS1_16binary_search_opENS9_16wrapped_functionINS0_4lessIvEEbEEEE10hipError_tPvRmT1_T2_T3_mmT4_T5_P12ihipStream_tbEUlRKiE_EESM_SQ_SR_mSS_SV_bEUlT_E_NS1_11comp_targetILNS1_3genE10ELNS1_11target_archE1200ELNS1_3gpuE4ELNS1_3repE0EEENS1_30default_config_static_selectorELNS0_4arch9wavefront6targetE1EEEvSP_,"axG",@progbits,_ZN7rocprim17ROCPRIM_400000_NS6detail17trampoline_kernelINS0_14default_configENS1_29binary_search_config_selectorIibEEZNS1_14transform_implILb0ES3_S5_N6thrust23THRUST_200600_302600_NS6detail15normal_iteratorINS8_10device_ptrIiEEEENSA_INSB_IbEEEEZNS1_13binary_searchIS3_S5_SD_SD_SF_NS1_16binary_search_opENS9_16wrapped_functionINS0_4lessIvEEbEEEE10hipError_tPvRmT1_T2_T3_mmT4_T5_P12ihipStream_tbEUlRKiE_EESM_SQ_SR_mSS_SV_bEUlT_E_NS1_11comp_targetILNS1_3genE10ELNS1_11target_archE1200ELNS1_3gpuE4ELNS1_3repE0EEENS1_30default_config_static_selectorELNS0_4arch9wavefront6targetE1EEEvSP_,comdat
	.protected	_ZN7rocprim17ROCPRIM_400000_NS6detail17trampoline_kernelINS0_14default_configENS1_29binary_search_config_selectorIibEEZNS1_14transform_implILb0ES3_S5_N6thrust23THRUST_200600_302600_NS6detail15normal_iteratorINS8_10device_ptrIiEEEENSA_INSB_IbEEEEZNS1_13binary_searchIS3_S5_SD_SD_SF_NS1_16binary_search_opENS9_16wrapped_functionINS0_4lessIvEEbEEEE10hipError_tPvRmT1_T2_T3_mmT4_T5_P12ihipStream_tbEUlRKiE_EESM_SQ_SR_mSS_SV_bEUlT_E_NS1_11comp_targetILNS1_3genE10ELNS1_11target_archE1200ELNS1_3gpuE4ELNS1_3repE0EEENS1_30default_config_static_selectorELNS0_4arch9wavefront6targetE1EEEvSP_ ; -- Begin function _ZN7rocprim17ROCPRIM_400000_NS6detail17trampoline_kernelINS0_14default_configENS1_29binary_search_config_selectorIibEEZNS1_14transform_implILb0ES3_S5_N6thrust23THRUST_200600_302600_NS6detail15normal_iteratorINS8_10device_ptrIiEEEENSA_INSB_IbEEEEZNS1_13binary_searchIS3_S5_SD_SD_SF_NS1_16binary_search_opENS9_16wrapped_functionINS0_4lessIvEEbEEEE10hipError_tPvRmT1_T2_T3_mmT4_T5_P12ihipStream_tbEUlRKiE_EESM_SQ_SR_mSS_SV_bEUlT_E_NS1_11comp_targetILNS1_3genE10ELNS1_11target_archE1200ELNS1_3gpuE4ELNS1_3repE0EEENS1_30default_config_static_selectorELNS0_4arch9wavefront6targetE1EEEvSP_
	.globl	_ZN7rocprim17ROCPRIM_400000_NS6detail17trampoline_kernelINS0_14default_configENS1_29binary_search_config_selectorIibEEZNS1_14transform_implILb0ES3_S5_N6thrust23THRUST_200600_302600_NS6detail15normal_iteratorINS8_10device_ptrIiEEEENSA_INSB_IbEEEEZNS1_13binary_searchIS3_S5_SD_SD_SF_NS1_16binary_search_opENS9_16wrapped_functionINS0_4lessIvEEbEEEE10hipError_tPvRmT1_T2_T3_mmT4_T5_P12ihipStream_tbEUlRKiE_EESM_SQ_SR_mSS_SV_bEUlT_E_NS1_11comp_targetILNS1_3genE10ELNS1_11target_archE1200ELNS1_3gpuE4ELNS1_3repE0EEENS1_30default_config_static_selectorELNS0_4arch9wavefront6targetE1EEEvSP_
	.p2align	8
	.type	_ZN7rocprim17ROCPRIM_400000_NS6detail17trampoline_kernelINS0_14default_configENS1_29binary_search_config_selectorIibEEZNS1_14transform_implILb0ES3_S5_N6thrust23THRUST_200600_302600_NS6detail15normal_iteratorINS8_10device_ptrIiEEEENSA_INSB_IbEEEEZNS1_13binary_searchIS3_S5_SD_SD_SF_NS1_16binary_search_opENS9_16wrapped_functionINS0_4lessIvEEbEEEE10hipError_tPvRmT1_T2_T3_mmT4_T5_P12ihipStream_tbEUlRKiE_EESM_SQ_SR_mSS_SV_bEUlT_E_NS1_11comp_targetILNS1_3genE10ELNS1_11target_archE1200ELNS1_3gpuE4ELNS1_3repE0EEENS1_30default_config_static_selectorELNS0_4arch9wavefront6targetE1EEEvSP_,@function
_ZN7rocprim17ROCPRIM_400000_NS6detail17trampoline_kernelINS0_14default_configENS1_29binary_search_config_selectorIibEEZNS1_14transform_implILb0ES3_S5_N6thrust23THRUST_200600_302600_NS6detail15normal_iteratorINS8_10device_ptrIiEEEENSA_INSB_IbEEEEZNS1_13binary_searchIS3_S5_SD_SD_SF_NS1_16binary_search_opENS9_16wrapped_functionINS0_4lessIvEEbEEEE10hipError_tPvRmT1_T2_T3_mmT4_T5_P12ihipStream_tbEUlRKiE_EESM_SQ_SR_mSS_SV_bEUlT_E_NS1_11comp_targetILNS1_3genE10ELNS1_11target_archE1200ELNS1_3gpuE4ELNS1_3repE0EEENS1_30default_config_static_selectorELNS0_4arch9wavefront6targetE1EEEvSP_: ; @_ZN7rocprim17ROCPRIM_400000_NS6detail17trampoline_kernelINS0_14default_configENS1_29binary_search_config_selectorIibEEZNS1_14transform_implILb0ES3_S5_N6thrust23THRUST_200600_302600_NS6detail15normal_iteratorINS8_10device_ptrIiEEEENSA_INSB_IbEEEEZNS1_13binary_searchIS3_S5_SD_SD_SF_NS1_16binary_search_opENS9_16wrapped_functionINS0_4lessIvEEbEEEE10hipError_tPvRmT1_T2_T3_mmT4_T5_P12ihipStream_tbEUlRKiE_EESM_SQ_SR_mSS_SV_bEUlT_E_NS1_11comp_targetILNS1_3genE10ELNS1_11target_archE1200ELNS1_3gpuE4ELNS1_3repE0EEENS1_30default_config_static_selectorELNS0_4arch9wavefront6targetE1EEEvSP_
; %bb.0:
	.section	.rodata,"a",@progbits
	.p2align	6, 0x0
	.amdhsa_kernel _ZN7rocprim17ROCPRIM_400000_NS6detail17trampoline_kernelINS0_14default_configENS1_29binary_search_config_selectorIibEEZNS1_14transform_implILb0ES3_S5_N6thrust23THRUST_200600_302600_NS6detail15normal_iteratorINS8_10device_ptrIiEEEENSA_INSB_IbEEEEZNS1_13binary_searchIS3_S5_SD_SD_SF_NS1_16binary_search_opENS9_16wrapped_functionINS0_4lessIvEEbEEEE10hipError_tPvRmT1_T2_T3_mmT4_T5_P12ihipStream_tbEUlRKiE_EESM_SQ_SR_mSS_SV_bEUlT_E_NS1_11comp_targetILNS1_3genE10ELNS1_11target_archE1200ELNS1_3gpuE4ELNS1_3repE0EEENS1_30default_config_static_selectorELNS0_4arch9wavefront6targetE1EEEvSP_
		.amdhsa_group_segment_fixed_size 0
		.amdhsa_private_segment_fixed_size 0
		.amdhsa_kernarg_size 56
		.amdhsa_user_sgpr_count 6
		.amdhsa_user_sgpr_private_segment_buffer 1
		.amdhsa_user_sgpr_dispatch_ptr 0
		.amdhsa_user_sgpr_queue_ptr 0
		.amdhsa_user_sgpr_kernarg_segment_ptr 1
		.amdhsa_user_sgpr_dispatch_id 0
		.amdhsa_user_sgpr_flat_scratch_init 0
		.amdhsa_user_sgpr_kernarg_preload_length 0
		.amdhsa_user_sgpr_kernarg_preload_offset 0
		.amdhsa_user_sgpr_private_segment_size 0
		.amdhsa_uses_dynamic_stack 0
		.amdhsa_system_sgpr_private_segment_wavefront_offset 0
		.amdhsa_system_sgpr_workgroup_id_x 1
		.amdhsa_system_sgpr_workgroup_id_y 0
		.amdhsa_system_sgpr_workgroup_id_z 0
		.amdhsa_system_sgpr_workgroup_info 0
		.amdhsa_system_vgpr_workitem_id 0
		.amdhsa_next_free_vgpr 1
		.amdhsa_next_free_sgpr 0
		.amdhsa_accum_offset 4
		.amdhsa_reserve_vcc 0
		.amdhsa_reserve_flat_scratch 0
		.amdhsa_float_round_mode_32 0
		.amdhsa_float_round_mode_16_64 0
		.amdhsa_float_denorm_mode_32 3
		.amdhsa_float_denorm_mode_16_64 3
		.amdhsa_dx10_clamp 1
		.amdhsa_ieee_mode 1
		.amdhsa_fp16_overflow 0
		.amdhsa_tg_split 0
		.amdhsa_exception_fp_ieee_invalid_op 0
		.amdhsa_exception_fp_denorm_src 0
		.amdhsa_exception_fp_ieee_div_zero 0
		.amdhsa_exception_fp_ieee_overflow 0
		.amdhsa_exception_fp_ieee_underflow 0
		.amdhsa_exception_fp_ieee_inexact 0
		.amdhsa_exception_int_div_zero 0
	.end_amdhsa_kernel
	.section	.text._ZN7rocprim17ROCPRIM_400000_NS6detail17trampoline_kernelINS0_14default_configENS1_29binary_search_config_selectorIibEEZNS1_14transform_implILb0ES3_S5_N6thrust23THRUST_200600_302600_NS6detail15normal_iteratorINS8_10device_ptrIiEEEENSA_INSB_IbEEEEZNS1_13binary_searchIS3_S5_SD_SD_SF_NS1_16binary_search_opENS9_16wrapped_functionINS0_4lessIvEEbEEEE10hipError_tPvRmT1_T2_T3_mmT4_T5_P12ihipStream_tbEUlRKiE_EESM_SQ_SR_mSS_SV_bEUlT_E_NS1_11comp_targetILNS1_3genE10ELNS1_11target_archE1200ELNS1_3gpuE4ELNS1_3repE0EEENS1_30default_config_static_selectorELNS0_4arch9wavefront6targetE1EEEvSP_,"axG",@progbits,_ZN7rocprim17ROCPRIM_400000_NS6detail17trampoline_kernelINS0_14default_configENS1_29binary_search_config_selectorIibEEZNS1_14transform_implILb0ES3_S5_N6thrust23THRUST_200600_302600_NS6detail15normal_iteratorINS8_10device_ptrIiEEEENSA_INSB_IbEEEEZNS1_13binary_searchIS3_S5_SD_SD_SF_NS1_16binary_search_opENS9_16wrapped_functionINS0_4lessIvEEbEEEE10hipError_tPvRmT1_T2_T3_mmT4_T5_P12ihipStream_tbEUlRKiE_EESM_SQ_SR_mSS_SV_bEUlT_E_NS1_11comp_targetILNS1_3genE10ELNS1_11target_archE1200ELNS1_3gpuE4ELNS1_3repE0EEENS1_30default_config_static_selectorELNS0_4arch9wavefront6targetE1EEEvSP_,comdat
.Lfunc_end516:
	.size	_ZN7rocprim17ROCPRIM_400000_NS6detail17trampoline_kernelINS0_14default_configENS1_29binary_search_config_selectorIibEEZNS1_14transform_implILb0ES3_S5_N6thrust23THRUST_200600_302600_NS6detail15normal_iteratorINS8_10device_ptrIiEEEENSA_INSB_IbEEEEZNS1_13binary_searchIS3_S5_SD_SD_SF_NS1_16binary_search_opENS9_16wrapped_functionINS0_4lessIvEEbEEEE10hipError_tPvRmT1_T2_T3_mmT4_T5_P12ihipStream_tbEUlRKiE_EESM_SQ_SR_mSS_SV_bEUlT_E_NS1_11comp_targetILNS1_3genE10ELNS1_11target_archE1200ELNS1_3gpuE4ELNS1_3repE0EEENS1_30default_config_static_selectorELNS0_4arch9wavefront6targetE1EEEvSP_, .Lfunc_end516-_ZN7rocprim17ROCPRIM_400000_NS6detail17trampoline_kernelINS0_14default_configENS1_29binary_search_config_selectorIibEEZNS1_14transform_implILb0ES3_S5_N6thrust23THRUST_200600_302600_NS6detail15normal_iteratorINS8_10device_ptrIiEEEENSA_INSB_IbEEEEZNS1_13binary_searchIS3_S5_SD_SD_SF_NS1_16binary_search_opENS9_16wrapped_functionINS0_4lessIvEEbEEEE10hipError_tPvRmT1_T2_T3_mmT4_T5_P12ihipStream_tbEUlRKiE_EESM_SQ_SR_mSS_SV_bEUlT_E_NS1_11comp_targetILNS1_3genE10ELNS1_11target_archE1200ELNS1_3gpuE4ELNS1_3repE0EEENS1_30default_config_static_selectorELNS0_4arch9wavefront6targetE1EEEvSP_
                                        ; -- End function
	.section	.AMDGPU.csdata,"",@progbits
; Kernel info:
; codeLenInByte = 0
; NumSgprs: 4
; NumVgprs: 0
; NumAgprs: 0
; TotalNumVgprs: 0
; ScratchSize: 0
; MemoryBound: 0
; FloatMode: 240
; IeeeMode: 1
; LDSByteSize: 0 bytes/workgroup (compile time only)
; SGPRBlocks: 0
; VGPRBlocks: 0
; NumSGPRsForWavesPerEU: 4
; NumVGPRsForWavesPerEU: 1
; AccumOffset: 4
; Occupancy: 8
; WaveLimiterHint : 0
; COMPUTE_PGM_RSRC2:SCRATCH_EN: 0
; COMPUTE_PGM_RSRC2:USER_SGPR: 6
; COMPUTE_PGM_RSRC2:TRAP_HANDLER: 0
; COMPUTE_PGM_RSRC2:TGID_X_EN: 1
; COMPUTE_PGM_RSRC2:TGID_Y_EN: 0
; COMPUTE_PGM_RSRC2:TGID_Z_EN: 0
; COMPUTE_PGM_RSRC2:TIDIG_COMP_CNT: 0
; COMPUTE_PGM_RSRC3_GFX90A:ACCUM_OFFSET: 0
; COMPUTE_PGM_RSRC3_GFX90A:TG_SPLIT: 0
	.section	.text._ZN7rocprim17ROCPRIM_400000_NS6detail17trampoline_kernelINS0_14default_configENS1_29binary_search_config_selectorIibEEZNS1_14transform_implILb0ES3_S5_N6thrust23THRUST_200600_302600_NS6detail15normal_iteratorINS8_10device_ptrIiEEEENSA_INSB_IbEEEEZNS1_13binary_searchIS3_S5_SD_SD_SF_NS1_16binary_search_opENS9_16wrapped_functionINS0_4lessIvEEbEEEE10hipError_tPvRmT1_T2_T3_mmT4_T5_P12ihipStream_tbEUlRKiE_EESM_SQ_SR_mSS_SV_bEUlT_E_NS1_11comp_targetILNS1_3genE9ELNS1_11target_archE1100ELNS1_3gpuE3ELNS1_3repE0EEENS1_30default_config_static_selectorELNS0_4arch9wavefront6targetE1EEEvSP_,"axG",@progbits,_ZN7rocprim17ROCPRIM_400000_NS6detail17trampoline_kernelINS0_14default_configENS1_29binary_search_config_selectorIibEEZNS1_14transform_implILb0ES3_S5_N6thrust23THRUST_200600_302600_NS6detail15normal_iteratorINS8_10device_ptrIiEEEENSA_INSB_IbEEEEZNS1_13binary_searchIS3_S5_SD_SD_SF_NS1_16binary_search_opENS9_16wrapped_functionINS0_4lessIvEEbEEEE10hipError_tPvRmT1_T2_T3_mmT4_T5_P12ihipStream_tbEUlRKiE_EESM_SQ_SR_mSS_SV_bEUlT_E_NS1_11comp_targetILNS1_3genE9ELNS1_11target_archE1100ELNS1_3gpuE3ELNS1_3repE0EEENS1_30default_config_static_selectorELNS0_4arch9wavefront6targetE1EEEvSP_,comdat
	.protected	_ZN7rocprim17ROCPRIM_400000_NS6detail17trampoline_kernelINS0_14default_configENS1_29binary_search_config_selectorIibEEZNS1_14transform_implILb0ES3_S5_N6thrust23THRUST_200600_302600_NS6detail15normal_iteratorINS8_10device_ptrIiEEEENSA_INSB_IbEEEEZNS1_13binary_searchIS3_S5_SD_SD_SF_NS1_16binary_search_opENS9_16wrapped_functionINS0_4lessIvEEbEEEE10hipError_tPvRmT1_T2_T3_mmT4_T5_P12ihipStream_tbEUlRKiE_EESM_SQ_SR_mSS_SV_bEUlT_E_NS1_11comp_targetILNS1_3genE9ELNS1_11target_archE1100ELNS1_3gpuE3ELNS1_3repE0EEENS1_30default_config_static_selectorELNS0_4arch9wavefront6targetE1EEEvSP_ ; -- Begin function _ZN7rocprim17ROCPRIM_400000_NS6detail17trampoline_kernelINS0_14default_configENS1_29binary_search_config_selectorIibEEZNS1_14transform_implILb0ES3_S5_N6thrust23THRUST_200600_302600_NS6detail15normal_iteratorINS8_10device_ptrIiEEEENSA_INSB_IbEEEEZNS1_13binary_searchIS3_S5_SD_SD_SF_NS1_16binary_search_opENS9_16wrapped_functionINS0_4lessIvEEbEEEE10hipError_tPvRmT1_T2_T3_mmT4_T5_P12ihipStream_tbEUlRKiE_EESM_SQ_SR_mSS_SV_bEUlT_E_NS1_11comp_targetILNS1_3genE9ELNS1_11target_archE1100ELNS1_3gpuE3ELNS1_3repE0EEENS1_30default_config_static_selectorELNS0_4arch9wavefront6targetE1EEEvSP_
	.globl	_ZN7rocprim17ROCPRIM_400000_NS6detail17trampoline_kernelINS0_14default_configENS1_29binary_search_config_selectorIibEEZNS1_14transform_implILb0ES3_S5_N6thrust23THRUST_200600_302600_NS6detail15normal_iteratorINS8_10device_ptrIiEEEENSA_INSB_IbEEEEZNS1_13binary_searchIS3_S5_SD_SD_SF_NS1_16binary_search_opENS9_16wrapped_functionINS0_4lessIvEEbEEEE10hipError_tPvRmT1_T2_T3_mmT4_T5_P12ihipStream_tbEUlRKiE_EESM_SQ_SR_mSS_SV_bEUlT_E_NS1_11comp_targetILNS1_3genE9ELNS1_11target_archE1100ELNS1_3gpuE3ELNS1_3repE0EEENS1_30default_config_static_selectorELNS0_4arch9wavefront6targetE1EEEvSP_
	.p2align	8
	.type	_ZN7rocprim17ROCPRIM_400000_NS6detail17trampoline_kernelINS0_14default_configENS1_29binary_search_config_selectorIibEEZNS1_14transform_implILb0ES3_S5_N6thrust23THRUST_200600_302600_NS6detail15normal_iteratorINS8_10device_ptrIiEEEENSA_INSB_IbEEEEZNS1_13binary_searchIS3_S5_SD_SD_SF_NS1_16binary_search_opENS9_16wrapped_functionINS0_4lessIvEEbEEEE10hipError_tPvRmT1_T2_T3_mmT4_T5_P12ihipStream_tbEUlRKiE_EESM_SQ_SR_mSS_SV_bEUlT_E_NS1_11comp_targetILNS1_3genE9ELNS1_11target_archE1100ELNS1_3gpuE3ELNS1_3repE0EEENS1_30default_config_static_selectorELNS0_4arch9wavefront6targetE1EEEvSP_,@function
_ZN7rocprim17ROCPRIM_400000_NS6detail17trampoline_kernelINS0_14default_configENS1_29binary_search_config_selectorIibEEZNS1_14transform_implILb0ES3_S5_N6thrust23THRUST_200600_302600_NS6detail15normal_iteratorINS8_10device_ptrIiEEEENSA_INSB_IbEEEEZNS1_13binary_searchIS3_S5_SD_SD_SF_NS1_16binary_search_opENS9_16wrapped_functionINS0_4lessIvEEbEEEE10hipError_tPvRmT1_T2_T3_mmT4_T5_P12ihipStream_tbEUlRKiE_EESM_SQ_SR_mSS_SV_bEUlT_E_NS1_11comp_targetILNS1_3genE9ELNS1_11target_archE1100ELNS1_3gpuE3ELNS1_3repE0EEENS1_30default_config_static_selectorELNS0_4arch9wavefront6targetE1EEEvSP_: ; @_ZN7rocprim17ROCPRIM_400000_NS6detail17trampoline_kernelINS0_14default_configENS1_29binary_search_config_selectorIibEEZNS1_14transform_implILb0ES3_S5_N6thrust23THRUST_200600_302600_NS6detail15normal_iteratorINS8_10device_ptrIiEEEENSA_INSB_IbEEEEZNS1_13binary_searchIS3_S5_SD_SD_SF_NS1_16binary_search_opENS9_16wrapped_functionINS0_4lessIvEEbEEEE10hipError_tPvRmT1_T2_T3_mmT4_T5_P12ihipStream_tbEUlRKiE_EESM_SQ_SR_mSS_SV_bEUlT_E_NS1_11comp_targetILNS1_3genE9ELNS1_11target_archE1100ELNS1_3gpuE3ELNS1_3repE0EEENS1_30default_config_static_selectorELNS0_4arch9wavefront6targetE1EEEvSP_
; %bb.0:
	.section	.rodata,"a",@progbits
	.p2align	6, 0x0
	.amdhsa_kernel _ZN7rocprim17ROCPRIM_400000_NS6detail17trampoline_kernelINS0_14default_configENS1_29binary_search_config_selectorIibEEZNS1_14transform_implILb0ES3_S5_N6thrust23THRUST_200600_302600_NS6detail15normal_iteratorINS8_10device_ptrIiEEEENSA_INSB_IbEEEEZNS1_13binary_searchIS3_S5_SD_SD_SF_NS1_16binary_search_opENS9_16wrapped_functionINS0_4lessIvEEbEEEE10hipError_tPvRmT1_T2_T3_mmT4_T5_P12ihipStream_tbEUlRKiE_EESM_SQ_SR_mSS_SV_bEUlT_E_NS1_11comp_targetILNS1_3genE9ELNS1_11target_archE1100ELNS1_3gpuE3ELNS1_3repE0EEENS1_30default_config_static_selectorELNS0_4arch9wavefront6targetE1EEEvSP_
		.amdhsa_group_segment_fixed_size 0
		.amdhsa_private_segment_fixed_size 0
		.amdhsa_kernarg_size 56
		.amdhsa_user_sgpr_count 6
		.amdhsa_user_sgpr_private_segment_buffer 1
		.amdhsa_user_sgpr_dispatch_ptr 0
		.amdhsa_user_sgpr_queue_ptr 0
		.amdhsa_user_sgpr_kernarg_segment_ptr 1
		.amdhsa_user_sgpr_dispatch_id 0
		.amdhsa_user_sgpr_flat_scratch_init 0
		.amdhsa_user_sgpr_kernarg_preload_length 0
		.amdhsa_user_sgpr_kernarg_preload_offset 0
		.amdhsa_user_sgpr_private_segment_size 0
		.amdhsa_uses_dynamic_stack 0
		.amdhsa_system_sgpr_private_segment_wavefront_offset 0
		.amdhsa_system_sgpr_workgroup_id_x 1
		.amdhsa_system_sgpr_workgroup_id_y 0
		.amdhsa_system_sgpr_workgroup_id_z 0
		.amdhsa_system_sgpr_workgroup_info 0
		.amdhsa_system_vgpr_workitem_id 0
		.amdhsa_next_free_vgpr 1
		.amdhsa_next_free_sgpr 0
		.amdhsa_accum_offset 4
		.amdhsa_reserve_vcc 0
		.amdhsa_reserve_flat_scratch 0
		.amdhsa_float_round_mode_32 0
		.amdhsa_float_round_mode_16_64 0
		.amdhsa_float_denorm_mode_32 3
		.amdhsa_float_denorm_mode_16_64 3
		.amdhsa_dx10_clamp 1
		.amdhsa_ieee_mode 1
		.amdhsa_fp16_overflow 0
		.amdhsa_tg_split 0
		.amdhsa_exception_fp_ieee_invalid_op 0
		.amdhsa_exception_fp_denorm_src 0
		.amdhsa_exception_fp_ieee_div_zero 0
		.amdhsa_exception_fp_ieee_overflow 0
		.amdhsa_exception_fp_ieee_underflow 0
		.amdhsa_exception_fp_ieee_inexact 0
		.amdhsa_exception_int_div_zero 0
	.end_amdhsa_kernel
	.section	.text._ZN7rocprim17ROCPRIM_400000_NS6detail17trampoline_kernelINS0_14default_configENS1_29binary_search_config_selectorIibEEZNS1_14transform_implILb0ES3_S5_N6thrust23THRUST_200600_302600_NS6detail15normal_iteratorINS8_10device_ptrIiEEEENSA_INSB_IbEEEEZNS1_13binary_searchIS3_S5_SD_SD_SF_NS1_16binary_search_opENS9_16wrapped_functionINS0_4lessIvEEbEEEE10hipError_tPvRmT1_T2_T3_mmT4_T5_P12ihipStream_tbEUlRKiE_EESM_SQ_SR_mSS_SV_bEUlT_E_NS1_11comp_targetILNS1_3genE9ELNS1_11target_archE1100ELNS1_3gpuE3ELNS1_3repE0EEENS1_30default_config_static_selectorELNS0_4arch9wavefront6targetE1EEEvSP_,"axG",@progbits,_ZN7rocprim17ROCPRIM_400000_NS6detail17trampoline_kernelINS0_14default_configENS1_29binary_search_config_selectorIibEEZNS1_14transform_implILb0ES3_S5_N6thrust23THRUST_200600_302600_NS6detail15normal_iteratorINS8_10device_ptrIiEEEENSA_INSB_IbEEEEZNS1_13binary_searchIS3_S5_SD_SD_SF_NS1_16binary_search_opENS9_16wrapped_functionINS0_4lessIvEEbEEEE10hipError_tPvRmT1_T2_T3_mmT4_T5_P12ihipStream_tbEUlRKiE_EESM_SQ_SR_mSS_SV_bEUlT_E_NS1_11comp_targetILNS1_3genE9ELNS1_11target_archE1100ELNS1_3gpuE3ELNS1_3repE0EEENS1_30default_config_static_selectorELNS0_4arch9wavefront6targetE1EEEvSP_,comdat
.Lfunc_end517:
	.size	_ZN7rocprim17ROCPRIM_400000_NS6detail17trampoline_kernelINS0_14default_configENS1_29binary_search_config_selectorIibEEZNS1_14transform_implILb0ES3_S5_N6thrust23THRUST_200600_302600_NS6detail15normal_iteratorINS8_10device_ptrIiEEEENSA_INSB_IbEEEEZNS1_13binary_searchIS3_S5_SD_SD_SF_NS1_16binary_search_opENS9_16wrapped_functionINS0_4lessIvEEbEEEE10hipError_tPvRmT1_T2_T3_mmT4_T5_P12ihipStream_tbEUlRKiE_EESM_SQ_SR_mSS_SV_bEUlT_E_NS1_11comp_targetILNS1_3genE9ELNS1_11target_archE1100ELNS1_3gpuE3ELNS1_3repE0EEENS1_30default_config_static_selectorELNS0_4arch9wavefront6targetE1EEEvSP_, .Lfunc_end517-_ZN7rocprim17ROCPRIM_400000_NS6detail17trampoline_kernelINS0_14default_configENS1_29binary_search_config_selectorIibEEZNS1_14transform_implILb0ES3_S5_N6thrust23THRUST_200600_302600_NS6detail15normal_iteratorINS8_10device_ptrIiEEEENSA_INSB_IbEEEEZNS1_13binary_searchIS3_S5_SD_SD_SF_NS1_16binary_search_opENS9_16wrapped_functionINS0_4lessIvEEbEEEE10hipError_tPvRmT1_T2_T3_mmT4_T5_P12ihipStream_tbEUlRKiE_EESM_SQ_SR_mSS_SV_bEUlT_E_NS1_11comp_targetILNS1_3genE9ELNS1_11target_archE1100ELNS1_3gpuE3ELNS1_3repE0EEENS1_30default_config_static_selectorELNS0_4arch9wavefront6targetE1EEEvSP_
                                        ; -- End function
	.section	.AMDGPU.csdata,"",@progbits
; Kernel info:
; codeLenInByte = 0
; NumSgprs: 4
; NumVgprs: 0
; NumAgprs: 0
; TotalNumVgprs: 0
; ScratchSize: 0
; MemoryBound: 0
; FloatMode: 240
; IeeeMode: 1
; LDSByteSize: 0 bytes/workgroup (compile time only)
; SGPRBlocks: 0
; VGPRBlocks: 0
; NumSGPRsForWavesPerEU: 4
; NumVGPRsForWavesPerEU: 1
; AccumOffset: 4
; Occupancy: 8
; WaveLimiterHint : 0
; COMPUTE_PGM_RSRC2:SCRATCH_EN: 0
; COMPUTE_PGM_RSRC2:USER_SGPR: 6
; COMPUTE_PGM_RSRC2:TRAP_HANDLER: 0
; COMPUTE_PGM_RSRC2:TGID_X_EN: 1
; COMPUTE_PGM_RSRC2:TGID_Y_EN: 0
; COMPUTE_PGM_RSRC2:TGID_Z_EN: 0
; COMPUTE_PGM_RSRC2:TIDIG_COMP_CNT: 0
; COMPUTE_PGM_RSRC3_GFX90A:ACCUM_OFFSET: 0
; COMPUTE_PGM_RSRC3_GFX90A:TG_SPLIT: 0
	.section	.text._ZN7rocprim17ROCPRIM_400000_NS6detail17trampoline_kernelINS0_14default_configENS1_29binary_search_config_selectorIibEEZNS1_14transform_implILb0ES3_S5_N6thrust23THRUST_200600_302600_NS6detail15normal_iteratorINS8_10device_ptrIiEEEENSA_INSB_IbEEEEZNS1_13binary_searchIS3_S5_SD_SD_SF_NS1_16binary_search_opENS9_16wrapped_functionINS0_4lessIvEEbEEEE10hipError_tPvRmT1_T2_T3_mmT4_T5_P12ihipStream_tbEUlRKiE_EESM_SQ_SR_mSS_SV_bEUlT_E_NS1_11comp_targetILNS1_3genE8ELNS1_11target_archE1030ELNS1_3gpuE2ELNS1_3repE0EEENS1_30default_config_static_selectorELNS0_4arch9wavefront6targetE1EEEvSP_,"axG",@progbits,_ZN7rocprim17ROCPRIM_400000_NS6detail17trampoline_kernelINS0_14default_configENS1_29binary_search_config_selectorIibEEZNS1_14transform_implILb0ES3_S5_N6thrust23THRUST_200600_302600_NS6detail15normal_iteratorINS8_10device_ptrIiEEEENSA_INSB_IbEEEEZNS1_13binary_searchIS3_S5_SD_SD_SF_NS1_16binary_search_opENS9_16wrapped_functionINS0_4lessIvEEbEEEE10hipError_tPvRmT1_T2_T3_mmT4_T5_P12ihipStream_tbEUlRKiE_EESM_SQ_SR_mSS_SV_bEUlT_E_NS1_11comp_targetILNS1_3genE8ELNS1_11target_archE1030ELNS1_3gpuE2ELNS1_3repE0EEENS1_30default_config_static_selectorELNS0_4arch9wavefront6targetE1EEEvSP_,comdat
	.protected	_ZN7rocprim17ROCPRIM_400000_NS6detail17trampoline_kernelINS0_14default_configENS1_29binary_search_config_selectorIibEEZNS1_14transform_implILb0ES3_S5_N6thrust23THRUST_200600_302600_NS6detail15normal_iteratorINS8_10device_ptrIiEEEENSA_INSB_IbEEEEZNS1_13binary_searchIS3_S5_SD_SD_SF_NS1_16binary_search_opENS9_16wrapped_functionINS0_4lessIvEEbEEEE10hipError_tPvRmT1_T2_T3_mmT4_T5_P12ihipStream_tbEUlRKiE_EESM_SQ_SR_mSS_SV_bEUlT_E_NS1_11comp_targetILNS1_3genE8ELNS1_11target_archE1030ELNS1_3gpuE2ELNS1_3repE0EEENS1_30default_config_static_selectorELNS0_4arch9wavefront6targetE1EEEvSP_ ; -- Begin function _ZN7rocprim17ROCPRIM_400000_NS6detail17trampoline_kernelINS0_14default_configENS1_29binary_search_config_selectorIibEEZNS1_14transform_implILb0ES3_S5_N6thrust23THRUST_200600_302600_NS6detail15normal_iteratorINS8_10device_ptrIiEEEENSA_INSB_IbEEEEZNS1_13binary_searchIS3_S5_SD_SD_SF_NS1_16binary_search_opENS9_16wrapped_functionINS0_4lessIvEEbEEEE10hipError_tPvRmT1_T2_T3_mmT4_T5_P12ihipStream_tbEUlRKiE_EESM_SQ_SR_mSS_SV_bEUlT_E_NS1_11comp_targetILNS1_3genE8ELNS1_11target_archE1030ELNS1_3gpuE2ELNS1_3repE0EEENS1_30default_config_static_selectorELNS0_4arch9wavefront6targetE1EEEvSP_
	.globl	_ZN7rocprim17ROCPRIM_400000_NS6detail17trampoline_kernelINS0_14default_configENS1_29binary_search_config_selectorIibEEZNS1_14transform_implILb0ES3_S5_N6thrust23THRUST_200600_302600_NS6detail15normal_iteratorINS8_10device_ptrIiEEEENSA_INSB_IbEEEEZNS1_13binary_searchIS3_S5_SD_SD_SF_NS1_16binary_search_opENS9_16wrapped_functionINS0_4lessIvEEbEEEE10hipError_tPvRmT1_T2_T3_mmT4_T5_P12ihipStream_tbEUlRKiE_EESM_SQ_SR_mSS_SV_bEUlT_E_NS1_11comp_targetILNS1_3genE8ELNS1_11target_archE1030ELNS1_3gpuE2ELNS1_3repE0EEENS1_30default_config_static_selectorELNS0_4arch9wavefront6targetE1EEEvSP_
	.p2align	8
	.type	_ZN7rocprim17ROCPRIM_400000_NS6detail17trampoline_kernelINS0_14default_configENS1_29binary_search_config_selectorIibEEZNS1_14transform_implILb0ES3_S5_N6thrust23THRUST_200600_302600_NS6detail15normal_iteratorINS8_10device_ptrIiEEEENSA_INSB_IbEEEEZNS1_13binary_searchIS3_S5_SD_SD_SF_NS1_16binary_search_opENS9_16wrapped_functionINS0_4lessIvEEbEEEE10hipError_tPvRmT1_T2_T3_mmT4_T5_P12ihipStream_tbEUlRKiE_EESM_SQ_SR_mSS_SV_bEUlT_E_NS1_11comp_targetILNS1_3genE8ELNS1_11target_archE1030ELNS1_3gpuE2ELNS1_3repE0EEENS1_30default_config_static_selectorELNS0_4arch9wavefront6targetE1EEEvSP_,@function
_ZN7rocprim17ROCPRIM_400000_NS6detail17trampoline_kernelINS0_14default_configENS1_29binary_search_config_selectorIibEEZNS1_14transform_implILb0ES3_S5_N6thrust23THRUST_200600_302600_NS6detail15normal_iteratorINS8_10device_ptrIiEEEENSA_INSB_IbEEEEZNS1_13binary_searchIS3_S5_SD_SD_SF_NS1_16binary_search_opENS9_16wrapped_functionINS0_4lessIvEEbEEEE10hipError_tPvRmT1_T2_T3_mmT4_T5_P12ihipStream_tbEUlRKiE_EESM_SQ_SR_mSS_SV_bEUlT_E_NS1_11comp_targetILNS1_3genE8ELNS1_11target_archE1030ELNS1_3gpuE2ELNS1_3repE0EEENS1_30default_config_static_selectorELNS0_4arch9wavefront6targetE1EEEvSP_: ; @_ZN7rocprim17ROCPRIM_400000_NS6detail17trampoline_kernelINS0_14default_configENS1_29binary_search_config_selectorIibEEZNS1_14transform_implILb0ES3_S5_N6thrust23THRUST_200600_302600_NS6detail15normal_iteratorINS8_10device_ptrIiEEEENSA_INSB_IbEEEEZNS1_13binary_searchIS3_S5_SD_SD_SF_NS1_16binary_search_opENS9_16wrapped_functionINS0_4lessIvEEbEEEE10hipError_tPvRmT1_T2_T3_mmT4_T5_P12ihipStream_tbEUlRKiE_EESM_SQ_SR_mSS_SV_bEUlT_E_NS1_11comp_targetILNS1_3genE8ELNS1_11target_archE1030ELNS1_3gpuE2ELNS1_3repE0EEENS1_30default_config_static_selectorELNS0_4arch9wavefront6targetE1EEEvSP_
; %bb.0:
	.section	.rodata,"a",@progbits
	.p2align	6, 0x0
	.amdhsa_kernel _ZN7rocprim17ROCPRIM_400000_NS6detail17trampoline_kernelINS0_14default_configENS1_29binary_search_config_selectorIibEEZNS1_14transform_implILb0ES3_S5_N6thrust23THRUST_200600_302600_NS6detail15normal_iteratorINS8_10device_ptrIiEEEENSA_INSB_IbEEEEZNS1_13binary_searchIS3_S5_SD_SD_SF_NS1_16binary_search_opENS9_16wrapped_functionINS0_4lessIvEEbEEEE10hipError_tPvRmT1_T2_T3_mmT4_T5_P12ihipStream_tbEUlRKiE_EESM_SQ_SR_mSS_SV_bEUlT_E_NS1_11comp_targetILNS1_3genE8ELNS1_11target_archE1030ELNS1_3gpuE2ELNS1_3repE0EEENS1_30default_config_static_selectorELNS0_4arch9wavefront6targetE1EEEvSP_
		.amdhsa_group_segment_fixed_size 0
		.amdhsa_private_segment_fixed_size 0
		.amdhsa_kernarg_size 56
		.amdhsa_user_sgpr_count 6
		.amdhsa_user_sgpr_private_segment_buffer 1
		.amdhsa_user_sgpr_dispatch_ptr 0
		.amdhsa_user_sgpr_queue_ptr 0
		.amdhsa_user_sgpr_kernarg_segment_ptr 1
		.amdhsa_user_sgpr_dispatch_id 0
		.amdhsa_user_sgpr_flat_scratch_init 0
		.amdhsa_user_sgpr_kernarg_preload_length 0
		.amdhsa_user_sgpr_kernarg_preload_offset 0
		.amdhsa_user_sgpr_private_segment_size 0
		.amdhsa_uses_dynamic_stack 0
		.amdhsa_system_sgpr_private_segment_wavefront_offset 0
		.amdhsa_system_sgpr_workgroup_id_x 1
		.amdhsa_system_sgpr_workgroup_id_y 0
		.amdhsa_system_sgpr_workgroup_id_z 0
		.amdhsa_system_sgpr_workgroup_info 0
		.amdhsa_system_vgpr_workitem_id 0
		.amdhsa_next_free_vgpr 1
		.amdhsa_next_free_sgpr 0
		.amdhsa_accum_offset 4
		.amdhsa_reserve_vcc 0
		.amdhsa_reserve_flat_scratch 0
		.amdhsa_float_round_mode_32 0
		.amdhsa_float_round_mode_16_64 0
		.amdhsa_float_denorm_mode_32 3
		.amdhsa_float_denorm_mode_16_64 3
		.amdhsa_dx10_clamp 1
		.amdhsa_ieee_mode 1
		.amdhsa_fp16_overflow 0
		.amdhsa_tg_split 0
		.amdhsa_exception_fp_ieee_invalid_op 0
		.amdhsa_exception_fp_denorm_src 0
		.amdhsa_exception_fp_ieee_div_zero 0
		.amdhsa_exception_fp_ieee_overflow 0
		.amdhsa_exception_fp_ieee_underflow 0
		.amdhsa_exception_fp_ieee_inexact 0
		.amdhsa_exception_int_div_zero 0
	.end_amdhsa_kernel
	.section	.text._ZN7rocprim17ROCPRIM_400000_NS6detail17trampoline_kernelINS0_14default_configENS1_29binary_search_config_selectorIibEEZNS1_14transform_implILb0ES3_S5_N6thrust23THRUST_200600_302600_NS6detail15normal_iteratorINS8_10device_ptrIiEEEENSA_INSB_IbEEEEZNS1_13binary_searchIS3_S5_SD_SD_SF_NS1_16binary_search_opENS9_16wrapped_functionINS0_4lessIvEEbEEEE10hipError_tPvRmT1_T2_T3_mmT4_T5_P12ihipStream_tbEUlRKiE_EESM_SQ_SR_mSS_SV_bEUlT_E_NS1_11comp_targetILNS1_3genE8ELNS1_11target_archE1030ELNS1_3gpuE2ELNS1_3repE0EEENS1_30default_config_static_selectorELNS0_4arch9wavefront6targetE1EEEvSP_,"axG",@progbits,_ZN7rocprim17ROCPRIM_400000_NS6detail17trampoline_kernelINS0_14default_configENS1_29binary_search_config_selectorIibEEZNS1_14transform_implILb0ES3_S5_N6thrust23THRUST_200600_302600_NS6detail15normal_iteratorINS8_10device_ptrIiEEEENSA_INSB_IbEEEEZNS1_13binary_searchIS3_S5_SD_SD_SF_NS1_16binary_search_opENS9_16wrapped_functionINS0_4lessIvEEbEEEE10hipError_tPvRmT1_T2_T3_mmT4_T5_P12ihipStream_tbEUlRKiE_EESM_SQ_SR_mSS_SV_bEUlT_E_NS1_11comp_targetILNS1_3genE8ELNS1_11target_archE1030ELNS1_3gpuE2ELNS1_3repE0EEENS1_30default_config_static_selectorELNS0_4arch9wavefront6targetE1EEEvSP_,comdat
.Lfunc_end518:
	.size	_ZN7rocprim17ROCPRIM_400000_NS6detail17trampoline_kernelINS0_14default_configENS1_29binary_search_config_selectorIibEEZNS1_14transform_implILb0ES3_S5_N6thrust23THRUST_200600_302600_NS6detail15normal_iteratorINS8_10device_ptrIiEEEENSA_INSB_IbEEEEZNS1_13binary_searchIS3_S5_SD_SD_SF_NS1_16binary_search_opENS9_16wrapped_functionINS0_4lessIvEEbEEEE10hipError_tPvRmT1_T2_T3_mmT4_T5_P12ihipStream_tbEUlRKiE_EESM_SQ_SR_mSS_SV_bEUlT_E_NS1_11comp_targetILNS1_3genE8ELNS1_11target_archE1030ELNS1_3gpuE2ELNS1_3repE0EEENS1_30default_config_static_selectorELNS0_4arch9wavefront6targetE1EEEvSP_, .Lfunc_end518-_ZN7rocprim17ROCPRIM_400000_NS6detail17trampoline_kernelINS0_14default_configENS1_29binary_search_config_selectorIibEEZNS1_14transform_implILb0ES3_S5_N6thrust23THRUST_200600_302600_NS6detail15normal_iteratorINS8_10device_ptrIiEEEENSA_INSB_IbEEEEZNS1_13binary_searchIS3_S5_SD_SD_SF_NS1_16binary_search_opENS9_16wrapped_functionINS0_4lessIvEEbEEEE10hipError_tPvRmT1_T2_T3_mmT4_T5_P12ihipStream_tbEUlRKiE_EESM_SQ_SR_mSS_SV_bEUlT_E_NS1_11comp_targetILNS1_3genE8ELNS1_11target_archE1030ELNS1_3gpuE2ELNS1_3repE0EEENS1_30default_config_static_selectorELNS0_4arch9wavefront6targetE1EEEvSP_
                                        ; -- End function
	.section	.AMDGPU.csdata,"",@progbits
; Kernel info:
; codeLenInByte = 0
; NumSgprs: 4
; NumVgprs: 0
; NumAgprs: 0
; TotalNumVgprs: 0
; ScratchSize: 0
; MemoryBound: 0
; FloatMode: 240
; IeeeMode: 1
; LDSByteSize: 0 bytes/workgroup (compile time only)
; SGPRBlocks: 0
; VGPRBlocks: 0
; NumSGPRsForWavesPerEU: 4
; NumVGPRsForWavesPerEU: 1
; AccumOffset: 4
; Occupancy: 8
; WaveLimiterHint : 0
; COMPUTE_PGM_RSRC2:SCRATCH_EN: 0
; COMPUTE_PGM_RSRC2:USER_SGPR: 6
; COMPUTE_PGM_RSRC2:TRAP_HANDLER: 0
; COMPUTE_PGM_RSRC2:TGID_X_EN: 1
; COMPUTE_PGM_RSRC2:TGID_Y_EN: 0
; COMPUTE_PGM_RSRC2:TGID_Z_EN: 0
; COMPUTE_PGM_RSRC2:TIDIG_COMP_CNT: 0
; COMPUTE_PGM_RSRC3_GFX90A:ACCUM_OFFSET: 0
; COMPUTE_PGM_RSRC3_GFX90A:TG_SPLIT: 0
	.section	.text._ZN7rocprim17ROCPRIM_400000_NS6detail17trampoline_kernelINS0_14default_configENS1_29binary_search_config_selectorIiiEEZNS1_14transform_implILb0ES3_S5_N6thrust23THRUST_200600_302600_NS6detail15normal_iteratorINS8_10device_ptrIiEEEESD_ZNS1_13binary_searchIS3_S5_SD_SD_SD_NS1_16binary_search_opENS9_16wrapped_functionINS0_4lessIvEEbEEEE10hipError_tPvRmT1_T2_T3_mmT4_T5_P12ihipStream_tbEUlRKiE_EESK_SO_SP_mSQ_ST_bEUlT_E_NS1_11comp_targetILNS1_3genE0ELNS1_11target_archE4294967295ELNS1_3gpuE0ELNS1_3repE0EEENS1_30default_config_static_selectorELNS0_4arch9wavefront6targetE1EEEvSN_,"axG",@progbits,_ZN7rocprim17ROCPRIM_400000_NS6detail17trampoline_kernelINS0_14default_configENS1_29binary_search_config_selectorIiiEEZNS1_14transform_implILb0ES3_S5_N6thrust23THRUST_200600_302600_NS6detail15normal_iteratorINS8_10device_ptrIiEEEESD_ZNS1_13binary_searchIS3_S5_SD_SD_SD_NS1_16binary_search_opENS9_16wrapped_functionINS0_4lessIvEEbEEEE10hipError_tPvRmT1_T2_T3_mmT4_T5_P12ihipStream_tbEUlRKiE_EESK_SO_SP_mSQ_ST_bEUlT_E_NS1_11comp_targetILNS1_3genE0ELNS1_11target_archE4294967295ELNS1_3gpuE0ELNS1_3repE0EEENS1_30default_config_static_selectorELNS0_4arch9wavefront6targetE1EEEvSN_,comdat
	.protected	_ZN7rocprim17ROCPRIM_400000_NS6detail17trampoline_kernelINS0_14default_configENS1_29binary_search_config_selectorIiiEEZNS1_14transform_implILb0ES3_S5_N6thrust23THRUST_200600_302600_NS6detail15normal_iteratorINS8_10device_ptrIiEEEESD_ZNS1_13binary_searchIS3_S5_SD_SD_SD_NS1_16binary_search_opENS9_16wrapped_functionINS0_4lessIvEEbEEEE10hipError_tPvRmT1_T2_T3_mmT4_T5_P12ihipStream_tbEUlRKiE_EESK_SO_SP_mSQ_ST_bEUlT_E_NS1_11comp_targetILNS1_3genE0ELNS1_11target_archE4294967295ELNS1_3gpuE0ELNS1_3repE0EEENS1_30default_config_static_selectorELNS0_4arch9wavefront6targetE1EEEvSN_ ; -- Begin function _ZN7rocprim17ROCPRIM_400000_NS6detail17trampoline_kernelINS0_14default_configENS1_29binary_search_config_selectorIiiEEZNS1_14transform_implILb0ES3_S5_N6thrust23THRUST_200600_302600_NS6detail15normal_iteratorINS8_10device_ptrIiEEEESD_ZNS1_13binary_searchIS3_S5_SD_SD_SD_NS1_16binary_search_opENS9_16wrapped_functionINS0_4lessIvEEbEEEE10hipError_tPvRmT1_T2_T3_mmT4_T5_P12ihipStream_tbEUlRKiE_EESK_SO_SP_mSQ_ST_bEUlT_E_NS1_11comp_targetILNS1_3genE0ELNS1_11target_archE4294967295ELNS1_3gpuE0ELNS1_3repE0EEENS1_30default_config_static_selectorELNS0_4arch9wavefront6targetE1EEEvSN_
	.globl	_ZN7rocprim17ROCPRIM_400000_NS6detail17trampoline_kernelINS0_14default_configENS1_29binary_search_config_selectorIiiEEZNS1_14transform_implILb0ES3_S5_N6thrust23THRUST_200600_302600_NS6detail15normal_iteratorINS8_10device_ptrIiEEEESD_ZNS1_13binary_searchIS3_S5_SD_SD_SD_NS1_16binary_search_opENS9_16wrapped_functionINS0_4lessIvEEbEEEE10hipError_tPvRmT1_T2_T3_mmT4_T5_P12ihipStream_tbEUlRKiE_EESK_SO_SP_mSQ_ST_bEUlT_E_NS1_11comp_targetILNS1_3genE0ELNS1_11target_archE4294967295ELNS1_3gpuE0ELNS1_3repE0EEENS1_30default_config_static_selectorELNS0_4arch9wavefront6targetE1EEEvSN_
	.p2align	8
	.type	_ZN7rocprim17ROCPRIM_400000_NS6detail17trampoline_kernelINS0_14default_configENS1_29binary_search_config_selectorIiiEEZNS1_14transform_implILb0ES3_S5_N6thrust23THRUST_200600_302600_NS6detail15normal_iteratorINS8_10device_ptrIiEEEESD_ZNS1_13binary_searchIS3_S5_SD_SD_SD_NS1_16binary_search_opENS9_16wrapped_functionINS0_4lessIvEEbEEEE10hipError_tPvRmT1_T2_T3_mmT4_T5_P12ihipStream_tbEUlRKiE_EESK_SO_SP_mSQ_ST_bEUlT_E_NS1_11comp_targetILNS1_3genE0ELNS1_11target_archE4294967295ELNS1_3gpuE0ELNS1_3repE0EEENS1_30default_config_static_selectorELNS0_4arch9wavefront6targetE1EEEvSN_,@function
_ZN7rocprim17ROCPRIM_400000_NS6detail17trampoline_kernelINS0_14default_configENS1_29binary_search_config_selectorIiiEEZNS1_14transform_implILb0ES3_S5_N6thrust23THRUST_200600_302600_NS6detail15normal_iteratorINS8_10device_ptrIiEEEESD_ZNS1_13binary_searchIS3_S5_SD_SD_SD_NS1_16binary_search_opENS9_16wrapped_functionINS0_4lessIvEEbEEEE10hipError_tPvRmT1_T2_T3_mmT4_T5_P12ihipStream_tbEUlRKiE_EESK_SO_SP_mSQ_ST_bEUlT_E_NS1_11comp_targetILNS1_3genE0ELNS1_11target_archE4294967295ELNS1_3gpuE0ELNS1_3repE0EEENS1_30default_config_static_selectorELNS0_4arch9wavefront6targetE1EEEvSN_: ; @_ZN7rocprim17ROCPRIM_400000_NS6detail17trampoline_kernelINS0_14default_configENS1_29binary_search_config_selectorIiiEEZNS1_14transform_implILb0ES3_S5_N6thrust23THRUST_200600_302600_NS6detail15normal_iteratorINS8_10device_ptrIiEEEESD_ZNS1_13binary_searchIS3_S5_SD_SD_SD_NS1_16binary_search_opENS9_16wrapped_functionINS0_4lessIvEEbEEEE10hipError_tPvRmT1_T2_T3_mmT4_T5_P12ihipStream_tbEUlRKiE_EESK_SO_SP_mSQ_ST_bEUlT_E_NS1_11comp_targetILNS1_3genE0ELNS1_11target_archE4294967295ELNS1_3gpuE0ELNS1_3repE0EEENS1_30default_config_static_selectorELNS0_4arch9wavefront6targetE1EEEvSN_
; %bb.0:
	.section	.rodata,"a",@progbits
	.p2align	6, 0x0
	.amdhsa_kernel _ZN7rocprim17ROCPRIM_400000_NS6detail17trampoline_kernelINS0_14default_configENS1_29binary_search_config_selectorIiiEEZNS1_14transform_implILb0ES3_S5_N6thrust23THRUST_200600_302600_NS6detail15normal_iteratorINS8_10device_ptrIiEEEESD_ZNS1_13binary_searchIS3_S5_SD_SD_SD_NS1_16binary_search_opENS9_16wrapped_functionINS0_4lessIvEEbEEEE10hipError_tPvRmT1_T2_T3_mmT4_T5_P12ihipStream_tbEUlRKiE_EESK_SO_SP_mSQ_ST_bEUlT_E_NS1_11comp_targetILNS1_3genE0ELNS1_11target_archE4294967295ELNS1_3gpuE0ELNS1_3repE0EEENS1_30default_config_static_selectorELNS0_4arch9wavefront6targetE1EEEvSN_
		.amdhsa_group_segment_fixed_size 0
		.amdhsa_private_segment_fixed_size 0
		.amdhsa_kernarg_size 56
		.amdhsa_user_sgpr_count 6
		.amdhsa_user_sgpr_private_segment_buffer 1
		.amdhsa_user_sgpr_dispatch_ptr 0
		.amdhsa_user_sgpr_queue_ptr 0
		.amdhsa_user_sgpr_kernarg_segment_ptr 1
		.amdhsa_user_sgpr_dispatch_id 0
		.amdhsa_user_sgpr_flat_scratch_init 0
		.amdhsa_user_sgpr_kernarg_preload_length 0
		.amdhsa_user_sgpr_kernarg_preload_offset 0
		.amdhsa_user_sgpr_private_segment_size 0
		.amdhsa_uses_dynamic_stack 0
		.amdhsa_system_sgpr_private_segment_wavefront_offset 0
		.amdhsa_system_sgpr_workgroup_id_x 1
		.amdhsa_system_sgpr_workgroup_id_y 0
		.amdhsa_system_sgpr_workgroup_id_z 0
		.amdhsa_system_sgpr_workgroup_info 0
		.amdhsa_system_vgpr_workitem_id 0
		.amdhsa_next_free_vgpr 1
		.amdhsa_next_free_sgpr 0
		.amdhsa_accum_offset 4
		.amdhsa_reserve_vcc 0
		.amdhsa_reserve_flat_scratch 0
		.amdhsa_float_round_mode_32 0
		.amdhsa_float_round_mode_16_64 0
		.amdhsa_float_denorm_mode_32 3
		.amdhsa_float_denorm_mode_16_64 3
		.amdhsa_dx10_clamp 1
		.amdhsa_ieee_mode 1
		.amdhsa_fp16_overflow 0
		.amdhsa_tg_split 0
		.amdhsa_exception_fp_ieee_invalid_op 0
		.amdhsa_exception_fp_denorm_src 0
		.amdhsa_exception_fp_ieee_div_zero 0
		.amdhsa_exception_fp_ieee_overflow 0
		.amdhsa_exception_fp_ieee_underflow 0
		.amdhsa_exception_fp_ieee_inexact 0
		.amdhsa_exception_int_div_zero 0
	.end_amdhsa_kernel
	.section	.text._ZN7rocprim17ROCPRIM_400000_NS6detail17trampoline_kernelINS0_14default_configENS1_29binary_search_config_selectorIiiEEZNS1_14transform_implILb0ES3_S5_N6thrust23THRUST_200600_302600_NS6detail15normal_iteratorINS8_10device_ptrIiEEEESD_ZNS1_13binary_searchIS3_S5_SD_SD_SD_NS1_16binary_search_opENS9_16wrapped_functionINS0_4lessIvEEbEEEE10hipError_tPvRmT1_T2_T3_mmT4_T5_P12ihipStream_tbEUlRKiE_EESK_SO_SP_mSQ_ST_bEUlT_E_NS1_11comp_targetILNS1_3genE0ELNS1_11target_archE4294967295ELNS1_3gpuE0ELNS1_3repE0EEENS1_30default_config_static_selectorELNS0_4arch9wavefront6targetE1EEEvSN_,"axG",@progbits,_ZN7rocprim17ROCPRIM_400000_NS6detail17trampoline_kernelINS0_14default_configENS1_29binary_search_config_selectorIiiEEZNS1_14transform_implILb0ES3_S5_N6thrust23THRUST_200600_302600_NS6detail15normal_iteratorINS8_10device_ptrIiEEEESD_ZNS1_13binary_searchIS3_S5_SD_SD_SD_NS1_16binary_search_opENS9_16wrapped_functionINS0_4lessIvEEbEEEE10hipError_tPvRmT1_T2_T3_mmT4_T5_P12ihipStream_tbEUlRKiE_EESK_SO_SP_mSQ_ST_bEUlT_E_NS1_11comp_targetILNS1_3genE0ELNS1_11target_archE4294967295ELNS1_3gpuE0ELNS1_3repE0EEENS1_30default_config_static_selectorELNS0_4arch9wavefront6targetE1EEEvSN_,comdat
.Lfunc_end519:
	.size	_ZN7rocprim17ROCPRIM_400000_NS6detail17trampoline_kernelINS0_14default_configENS1_29binary_search_config_selectorIiiEEZNS1_14transform_implILb0ES3_S5_N6thrust23THRUST_200600_302600_NS6detail15normal_iteratorINS8_10device_ptrIiEEEESD_ZNS1_13binary_searchIS3_S5_SD_SD_SD_NS1_16binary_search_opENS9_16wrapped_functionINS0_4lessIvEEbEEEE10hipError_tPvRmT1_T2_T3_mmT4_T5_P12ihipStream_tbEUlRKiE_EESK_SO_SP_mSQ_ST_bEUlT_E_NS1_11comp_targetILNS1_3genE0ELNS1_11target_archE4294967295ELNS1_3gpuE0ELNS1_3repE0EEENS1_30default_config_static_selectorELNS0_4arch9wavefront6targetE1EEEvSN_, .Lfunc_end519-_ZN7rocprim17ROCPRIM_400000_NS6detail17trampoline_kernelINS0_14default_configENS1_29binary_search_config_selectorIiiEEZNS1_14transform_implILb0ES3_S5_N6thrust23THRUST_200600_302600_NS6detail15normal_iteratorINS8_10device_ptrIiEEEESD_ZNS1_13binary_searchIS3_S5_SD_SD_SD_NS1_16binary_search_opENS9_16wrapped_functionINS0_4lessIvEEbEEEE10hipError_tPvRmT1_T2_T3_mmT4_T5_P12ihipStream_tbEUlRKiE_EESK_SO_SP_mSQ_ST_bEUlT_E_NS1_11comp_targetILNS1_3genE0ELNS1_11target_archE4294967295ELNS1_3gpuE0ELNS1_3repE0EEENS1_30default_config_static_selectorELNS0_4arch9wavefront6targetE1EEEvSN_
                                        ; -- End function
	.section	.AMDGPU.csdata,"",@progbits
; Kernel info:
; codeLenInByte = 0
; NumSgprs: 4
; NumVgprs: 0
; NumAgprs: 0
; TotalNumVgprs: 0
; ScratchSize: 0
; MemoryBound: 0
; FloatMode: 240
; IeeeMode: 1
; LDSByteSize: 0 bytes/workgroup (compile time only)
; SGPRBlocks: 0
; VGPRBlocks: 0
; NumSGPRsForWavesPerEU: 4
; NumVGPRsForWavesPerEU: 1
; AccumOffset: 4
; Occupancy: 8
; WaveLimiterHint : 0
; COMPUTE_PGM_RSRC2:SCRATCH_EN: 0
; COMPUTE_PGM_RSRC2:USER_SGPR: 6
; COMPUTE_PGM_RSRC2:TRAP_HANDLER: 0
; COMPUTE_PGM_RSRC2:TGID_X_EN: 1
; COMPUTE_PGM_RSRC2:TGID_Y_EN: 0
; COMPUTE_PGM_RSRC2:TGID_Z_EN: 0
; COMPUTE_PGM_RSRC2:TIDIG_COMP_CNT: 0
; COMPUTE_PGM_RSRC3_GFX90A:ACCUM_OFFSET: 0
; COMPUTE_PGM_RSRC3_GFX90A:TG_SPLIT: 0
	.section	.text._ZN7rocprim17ROCPRIM_400000_NS6detail17trampoline_kernelINS0_14default_configENS1_29binary_search_config_selectorIiiEEZNS1_14transform_implILb0ES3_S5_N6thrust23THRUST_200600_302600_NS6detail15normal_iteratorINS8_10device_ptrIiEEEESD_ZNS1_13binary_searchIS3_S5_SD_SD_SD_NS1_16binary_search_opENS9_16wrapped_functionINS0_4lessIvEEbEEEE10hipError_tPvRmT1_T2_T3_mmT4_T5_P12ihipStream_tbEUlRKiE_EESK_SO_SP_mSQ_ST_bEUlT_E_NS1_11comp_targetILNS1_3genE5ELNS1_11target_archE942ELNS1_3gpuE9ELNS1_3repE0EEENS1_30default_config_static_selectorELNS0_4arch9wavefront6targetE1EEEvSN_,"axG",@progbits,_ZN7rocprim17ROCPRIM_400000_NS6detail17trampoline_kernelINS0_14default_configENS1_29binary_search_config_selectorIiiEEZNS1_14transform_implILb0ES3_S5_N6thrust23THRUST_200600_302600_NS6detail15normal_iteratorINS8_10device_ptrIiEEEESD_ZNS1_13binary_searchIS3_S5_SD_SD_SD_NS1_16binary_search_opENS9_16wrapped_functionINS0_4lessIvEEbEEEE10hipError_tPvRmT1_T2_T3_mmT4_T5_P12ihipStream_tbEUlRKiE_EESK_SO_SP_mSQ_ST_bEUlT_E_NS1_11comp_targetILNS1_3genE5ELNS1_11target_archE942ELNS1_3gpuE9ELNS1_3repE0EEENS1_30default_config_static_selectorELNS0_4arch9wavefront6targetE1EEEvSN_,comdat
	.protected	_ZN7rocprim17ROCPRIM_400000_NS6detail17trampoline_kernelINS0_14default_configENS1_29binary_search_config_selectorIiiEEZNS1_14transform_implILb0ES3_S5_N6thrust23THRUST_200600_302600_NS6detail15normal_iteratorINS8_10device_ptrIiEEEESD_ZNS1_13binary_searchIS3_S5_SD_SD_SD_NS1_16binary_search_opENS9_16wrapped_functionINS0_4lessIvEEbEEEE10hipError_tPvRmT1_T2_T3_mmT4_T5_P12ihipStream_tbEUlRKiE_EESK_SO_SP_mSQ_ST_bEUlT_E_NS1_11comp_targetILNS1_3genE5ELNS1_11target_archE942ELNS1_3gpuE9ELNS1_3repE0EEENS1_30default_config_static_selectorELNS0_4arch9wavefront6targetE1EEEvSN_ ; -- Begin function _ZN7rocprim17ROCPRIM_400000_NS6detail17trampoline_kernelINS0_14default_configENS1_29binary_search_config_selectorIiiEEZNS1_14transform_implILb0ES3_S5_N6thrust23THRUST_200600_302600_NS6detail15normal_iteratorINS8_10device_ptrIiEEEESD_ZNS1_13binary_searchIS3_S5_SD_SD_SD_NS1_16binary_search_opENS9_16wrapped_functionINS0_4lessIvEEbEEEE10hipError_tPvRmT1_T2_T3_mmT4_T5_P12ihipStream_tbEUlRKiE_EESK_SO_SP_mSQ_ST_bEUlT_E_NS1_11comp_targetILNS1_3genE5ELNS1_11target_archE942ELNS1_3gpuE9ELNS1_3repE0EEENS1_30default_config_static_selectorELNS0_4arch9wavefront6targetE1EEEvSN_
	.globl	_ZN7rocprim17ROCPRIM_400000_NS6detail17trampoline_kernelINS0_14default_configENS1_29binary_search_config_selectorIiiEEZNS1_14transform_implILb0ES3_S5_N6thrust23THRUST_200600_302600_NS6detail15normal_iteratorINS8_10device_ptrIiEEEESD_ZNS1_13binary_searchIS3_S5_SD_SD_SD_NS1_16binary_search_opENS9_16wrapped_functionINS0_4lessIvEEbEEEE10hipError_tPvRmT1_T2_T3_mmT4_T5_P12ihipStream_tbEUlRKiE_EESK_SO_SP_mSQ_ST_bEUlT_E_NS1_11comp_targetILNS1_3genE5ELNS1_11target_archE942ELNS1_3gpuE9ELNS1_3repE0EEENS1_30default_config_static_selectorELNS0_4arch9wavefront6targetE1EEEvSN_
	.p2align	8
	.type	_ZN7rocprim17ROCPRIM_400000_NS6detail17trampoline_kernelINS0_14default_configENS1_29binary_search_config_selectorIiiEEZNS1_14transform_implILb0ES3_S5_N6thrust23THRUST_200600_302600_NS6detail15normal_iteratorINS8_10device_ptrIiEEEESD_ZNS1_13binary_searchIS3_S5_SD_SD_SD_NS1_16binary_search_opENS9_16wrapped_functionINS0_4lessIvEEbEEEE10hipError_tPvRmT1_T2_T3_mmT4_T5_P12ihipStream_tbEUlRKiE_EESK_SO_SP_mSQ_ST_bEUlT_E_NS1_11comp_targetILNS1_3genE5ELNS1_11target_archE942ELNS1_3gpuE9ELNS1_3repE0EEENS1_30default_config_static_selectorELNS0_4arch9wavefront6targetE1EEEvSN_,@function
_ZN7rocprim17ROCPRIM_400000_NS6detail17trampoline_kernelINS0_14default_configENS1_29binary_search_config_selectorIiiEEZNS1_14transform_implILb0ES3_S5_N6thrust23THRUST_200600_302600_NS6detail15normal_iteratorINS8_10device_ptrIiEEEESD_ZNS1_13binary_searchIS3_S5_SD_SD_SD_NS1_16binary_search_opENS9_16wrapped_functionINS0_4lessIvEEbEEEE10hipError_tPvRmT1_T2_T3_mmT4_T5_P12ihipStream_tbEUlRKiE_EESK_SO_SP_mSQ_ST_bEUlT_E_NS1_11comp_targetILNS1_3genE5ELNS1_11target_archE942ELNS1_3gpuE9ELNS1_3repE0EEENS1_30default_config_static_selectorELNS0_4arch9wavefront6targetE1EEEvSN_: ; @_ZN7rocprim17ROCPRIM_400000_NS6detail17trampoline_kernelINS0_14default_configENS1_29binary_search_config_selectorIiiEEZNS1_14transform_implILb0ES3_S5_N6thrust23THRUST_200600_302600_NS6detail15normal_iteratorINS8_10device_ptrIiEEEESD_ZNS1_13binary_searchIS3_S5_SD_SD_SD_NS1_16binary_search_opENS9_16wrapped_functionINS0_4lessIvEEbEEEE10hipError_tPvRmT1_T2_T3_mmT4_T5_P12ihipStream_tbEUlRKiE_EESK_SO_SP_mSQ_ST_bEUlT_E_NS1_11comp_targetILNS1_3genE5ELNS1_11target_archE942ELNS1_3gpuE9ELNS1_3repE0EEENS1_30default_config_static_selectorELNS0_4arch9wavefront6targetE1EEEvSN_
; %bb.0:
	.section	.rodata,"a",@progbits
	.p2align	6, 0x0
	.amdhsa_kernel _ZN7rocprim17ROCPRIM_400000_NS6detail17trampoline_kernelINS0_14default_configENS1_29binary_search_config_selectorIiiEEZNS1_14transform_implILb0ES3_S5_N6thrust23THRUST_200600_302600_NS6detail15normal_iteratorINS8_10device_ptrIiEEEESD_ZNS1_13binary_searchIS3_S5_SD_SD_SD_NS1_16binary_search_opENS9_16wrapped_functionINS0_4lessIvEEbEEEE10hipError_tPvRmT1_T2_T3_mmT4_T5_P12ihipStream_tbEUlRKiE_EESK_SO_SP_mSQ_ST_bEUlT_E_NS1_11comp_targetILNS1_3genE5ELNS1_11target_archE942ELNS1_3gpuE9ELNS1_3repE0EEENS1_30default_config_static_selectorELNS0_4arch9wavefront6targetE1EEEvSN_
		.amdhsa_group_segment_fixed_size 0
		.amdhsa_private_segment_fixed_size 0
		.amdhsa_kernarg_size 56
		.amdhsa_user_sgpr_count 6
		.amdhsa_user_sgpr_private_segment_buffer 1
		.amdhsa_user_sgpr_dispatch_ptr 0
		.amdhsa_user_sgpr_queue_ptr 0
		.amdhsa_user_sgpr_kernarg_segment_ptr 1
		.amdhsa_user_sgpr_dispatch_id 0
		.amdhsa_user_sgpr_flat_scratch_init 0
		.amdhsa_user_sgpr_kernarg_preload_length 0
		.amdhsa_user_sgpr_kernarg_preload_offset 0
		.amdhsa_user_sgpr_private_segment_size 0
		.amdhsa_uses_dynamic_stack 0
		.amdhsa_system_sgpr_private_segment_wavefront_offset 0
		.amdhsa_system_sgpr_workgroup_id_x 1
		.amdhsa_system_sgpr_workgroup_id_y 0
		.amdhsa_system_sgpr_workgroup_id_z 0
		.amdhsa_system_sgpr_workgroup_info 0
		.amdhsa_system_vgpr_workitem_id 0
		.amdhsa_next_free_vgpr 1
		.amdhsa_next_free_sgpr 0
		.amdhsa_accum_offset 4
		.amdhsa_reserve_vcc 0
		.amdhsa_reserve_flat_scratch 0
		.amdhsa_float_round_mode_32 0
		.amdhsa_float_round_mode_16_64 0
		.amdhsa_float_denorm_mode_32 3
		.amdhsa_float_denorm_mode_16_64 3
		.amdhsa_dx10_clamp 1
		.amdhsa_ieee_mode 1
		.amdhsa_fp16_overflow 0
		.amdhsa_tg_split 0
		.amdhsa_exception_fp_ieee_invalid_op 0
		.amdhsa_exception_fp_denorm_src 0
		.amdhsa_exception_fp_ieee_div_zero 0
		.amdhsa_exception_fp_ieee_overflow 0
		.amdhsa_exception_fp_ieee_underflow 0
		.amdhsa_exception_fp_ieee_inexact 0
		.amdhsa_exception_int_div_zero 0
	.end_amdhsa_kernel
	.section	.text._ZN7rocprim17ROCPRIM_400000_NS6detail17trampoline_kernelINS0_14default_configENS1_29binary_search_config_selectorIiiEEZNS1_14transform_implILb0ES3_S5_N6thrust23THRUST_200600_302600_NS6detail15normal_iteratorINS8_10device_ptrIiEEEESD_ZNS1_13binary_searchIS3_S5_SD_SD_SD_NS1_16binary_search_opENS9_16wrapped_functionINS0_4lessIvEEbEEEE10hipError_tPvRmT1_T2_T3_mmT4_T5_P12ihipStream_tbEUlRKiE_EESK_SO_SP_mSQ_ST_bEUlT_E_NS1_11comp_targetILNS1_3genE5ELNS1_11target_archE942ELNS1_3gpuE9ELNS1_3repE0EEENS1_30default_config_static_selectorELNS0_4arch9wavefront6targetE1EEEvSN_,"axG",@progbits,_ZN7rocprim17ROCPRIM_400000_NS6detail17trampoline_kernelINS0_14default_configENS1_29binary_search_config_selectorIiiEEZNS1_14transform_implILb0ES3_S5_N6thrust23THRUST_200600_302600_NS6detail15normal_iteratorINS8_10device_ptrIiEEEESD_ZNS1_13binary_searchIS3_S5_SD_SD_SD_NS1_16binary_search_opENS9_16wrapped_functionINS0_4lessIvEEbEEEE10hipError_tPvRmT1_T2_T3_mmT4_T5_P12ihipStream_tbEUlRKiE_EESK_SO_SP_mSQ_ST_bEUlT_E_NS1_11comp_targetILNS1_3genE5ELNS1_11target_archE942ELNS1_3gpuE9ELNS1_3repE0EEENS1_30default_config_static_selectorELNS0_4arch9wavefront6targetE1EEEvSN_,comdat
.Lfunc_end520:
	.size	_ZN7rocprim17ROCPRIM_400000_NS6detail17trampoline_kernelINS0_14default_configENS1_29binary_search_config_selectorIiiEEZNS1_14transform_implILb0ES3_S5_N6thrust23THRUST_200600_302600_NS6detail15normal_iteratorINS8_10device_ptrIiEEEESD_ZNS1_13binary_searchIS3_S5_SD_SD_SD_NS1_16binary_search_opENS9_16wrapped_functionINS0_4lessIvEEbEEEE10hipError_tPvRmT1_T2_T3_mmT4_T5_P12ihipStream_tbEUlRKiE_EESK_SO_SP_mSQ_ST_bEUlT_E_NS1_11comp_targetILNS1_3genE5ELNS1_11target_archE942ELNS1_3gpuE9ELNS1_3repE0EEENS1_30default_config_static_selectorELNS0_4arch9wavefront6targetE1EEEvSN_, .Lfunc_end520-_ZN7rocprim17ROCPRIM_400000_NS6detail17trampoline_kernelINS0_14default_configENS1_29binary_search_config_selectorIiiEEZNS1_14transform_implILb0ES3_S5_N6thrust23THRUST_200600_302600_NS6detail15normal_iteratorINS8_10device_ptrIiEEEESD_ZNS1_13binary_searchIS3_S5_SD_SD_SD_NS1_16binary_search_opENS9_16wrapped_functionINS0_4lessIvEEbEEEE10hipError_tPvRmT1_T2_T3_mmT4_T5_P12ihipStream_tbEUlRKiE_EESK_SO_SP_mSQ_ST_bEUlT_E_NS1_11comp_targetILNS1_3genE5ELNS1_11target_archE942ELNS1_3gpuE9ELNS1_3repE0EEENS1_30default_config_static_selectorELNS0_4arch9wavefront6targetE1EEEvSN_
                                        ; -- End function
	.section	.AMDGPU.csdata,"",@progbits
; Kernel info:
; codeLenInByte = 0
; NumSgprs: 4
; NumVgprs: 0
; NumAgprs: 0
; TotalNumVgprs: 0
; ScratchSize: 0
; MemoryBound: 0
; FloatMode: 240
; IeeeMode: 1
; LDSByteSize: 0 bytes/workgroup (compile time only)
; SGPRBlocks: 0
; VGPRBlocks: 0
; NumSGPRsForWavesPerEU: 4
; NumVGPRsForWavesPerEU: 1
; AccumOffset: 4
; Occupancy: 8
; WaveLimiterHint : 0
; COMPUTE_PGM_RSRC2:SCRATCH_EN: 0
; COMPUTE_PGM_RSRC2:USER_SGPR: 6
; COMPUTE_PGM_RSRC2:TRAP_HANDLER: 0
; COMPUTE_PGM_RSRC2:TGID_X_EN: 1
; COMPUTE_PGM_RSRC2:TGID_Y_EN: 0
; COMPUTE_PGM_RSRC2:TGID_Z_EN: 0
; COMPUTE_PGM_RSRC2:TIDIG_COMP_CNT: 0
; COMPUTE_PGM_RSRC3_GFX90A:ACCUM_OFFSET: 0
; COMPUTE_PGM_RSRC3_GFX90A:TG_SPLIT: 0
	.section	.text._ZN7rocprim17ROCPRIM_400000_NS6detail17trampoline_kernelINS0_14default_configENS1_29binary_search_config_selectorIiiEEZNS1_14transform_implILb0ES3_S5_N6thrust23THRUST_200600_302600_NS6detail15normal_iteratorINS8_10device_ptrIiEEEESD_ZNS1_13binary_searchIS3_S5_SD_SD_SD_NS1_16binary_search_opENS9_16wrapped_functionINS0_4lessIvEEbEEEE10hipError_tPvRmT1_T2_T3_mmT4_T5_P12ihipStream_tbEUlRKiE_EESK_SO_SP_mSQ_ST_bEUlT_E_NS1_11comp_targetILNS1_3genE4ELNS1_11target_archE910ELNS1_3gpuE8ELNS1_3repE0EEENS1_30default_config_static_selectorELNS0_4arch9wavefront6targetE1EEEvSN_,"axG",@progbits,_ZN7rocprim17ROCPRIM_400000_NS6detail17trampoline_kernelINS0_14default_configENS1_29binary_search_config_selectorIiiEEZNS1_14transform_implILb0ES3_S5_N6thrust23THRUST_200600_302600_NS6detail15normal_iteratorINS8_10device_ptrIiEEEESD_ZNS1_13binary_searchIS3_S5_SD_SD_SD_NS1_16binary_search_opENS9_16wrapped_functionINS0_4lessIvEEbEEEE10hipError_tPvRmT1_T2_T3_mmT4_T5_P12ihipStream_tbEUlRKiE_EESK_SO_SP_mSQ_ST_bEUlT_E_NS1_11comp_targetILNS1_3genE4ELNS1_11target_archE910ELNS1_3gpuE8ELNS1_3repE0EEENS1_30default_config_static_selectorELNS0_4arch9wavefront6targetE1EEEvSN_,comdat
	.protected	_ZN7rocprim17ROCPRIM_400000_NS6detail17trampoline_kernelINS0_14default_configENS1_29binary_search_config_selectorIiiEEZNS1_14transform_implILb0ES3_S5_N6thrust23THRUST_200600_302600_NS6detail15normal_iteratorINS8_10device_ptrIiEEEESD_ZNS1_13binary_searchIS3_S5_SD_SD_SD_NS1_16binary_search_opENS9_16wrapped_functionINS0_4lessIvEEbEEEE10hipError_tPvRmT1_T2_T3_mmT4_T5_P12ihipStream_tbEUlRKiE_EESK_SO_SP_mSQ_ST_bEUlT_E_NS1_11comp_targetILNS1_3genE4ELNS1_11target_archE910ELNS1_3gpuE8ELNS1_3repE0EEENS1_30default_config_static_selectorELNS0_4arch9wavefront6targetE1EEEvSN_ ; -- Begin function _ZN7rocprim17ROCPRIM_400000_NS6detail17trampoline_kernelINS0_14default_configENS1_29binary_search_config_selectorIiiEEZNS1_14transform_implILb0ES3_S5_N6thrust23THRUST_200600_302600_NS6detail15normal_iteratorINS8_10device_ptrIiEEEESD_ZNS1_13binary_searchIS3_S5_SD_SD_SD_NS1_16binary_search_opENS9_16wrapped_functionINS0_4lessIvEEbEEEE10hipError_tPvRmT1_T2_T3_mmT4_T5_P12ihipStream_tbEUlRKiE_EESK_SO_SP_mSQ_ST_bEUlT_E_NS1_11comp_targetILNS1_3genE4ELNS1_11target_archE910ELNS1_3gpuE8ELNS1_3repE0EEENS1_30default_config_static_selectorELNS0_4arch9wavefront6targetE1EEEvSN_
	.globl	_ZN7rocprim17ROCPRIM_400000_NS6detail17trampoline_kernelINS0_14default_configENS1_29binary_search_config_selectorIiiEEZNS1_14transform_implILb0ES3_S5_N6thrust23THRUST_200600_302600_NS6detail15normal_iteratorINS8_10device_ptrIiEEEESD_ZNS1_13binary_searchIS3_S5_SD_SD_SD_NS1_16binary_search_opENS9_16wrapped_functionINS0_4lessIvEEbEEEE10hipError_tPvRmT1_T2_T3_mmT4_T5_P12ihipStream_tbEUlRKiE_EESK_SO_SP_mSQ_ST_bEUlT_E_NS1_11comp_targetILNS1_3genE4ELNS1_11target_archE910ELNS1_3gpuE8ELNS1_3repE0EEENS1_30default_config_static_selectorELNS0_4arch9wavefront6targetE1EEEvSN_
	.p2align	8
	.type	_ZN7rocprim17ROCPRIM_400000_NS6detail17trampoline_kernelINS0_14default_configENS1_29binary_search_config_selectorIiiEEZNS1_14transform_implILb0ES3_S5_N6thrust23THRUST_200600_302600_NS6detail15normal_iteratorINS8_10device_ptrIiEEEESD_ZNS1_13binary_searchIS3_S5_SD_SD_SD_NS1_16binary_search_opENS9_16wrapped_functionINS0_4lessIvEEbEEEE10hipError_tPvRmT1_T2_T3_mmT4_T5_P12ihipStream_tbEUlRKiE_EESK_SO_SP_mSQ_ST_bEUlT_E_NS1_11comp_targetILNS1_3genE4ELNS1_11target_archE910ELNS1_3gpuE8ELNS1_3repE0EEENS1_30default_config_static_selectorELNS0_4arch9wavefront6targetE1EEEvSN_,@function
_ZN7rocprim17ROCPRIM_400000_NS6detail17trampoline_kernelINS0_14default_configENS1_29binary_search_config_selectorIiiEEZNS1_14transform_implILb0ES3_S5_N6thrust23THRUST_200600_302600_NS6detail15normal_iteratorINS8_10device_ptrIiEEEESD_ZNS1_13binary_searchIS3_S5_SD_SD_SD_NS1_16binary_search_opENS9_16wrapped_functionINS0_4lessIvEEbEEEE10hipError_tPvRmT1_T2_T3_mmT4_T5_P12ihipStream_tbEUlRKiE_EESK_SO_SP_mSQ_ST_bEUlT_E_NS1_11comp_targetILNS1_3genE4ELNS1_11target_archE910ELNS1_3gpuE8ELNS1_3repE0EEENS1_30default_config_static_selectorELNS0_4arch9wavefront6targetE1EEEvSN_: ; @_ZN7rocprim17ROCPRIM_400000_NS6detail17trampoline_kernelINS0_14default_configENS1_29binary_search_config_selectorIiiEEZNS1_14transform_implILb0ES3_S5_N6thrust23THRUST_200600_302600_NS6detail15normal_iteratorINS8_10device_ptrIiEEEESD_ZNS1_13binary_searchIS3_S5_SD_SD_SD_NS1_16binary_search_opENS9_16wrapped_functionINS0_4lessIvEEbEEEE10hipError_tPvRmT1_T2_T3_mmT4_T5_P12ihipStream_tbEUlRKiE_EESK_SO_SP_mSQ_ST_bEUlT_E_NS1_11comp_targetILNS1_3genE4ELNS1_11target_archE910ELNS1_3gpuE8ELNS1_3repE0EEENS1_30default_config_static_selectorELNS0_4arch9wavefront6targetE1EEEvSN_
; %bb.0:
	s_load_dwordx4 s[12:15], s[4:5], 0x0
	s_load_dwordx4 s[0:3], s[4:5], 0x18
	s_load_dwordx2 s[10:11], s[4:5], 0x28
	s_load_dword s7, s[4:5], 0x38
	s_waitcnt lgkmcnt(0)
	s_lshl_b64 s[8:9], s[14:15], 2
	s_add_u32 s14, s12, s8
	s_addc_u32 s15, s13, s9
	s_add_u32 s12, s0, s8
	s_addc_u32 s13, s1, s9
	s_lshl_b32 s8, s6, 8
	s_add_i32 s7, s7, -1
	s_mov_b32 s9, 0
	s_cmp_lg_u32 s6, s7
	s_mov_b64 s[0:1], -1
	s_cbranch_scc0 .LBB521_8
; %bb.1:
	s_lshl_b64 s[0:1], s[8:9], 2
	s_add_u32 s6, s14, s0
	s_addc_u32 s7, s15, s1
	v_lshlrev_b32_e32 v1, 2, v0
	v_mov_b32_e32 v3, s7
	v_add_co_u32_e32 v2, vcc, s6, v1
	v_addc_co_u32_e32 v3, vcc, 0, v3, vcc
	flat_load_dword v6, v[2:3]
	s_mov_b64 s[6:7], 0
	s_cmp_eq_u64 s[10:11], 0
	v_pk_mov_b32 v[2:3], 0, 0
	s_cbranch_scc1 .LBB521_5
; %bb.2:
	v_pk_mov_b32 v[2:3], 0, 0
	v_pk_mov_b32 v[4:5], s[10:11], s[10:11] op_sel:[0,1]
	v_mov_b32_e32 v7, s3
.LBB521_3:                              ; =>This Inner Loop Header: Depth=1
	v_sub_co_u32_e32 v8, vcc, v4, v2
	v_subb_co_u32_e32 v9, vcc, v5, v3, vcc
	v_lshrrev_b64 v[10:11], 1, v[8:9]
	v_add_co_u32_e32 v10, vcc, v10, v2
	v_lshrrev_b64 v[8:9], 6, v[8:9]
	v_addc_co_u32_e32 v11, vcc, v11, v3, vcc
	v_add_co_u32_e32 v8, vcc, v10, v8
	v_addc_co_u32_e32 v9, vcc, v11, v9, vcc
	v_lshlrev_b64 v[10:11], 2, v[8:9]
	v_add_co_u32_e32 v10, vcc, s2, v10
	v_addc_co_u32_e32 v11, vcc, v7, v11, vcc
	global_load_dword v10, v[10:11], off
	v_add_co_u32_e32 v11, vcc, 1, v8
	v_addc_co_u32_e32 v12, vcc, 0, v9, vcc
	s_waitcnt vmcnt(0) lgkmcnt(0)
	v_cmp_lt_i32_e32 vcc, v10, v6
	v_cndmask_b32_e32 v5, v9, v5, vcc
	v_cndmask_b32_e32 v4, v8, v4, vcc
	;; [unrolled: 1-line block ×4, first 2 shown]
	v_cmp_ge_u64_e32 vcc, v[2:3], v[4:5]
	s_or_b64 s[6:7], vcc, s[6:7]
	s_andn2_b64 exec, exec, s[6:7]
	s_cbranch_execnz .LBB521_3
; %bb.4:
	s_or_b64 exec, exec, s[6:7]
.LBB521_5:
	v_cmp_ne_u64_e32 vcc, s[10:11], v[2:3]
	v_mov_b32_e32 v4, 0
	s_and_saveexec_b64 s[6:7], vcc
	s_cbranch_execz .LBB521_7
; %bb.6:
	v_lshlrev_b64 v[2:3], 2, v[2:3]
	v_mov_b32_e32 v4, s3
	v_add_co_u32_e32 v2, vcc, s2, v2
	v_addc_co_u32_e32 v3, vcc, v4, v3, vcc
	global_load_dword v2, v[2:3], off
	s_waitcnt vmcnt(0) lgkmcnt(0)
	v_cmp_le_i32_e32 vcc, v2, v6
	v_cndmask_b32_e64 v4, 0, 1, vcc
.LBB521_7:
	s_or_b64 exec, exec, s[6:7]
	s_add_u32 s0, s12, s0
	s_addc_u32 s1, s13, s1
	v_mov_b32_e32 v3, s1
	v_add_co_u32_e32 v2, vcc, s0, v1
	v_addc_co_u32_e32 v3, vcc, 0, v3, vcc
	s_mov_b64 s[0:1], 0
	flat_store_dword v[2:3], v4
.LBB521_8:
	s_and_b64 vcc, exec, s[0:1]
	s_cbranch_vccz .LBB521_13
; %bb.9:
	s_load_dword s0, s[4:5], 0x10
                                        ; implicit-def: $vgpr1
	s_waitcnt lgkmcnt(0)
	s_sub_i32 s0, s0, s8
	v_cmp_gt_u32_e32 vcc, s0, v0
	s_and_saveexec_b64 s[4:5], vcc
	s_cbranch_execnz .LBB521_14
; %bb.10:
	s_or_b64 exec, exec, s[4:5]
                                        ; implicit-def: $vgpr4
	s_and_saveexec_b64 s[4:5], vcc
	s_cbranch_execnz .LBB521_15
.LBB521_11:
	s_or_b64 exec, exec, s[4:5]
	s_and_saveexec_b64 s[0:1], vcc
	s_cbranch_execz .LBB521_13
.LBB521_12:
	s_lshl_b64 s[0:1], s[8:9], 2
	s_add_u32 s0, s12, s0
	s_addc_u32 s1, s13, s1
	v_lshlrev_b32_e32 v0, 2, v0
	s_waitcnt vmcnt(0) lgkmcnt(0)
	v_mov_b32_e32 v1, s1
	v_add_co_u32_e32 v0, vcc, s0, v0
	v_addc_co_u32_e32 v1, vcc, 0, v1, vcc
	flat_store_dword v[0:1], v4
.LBB521_13:
	s_endpgm
.LBB521_14:
	s_lshl_b64 s[0:1], s[8:9], 2
	s_add_u32 s0, s14, s0
	s_addc_u32 s1, s15, s1
	v_lshlrev_b32_e32 v1, 2, v0
	v_mov_b32_e32 v3, s1
	v_add_co_u32_e64 v2, s[0:1], s0, v1
	v_addc_co_u32_e64 v3, s[0:1], 0, v3, s[0:1]
	flat_load_dword v1, v[2:3]
	s_or_b64 exec, exec, s[4:5]
                                        ; implicit-def: $vgpr4
	s_and_saveexec_b64 s[4:5], vcc
	s_cbranch_execz .LBB521_11
.LBB521_15:
	s_mov_b64 s[6:7], 0
	s_cmp_eq_u64 s[10:11], 0
	v_pk_mov_b32 v[2:3], 0, 0
	s_cbranch_scc1 .LBB521_19
; %bb.16:
	v_pk_mov_b32 v[2:3], 0, 0
	v_pk_mov_b32 v[4:5], s[10:11], s[10:11] op_sel:[0,1]
	s_waitcnt vmcnt(0)
	v_mov_b32_e32 v6, s3
.LBB521_17:                             ; =>This Inner Loop Header: Depth=1
	v_sub_co_u32_e64 v8, s[0:1], v4, v2
	v_subb_co_u32_e64 v9, s[0:1], v5, v3, s[0:1]
	v_lshrrev_b64 v[10:11], 1, v[8:9]
	v_add_co_u32_e64 v7, s[0:1], v10, v2
	v_lshrrev_b64 v[8:9], 6, v[8:9]
	v_addc_co_u32_e64 v10, s[0:1], v11, v3, s[0:1]
	v_add_co_u32_e64 v8, s[0:1], v7, v8
	v_addc_co_u32_e64 v9, s[0:1], v10, v9, s[0:1]
	v_lshlrev_b64 v[10:11], 2, v[8:9]
	v_add_co_u32_e64 v10, s[0:1], s2, v10
	v_addc_co_u32_e64 v11, s[0:1], v6, v11, s[0:1]
	global_load_dword v7, v[10:11], off
	v_add_co_u32_e64 v10, s[0:1], 1, v8
	v_addc_co_u32_e64 v11, s[0:1], 0, v9, s[0:1]
	s_waitcnt vmcnt(0) lgkmcnt(0)
	v_cmp_lt_i32_e64 s[0:1], v7, v1
	v_cndmask_b32_e64 v5, v9, v5, s[0:1]
	v_cndmask_b32_e64 v4, v8, v4, s[0:1]
	v_cndmask_b32_e64 v3, v3, v11, s[0:1]
	v_cndmask_b32_e64 v2, v2, v10, s[0:1]
	v_cmp_ge_u64_e64 s[0:1], v[2:3], v[4:5]
	s_or_b64 s[6:7], s[0:1], s[6:7]
	s_andn2_b64 exec, exec, s[6:7]
	s_cbranch_execnz .LBB521_17
; %bb.18:
	s_or_b64 exec, exec, s[6:7]
.LBB521_19:
	v_cmp_ne_u64_e64 s[0:1], s[10:11], v[2:3]
	v_mov_b32_e32 v4, 0
	s_and_saveexec_b64 s[6:7], s[0:1]
	s_cbranch_execz .LBB521_21
; %bb.20:
	v_lshlrev_b64 v[2:3], 2, v[2:3]
	v_mov_b32_e32 v4, s3
	v_add_co_u32_e64 v2, s[0:1], s2, v2
	v_addc_co_u32_e64 v3, s[0:1], v4, v3, s[0:1]
	global_load_dword v2, v[2:3], off
	s_waitcnt vmcnt(0) lgkmcnt(0)
	v_cmp_le_i32_e64 s[0:1], v2, v1
	v_cndmask_b32_e64 v4, 0, 1, s[0:1]
.LBB521_21:
	s_or_b64 exec, exec, s[6:7]
	s_or_b64 exec, exec, s[4:5]
	s_and_saveexec_b64 s[0:1], vcc
	s_cbranch_execnz .LBB521_12
	s_branch .LBB521_13
	.section	.rodata,"a",@progbits
	.p2align	6, 0x0
	.amdhsa_kernel _ZN7rocprim17ROCPRIM_400000_NS6detail17trampoline_kernelINS0_14default_configENS1_29binary_search_config_selectorIiiEEZNS1_14transform_implILb0ES3_S5_N6thrust23THRUST_200600_302600_NS6detail15normal_iteratorINS8_10device_ptrIiEEEESD_ZNS1_13binary_searchIS3_S5_SD_SD_SD_NS1_16binary_search_opENS9_16wrapped_functionINS0_4lessIvEEbEEEE10hipError_tPvRmT1_T2_T3_mmT4_T5_P12ihipStream_tbEUlRKiE_EESK_SO_SP_mSQ_ST_bEUlT_E_NS1_11comp_targetILNS1_3genE4ELNS1_11target_archE910ELNS1_3gpuE8ELNS1_3repE0EEENS1_30default_config_static_selectorELNS0_4arch9wavefront6targetE1EEEvSN_
		.amdhsa_group_segment_fixed_size 0
		.amdhsa_private_segment_fixed_size 0
		.amdhsa_kernarg_size 312
		.amdhsa_user_sgpr_count 6
		.amdhsa_user_sgpr_private_segment_buffer 1
		.amdhsa_user_sgpr_dispatch_ptr 0
		.amdhsa_user_sgpr_queue_ptr 0
		.amdhsa_user_sgpr_kernarg_segment_ptr 1
		.amdhsa_user_sgpr_dispatch_id 0
		.amdhsa_user_sgpr_flat_scratch_init 0
		.amdhsa_user_sgpr_kernarg_preload_length 0
		.amdhsa_user_sgpr_kernarg_preload_offset 0
		.amdhsa_user_sgpr_private_segment_size 0
		.amdhsa_uses_dynamic_stack 0
		.amdhsa_system_sgpr_private_segment_wavefront_offset 0
		.amdhsa_system_sgpr_workgroup_id_x 1
		.amdhsa_system_sgpr_workgroup_id_y 0
		.amdhsa_system_sgpr_workgroup_id_z 0
		.amdhsa_system_sgpr_workgroup_info 0
		.amdhsa_system_vgpr_workitem_id 0
		.amdhsa_next_free_vgpr 13
		.amdhsa_next_free_sgpr 16
		.amdhsa_accum_offset 16
		.amdhsa_reserve_vcc 1
		.amdhsa_reserve_flat_scratch 0
		.amdhsa_float_round_mode_32 0
		.amdhsa_float_round_mode_16_64 0
		.amdhsa_float_denorm_mode_32 3
		.amdhsa_float_denorm_mode_16_64 3
		.amdhsa_dx10_clamp 1
		.amdhsa_ieee_mode 1
		.amdhsa_fp16_overflow 0
		.amdhsa_tg_split 0
		.amdhsa_exception_fp_ieee_invalid_op 0
		.amdhsa_exception_fp_denorm_src 0
		.amdhsa_exception_fp_ieee_div_zero 0
		.amdhsa_exception_fp_ieee_overflow 0
		.amdhsa_exception_fp_ieee_underflow 0
		.amdhsa_exception_fp_ieee_inexact 0
		.amdhsa_exception_int_div_zero 0
	.end_amdhsa_kernel
	.section	.text._ZN7rocprim17ROCPRIM_400000_NS6detail17trampoline_kernelINS0_14default_configENS1_29binary_search_config_selectorIiiEEZNS1_14transform_implILb0ES3_S5_N6thrust23THRUST_200600_302600_NS6detail15normal_iteratorINS8_10device_ptrIiEEEESD_ZNS1_13binary_searchIS3_S5_SD_SD_SD_NS1_16binary_search_opENS9_16wrapped_functionINS0_4lessIvEEbEEEE10hipError_tPvRmT1_T2_T3_mmT4_T5_P12ihipStream_tbEUlRKiE_EESK_SO_SP_mSQ_ST_bEUlT_E_NS1_11comp_targetILNS1_3genE4ELNS1_11target_archE910ELNS1_3gpuE8ELNS1_3repE0EEENS1_30default_config_static_selectorELNS0_4arch9wavefront6targetE1EEEvSN_,"axG",@progbits,_ZN7rocprim17ROCPRIM_400000_NS6detail17trampoline_kernelINS0_14default_configENS1_29binary_search_config_selectorIiiEEZNS1_14transform_implILb0ES3_S5_N6thrust23THRUST_200600_302600_NS6detail15normal_iteratorINS8_10device_ptrIiEEEESD_ZNS1_13binary_searchIS3_S5_SD_SD_SD_NS1_16binary_search_opENS9_16wrapped_functionINS0_4lessIvEEbEEEE10hipError_tPvRmT1_T2_T3_mmT4_T5_P12ihipStream_tbEUlRKiE_EESK_SO_SP_mSQ_ST_bEUlT_E_NS1_11comp_targetILNS1_3genE4ELNS1_11target_archE910ELNS1_3gpuE8ELNS1_3repE0EEENS1_30default_config_static_selectorELNS0_4arch9wavefront6targetE1EEEvSN_,comdat
.Lfunc_end521:
	.size	_ZN7rocprim17ROCPRIM_400000_NS6detail17trampoline_kernelINS0_14default_configENS1_29binary_search_config_selectorIiiEEZNS1_14transform_implILb0ES3_S5_N6thrust23THRUST_200600_302600_NS6detail15normal_iteratorINS8_10device_ptrIiEEEESD_ZNS1_13binary_searchIS3_S5_SD_SD_SD_NS1_16binary_search_opENS9_16wrapped_functionINS0_4lessIvEEbEEEE10hipError_tPvRmT1_T2_T3_mmT4_T5_P12ihipStream_tbEUlRKiE_EESK_SO_SP_mSQ_ST_bEUlT_E_NS1_11comp_targetILNS1_3genE4ELNS1_11target_archE910ELNS1_3gpuE8ELNS1_3repE0EEENS1_30default_config_static_selectorELNS0_4arch9wavefront6targetE1EEEvSN_, .Lfunc_end521-_ZN7rocprim17ROCPRIM_400000_NS6detail17trampoline_kernelINS0_14default_configENS1_29binary_search_config_selectorIiiEEZNS1_14transform_implILb0ES3_S5_N6thrust23THRUST_200600_302600_NS6detail15normal_iteratorINS8_10device_ptrIiEEEESD_ZNS1_13binary_searchIS3_S5_SD_SD_SD_NS1_16binary_search_opENS9_16wrapped_functionINS0_4lessIvEEbEEEE10hipError_tPvRmT1_T2_T3_mmT4_T5_P12ihipStream_tbEUlRKiE_EESK_SO_SP_mSQ_ST_bEUlT_E_NS1_11comp_targetILNS1_3genE4ELNS1_11target_archE910ELNS1_3gpuE8ELNS1_3repE0EEENS1_30default_config_static_selectorELNS0_4arch9wavefront6targetE1EEEvSN_
                                        ; -- End function
	.section	.AMDGPU.csdata,"",@progbits
; Kernel info:
; codeLenInByte = 848
; NumSgprs: 20
; NumVgprs: 13
; NumAgprs: 0
; TotalNumVgprs: 13
; ScratchSize: 0
; MemoryBound: 0
; FloatMode: 240
; IeeeMode: 1
; LDSByteSize: 0 bytes/workgroup (compile time only)
; SGPRBlocks: 2
; VGPRBlocks: 1
; NumSGPRsForWavesPerEU: 20
; NumVGPRsForWavesPerEU: 13
; AccumOffset: 16
; Occupancy: 8
; WaveLimiterHint : 0
; COMPUTE_PGM_RSRC2:SCRATCH_EN: 0
; COMPUTE_PGM_RSRC2:USER_SGPR: 6
; COMPUTE_PGM_RSRC2:TRAP_HANDLER: 0
; COMPUTE_PGM_RSRC2:TGID_X_EN: 1
; COMPUTE_PGM_RSRC2:TGID_Y_EN: 0
; COMPUTE_PGM_RSRC2:TGID_Z_EN: 0
; COMPUTE_PGM_RSRC2:TIDIG_COMP_CNT: 0
; COMPUTE_PGM_RSRC3_GFX90A:ACCUM_OFFSET: 3
; COMPUTE_PGM_RSRC3_GFX90A:TG_SPLIT: 0
	.section	.text._ZN7rocprim17ROCPRIM_400000_NS6detail17trampoline_kernelINS0_14default_configENS1_29binary_search_config_selectorIiiEEZNS1_14transform_implILb0ES3_S5_N6thrust23THRUST_200600_302600_NS6detail15normal_iteratorINS8_10device_ptrIiEEEESD_ZNS1_13binary_searchIS3_S5_SD_SD_SD_NS1_16binary_search_opENS9_16wrapped_functionINS0_4lessIvEEbEEEE10hipError_tPvRmT1_T2_T3_mmT4_T5_P12ihipStream_tbEUlRKiE_EESK_SO_SP_mSQ_ST_bEUlT_E_NS1_11comp_targetILNS1_3genE3ELNS1_11target_archE908ELNS1_3gpuE7ELNS1_3repE0EEENS1_30default_config_static_selectorELNS0_4arch9wavefront6targetE1EEEvSN_,"axG",@progbits,_ZN7rocprim17ROCPRIM_400000_NS6detail17trampoline_kernelINS0_14default_configENS1_29binary_search_config_selectorIiiEEZNS1_14transform_implILb0ES3_S5_N6thrust23THRUST_200600_302600_NS6detail15normal_iteratorINS8_10device_ptrIiEEEESD_ZNS1_13binary_searchIS3_S5_SD_SD_SD_NS1_16binary_search_opENS9_16wrapped_functionINS0_4lessIvEEbEEEE10hipError_tPvRmT1_T2_T3_mmT4_T5_P12ihipStream_tbEUlRKiE_EESK_SO_SP_mSQ_ST_bEUlT_E_NS1_11comp_targetILNS1_3genE3ELNS1_11target_archE908ELNS1_3gpuE7ELNS1_3repE0EEENS1_30default_config_static_selectorELNS0_4arch9wavefront6targetE1EEEvSN_,comdat
	.protected	_ZN7rocprim17ROCPRIM_400000_NS6detail17trampoline_kernelINS0_14default_configENS1_29binary_search_config_selectorIiiEEZNS1_14transform_implILb0ES3_S5_N6thrust23THRUST_200600_302600_NS6detail15normal_iteratorINS8_10device_ptrIiEEEESD_ZNS1_13binary_searchIS3_S5_SD_SD_SD_NS1_16binary_search_opENS9_16wrapped_functionINS0_4lessIvEEbEEEE10hipError_tPvRmT1_T2_T3_mmT4_T5_P12ihipStream_tbEUlRKiE_EESK_SO_SP_mSQ_ST_bEUlT_E_NS1_11comp_targetILNS1_3genE3ELNS1_11target_archE908ELNS1_3gpuE7ELNS1_3repE0EEENS1_30default_config_static_selectorELNS0_4arch9wavefront6targetE1EEEvSN_ ; -- Begin function _ZN7rocprim17ROCPRIM_400000_NS6detail17trampoline_kernelINS0_14default_configENS1_29binary_search_config_selectorIiiEEZNS1_14transform_implILb0ES3_S5_N6thrust23THRUST_200600_302600_NS6detail15normal_iteratorINS8_10device_ptrIiEEEESD_ZNS1_13binary_searchIS3_S5_SD_SD_SD_NS1_16binary_search_opENS9_16wrapped_functionINS0_4lessIvEEbEEEE10hipError_tPvRmT1_T2_T3_mmT4_T5_P12ihipStream_tbEUlRKiE_EESK_SO_SP_mSQ_ST_bEUlT_E_NS1_11comp_targetILNS1_3genE3ELNS1_11target_archE908ELNS1_3gpuE7ELNS1_3repE0EEENS1_30default_config_static_selectorELNS0_4arch9wavefront6targetE1EEEvSN_
	.globl	_ZN7rocprim17ROCPRIM_400000_NS6detail17trampoline_kernelINS0_14default_configENS1_29binary_search_config_selectorIiiEEZNS1_14transform_implILb0ES3_S5_N6thrust23THRUST_200600_302600_NS6detail15normal_iteratorINS8_10device_ptrIiEEEESD_ZNS1_13binary_searchIS3_S5_SD_SD_SD_NS1_16binary_search_opENS9_16wrapped_functionINS0_4lessIvEEbEEEE10hipError_tPvRmT1_T2_T3_mmT4_T5_P12ihipStream_tbEUlRKiE_EESK_SO_SP_mSQ_ST_bEUlT_E_NS1_11comp_targetILNS1_3genE3ELNS1_11target_archE908ELNS1_3gpuE7ELNS1_3repE0EEENS1_30default_config_static_selectorELNS0_4arch9wavefront6targetE1EEEvSN_
	.p2align	8
	.type	_ZN7rocprim17ROCPRIM_400000_NS6detail17trampoline_kernelINS0_14default_configENS1_29binary_search_config_selectorIiiEEZNS1_14transform_implILb0ES3_S5_N6thrust23THRUST_200600_302600_NS6detail15normal_iteratorINS8_10device_ptrIiEEEESD_ZNS1_13binary_searchIS3_S5_SD_SD_SD_NS1_16binary_search_opENS9_16wrapped_functionINS0_4lessIvEEbEEEE10hipError_tPvRmT1_T2_T3_mmT4_T5_P12ihipStream_tbEUlRKiE_EESK_SO_SP_mSQ_ST_bEUlT_E_NS1_11comp_targetILNS1_3genE3ELNS1_11target_archE908ELNS1_3gpuE7ELNS1_3repE0EEENS1_30default_config_static_selectorELNS0_4arch9wavefront6targetE1EEEvSN_,@function
_ZN7rocprim17ROCPRIM_400000_NS6detail17trampoline_kernelINS0_14default_configENS1_29binary_search_config_selectorIiiEEZNS1_14transform_implILb0ES3_S5_N6thrust23THRUST_200600_302600_NS6detail15normal_iteratorINS8_10device_ptrIiEEEESD_ZNS1_13binary_searchIS3_S5_SD_SD_SD_NS1_16binary_search_opENS9_16wrapped_functionINS0_4lessIvEEbEEEE10hipError_tPvRmT1_T2_T3_mmT4_T5_P12ihipStream_tbEUlRKiE_EESK_SO_SP_mSQ_ST_bEUlT_E_NS1_11comp_targetILNS1_3genE3ELNS1_11target_archE908ELNS1_3gpuE7ELNS1_3repE0EEENS1_30default_config_static_selectorELNS0_4arch9wavefront6targetE1EEEvSN_: ; @_ZN7rocprim17ROCPRIM_400000_NS6detail17trampoline_kernelINS0_14default_configENS1_29binary_search_config_selectorIiiEEZNS1_14transform_implILb0ES3_S5_N6thrust23THRUST_200600_302600_NS6detail15normal_iteratorINS8_10device_ptrIiEEEESD_ZNS1_13binary_searchIS3_S5_SD_SD_SD_NS1_16binary_search_opENS9_16wrapped_functionINS0_4lessIvEEbEEEE10hipError_tPvRmT1_T2_T3_mmT4_T5_P12ihipStream_tbEUlRKiE_EESK_SO_SP_mSQ_ST_bEUlT_E_NS1_11comp_targetILNS1_3genE3ELNS1_11target_archE908ELNS1_3gpuE7ELNS1_3repE0EEENS1_30default_config_static_selectorELNS0_4arch9wavefront6targetE1EEEvSN_
; %bb.0:
	.section	.rodata,"a",@progbits
	.p2align	6, 0x0
	.amdhsa_kernel _ZN7rocprim17ROCPRIM_400000_NS6detail17trampoline_kernelINS0_14default_configENS1_29binary_search_config_selectorIiiEEZNS1_14transform_implILb0ES3_S5_N6thrust23THRUST_200600_302600_NS6detail15normal_iteratorINS8_10device_ptrIiEEEESD_ZNS1_13binary_searchIS3_S5_SD_SD_SD_NS1_16binary_search_opENS9_16wrapped_functionINS0_4lessIvEEbEEEE10hipError_tPvRmT1_T2_T3_mmT4_T5_P12ihipStream_tbEUlRKiE_EESK_SO_SP_mSQ_ST_bEUlT_E_NS1_11comp_targetILNS1_3genE3ELNS1_11target_archE908ELNS1_3gpuE7ELNS1_3repE0EEENS1_30default_config_static_selectorELNS0_4arch9wavefront6targetE1EEEvSN_
		.amdhsa_group_segment_fixed_size 0
		.amdhsa_private_segment_fixed_size 0
		.amdhsa_kernarg_size 56
		.amdhsa_user_sgpr_count 6
		.amdhsa_user_sgpr_private_segment_buffer 1
		.amdhsa_user_sgpr_dispatch_ptr 0
		.amdhsa_user_sgpr_queue_ptr 0
		.amdhsa_user_sgpr_kernarg_segment_ptr 1
		.amdhsa_user_sgpr_dispatch_id 0
		.amdhsa_user_sgpr_flat_scratch_init 0
		.amdhsa_user_sgpr_kernarg_preload_length 0
		.amdhsa_user_sgpr_kernarg_preload_offset 0
		.amdhsa_user_sgpr_private_segment_size 0
		.amdhsa_uses_dynamic_stack 0
		.amdhsa_system_sgpr_private_segment_wavefront_offset 0
		.amdhsa_system_sgpr_workgroup_id_x 1
		.amdhsa_system_sgpr_workgroup_id_y 0
		.amdhsa_system_sgpr_workgroup_id_z 0
		.amdhsa_system_sgpr_workgroup_info 0
		.amdhsa_system_vgpr_workitem_id 0
		.amdhsa_next_free_vgpr 1
		.amdhsa_next_free_sgpr 0
		.amdhsa_accum_offset 4
		.amdhsa_reserve_vcc 0
		.amdhsa_reserve_flat_scratch 0
		.amdhsa_float_round_mode_32 0
		.amdhsa_float_round_mode_16_64 0
		.amdhsa_float_denorm_mode_32 3
		.amdhsa_float_denorm_mode_16_64 3
		.amdhsa_dx10_clamp 1
		.amdhsa_ieee_mode 1
		.amdhsa_fp16_overflow 0
		.amdhsa_tg_split 0
		.amdhsa_exception_fp_ieee_invalid_op 0
		.amdhsa_exception_fp_denorm_src 0
		.amdhsa_exception_fp_ieee_div_zero 0
		.amdhsa_exception_fp_ieee_overflow 0
		.amdhsa_exception_fp_ieee_underflow 0
		.amdhsa_exception_fp_ieee_inexact 0
		.amdhsa_exception_int_div_zero 0
	.end_amdhsa_kernel
	.section	.text._ZN7rocprim17ROCPRIM_400000_NS6detail17trampoline_kernelINS0_14default_configENS1_29binary_search_config_selectorIiiEEZNS1_14transform_implILb0ES3_S5_N6thrust23THRUST_200600_302600_NS6detail15normal_iteratorINS8_10device_ptrIiEEEESD_ZNS1_13binary_searchIS3_S5_SD_SD_SD_NS1_16binary_search_opENS9_16wrapped_functionINS0_4lessIvEEbEEEE10hipError_tPvRmT1_T2_T3_mmT4_T5_P12ihipStream_tbEUlRKiE_EESK_SO_SP_mSQ_ST_bEUlT_E_NS1_11comp_targetILNS1_3genE3ELNS1_11target_archE908ELNS1_3gpuE7ELNS1_3repE0EEENS1_30default_config_static_selectorELNS0_4arch9wavefront6targetE1EEEvSN_,"axG",@progbits,_ZN7rocprim17ROCPRIM_400000_NS6detail17trampoline_kernelINS0_14default_configENS1_29binary_search_config_selectorIiiEEZNS1_14transform_implILb0ES3_S5_N6thrust23THRUST_200600_302600_NS6detail15normal_iteratorINS8_10device_ptrIiEEEESD_ZNS1_13binary_searchIS3_S5_SD_SD_SD_NS1_16binary_search_opENS9_16wrapped_functionINS0_4lessIvEEbEEEE10hipError_tPvRmT1_T2_T3_mmT4_T5_P12ihipStream_tbEUlRKiE_EESK_SO_SP_mSQ_ST_bEUlT_E_NS1_11comp_targetILNS1_3genE3ELNS1_11target_archE908ELNS1_3gpuE7ELNS1_3repE0EEENS1_30default_config_static_selectorELNS0_4arch9wavefront6targetE1EEEvSN_,comdat
.Lfunc_end522:
	.size	_ZN7rocprim17ROCPRIM_400000_NS6detail17trampoline_kernelINS0_14default_configENS1_29binary_search_config_selectorIiiEEZNS1_14transform_implILb0ES3_S5_N6thrust23THRUST_200600_302600_NS6detail15normal_iteratorINS8_10device_ptrIiEEEESD_ZNS1_13binary_searchIS3_S5_SD_SD_SD_NS1_16binary_search_opENS9_16wrapped_functionINS0_4lessIvEEbEEEE10hipError_tPvRmT1_T2_T3_mmT4_T5_P12ihipStream_tbEUlRKiE_EESK_SO_SP_mSQ_ST_bEUlT_E_NS1_11comp_targetILNS1_3genE3ELNS1_11target_archE908ELNS1_3gpuE7ELNS1_3repE0EEENS1_30default_config_static_selectorELNS0_4arch9wavefront6targetE1EEEvSN_, .Lfunc_end522-_ZN7rocprim17ROCPRIM_400000_NS6detail17trampoline_kernelINS0_14default_configENS1_29binary_search_config_selectorIiiEEZNS1_14transform_implILb0ES3_S5_N6thrust23THRUST_200600_302600_NS6detail15normal_iteratorINS8_10device_ptrIiEEEESD_ZNS1_13binary_searchIS3_S5_SD_SD_SD_NS1_16binary_search_opENS9_16wrapped_functionINS0_4lessIvEEbEEEE10hipError_tPvRmT1_T2_T3_mmT4_T5_P12ihipStream_tbEUlRKiE_EESK_SO_SP_mSQ_ST_bEUlT_E_NS1_11comp_targetILNS1_3genE3ELNS1_11target_archE908ELNS1_3gpuE7ELNS1_3repE0EEENS1_30default_config_static_selectorELNS0_4arch9wavefront6targetE1EEEvSN_
                                        ; -- End function
	.section	.AMDGPU.csdata,"",@progbits
; Kernel info:
; codeLenInByte = 0
; NumSgprs: 4
; NumVgprs: 0
; NumAgprs: 0
; TotalNumVgprs: 0
; ScratchSize: 0
; MemoryBound: 0
; FloatMode: 240
; IeeeMode: 1
; LDSByteSize: 0 bytes/workgroup (compile time only)
; SGPRBlocks: 0
; VGPRBlocks: 0
; NumSGPRsForWavesPerEU: 4
; NumVGPRsForWavesPerEU: 1
; AccumOffset: 4
; Occupancy: 8
; WaveLimiterHint : 0
; COMPUTE_PGM_RSRC2:SCRATCH_EN: 0
; COMPUTE_PGM_RSRC2:USER_SGPR: 6
; COMPUTE_PGM_RSRC2:TRAP_HANDLER: 0
; COMPUTE_PGM_RSRC2:TGID_X_EN: 1
; COMPUTE_PGM_RSRC2:TGID_Y_EN: 0
; COMPUTE_PGM_RSRC2:TGID_Z_EN: 0
; COMPUTE_PGM_RSRC2:TIDIG_COMP_CNT: 0
; COMPUTE_PGM_RSRC3_GFX90A:ACCUM_OFFSET: 0
; COMPUTE_PGM_RSRC3_GFX90A:TG_SPLIT: 0
	.section	.text._ZN7rocprim17ROCPRIM_400000_NS6detail17trampoline_kernelINS0_14default_configENS1_29binary_search_config_selectorIiiEEZNS1_14transform_implILb0ES3_S5_N6thrust23THRUST_200600_302600_NS6detail15normal_iteratorINS8_10device_ptrIiEEEESD_ZNS1_13binary_searchIS3_S5_SD_SD_SD_NS1_16binary_search_opENS9_16wrapped_functionINS0_4lessIvEEbEEEE10hipError_tPvRmT1_T2_T3_mmT4_T5_P12ihipStream_tbEUlRKiE_EESK_SO_SP_mSQ_ST_bEUlT_E_NS1_11comp_targetILNS1_3genE2ELNS1_11target_archE906ELNS1_3gpuE6ELNS1_3repE0EEENS1_30default_config_static_selectorELNS0_4arch9wavefront6targetE1EEEvSN_,"axG",@progbits,_ZN7rocprim17ROCPRIM_400000_NS6detail17trampoline_kernelINS0_14default_configENS1_29binary_search_config_selectorIiiEEZNS1_14transform_implILb0ES3_S5_N6thrust23THRUST_200600_302600_NS6detail15normal_iteratorINS8_10device_ptrIiEEEESD_ZNS1_13binary_searchIS3_S5_SD_SD_SD_NS1_16binary_search_opENS9_16wrapped_functionINS0_4lessIvEEbEEEE10hipError_tPvRmT1_T2_T3_mmT4_T5_P12ihipStream_tbEUlRKiE_EESK_SO_SP_mSQ_ST_bEUlT_E_NS1_11comp_targetILNS1_3genE2ELNS1_11target_archE906ELNS1_3gpuE6ELNS1_3repE0EEENS1_30default_config_static_selectorELNS0_4arch9wavefront6targetE1EEEvSN_,comdat
	.protected	_ZN7rocprim17ROCPRIM_400000_NS6detail17trampoline_kernelINS0_14default_configENS1_29binary_search_config_selectorIiiEEZNS1_14transform_implILb0ES3_S5_N6thrust23THRUST_200600_302600_NS6detail15normal_iteratorINS8_10device_ptrIiEEEESD_ZNS1_13binary_searchIS3_S5_SD_SD_SD_NS1_16binary_search_opENS9_16wrapped_functionINS0_4lessIvEEbEEEE10hipError_tPvRmT1_T2_T3_mmT4_T5_P12ihipStream_tbEUlRKiE_EESK_SO_SP_mSQ_ST_bEUlT_E_NS1_11comp_targetILNS1_3genE2ELNS1_11target_archE906ELNS1_3gpuE6ELNS1_3repE0EEENS1_30default_config_static_selectorELNS0_4arch9wavefront6targetE1EEEvSN_ ; -- Begin function _ZN7rocprim17ROCPRIM_400000_NS6detail17trampoline_kernelINS0_14default_configENS1_29binary_search_config_selectorIiiEEZNS1_14transform_implILb0ES3_S5_N6thrust23THRUST_200600_302600_NS6detail15normal_iteratorINS8_10device_ptrIiEEEESD_ZNS1_13binary_searchIS3_S5_SD_SD_SD_NS1_16binary_search_opENS9_16wrapped_functionINS0_4lessIvEEbEEEE10hipError_tPvRmT1_T2_T3_mmT4_T5_P12ihipStream_tbEUlRKiE_EESK_SO_SP_mSQ_ST_bEUlT_E_NS1_11comp_targetILNS1_3genE2ELNS1_11target_archE906ELNS1_3gpuE6ELNS1_3repE0EEENS1_30default_config_static_selectorELNS0_4arch9wavefront6targetE1EEEvSN_
	.globl	_ZN7rocprim17ROCPRIM_400000_NS6detail17trampoline_kernelINS0_14default_configENS1_29binary_search_config_selectorIiiEEZNS1_14transform_implILb0ES3_S5_N6thrust23THRUST_200600_302600_NS6detail15normal_iteratorINS8_10device_ptrIiEEEESD_ZNS1_13binary_searchIS3_S5_SD_SD_SD_NS1_16binary_search_opENS9_16wrapped_functionINS0_4lessIvEEbEEEE10hipError_tPvRmT1_T2_T3_mmT4_T5_P12ihipStream_tbEUlRKiE_EESK_SO_SP_mSQ_ST_bEUlT_E_NS1_11comp_targetILNS1_3genE2ELNS1_11target_archE906ELNS1_3gpuE6ELNS1_3repE0EEENS1_30default_config_static_selectorELNS0_4arch9wavefront6targetE1EEEvSN_
	.p2align	8
	.type	_ZN7rocprim17ROCPRIM_400000_NS6detail17trampoline_kernelINS0_14default_configENS1_29binary_search_config_selectorIiiEEZNS1_14transform_implILb0ES3_S5_N6thrust23THRUST_200600_302600_NS6detail15normal_iteratorINS8_10device_ptrIiEEEESD_ZNS1_13binary_searchIS3_S5_SD_SD_SD_NS1_16binary_search_opENS9_16wrapped_functionINS0_4lessIvEEbEEEE10hipError_tPvRmT1_T2_T3_mmT4_T5_P12ihipStream_tbEUlRKiE_EESK_SO_SP_mSQ_ST_bEUlT_E_NS1_11comp_targetILNS1_3genE2ELNS1_11target_archE906ELNS1_3gpuE6ELNS1_3repE0EEENS1_30default_config_static_selectorELNS0_4arch9wavefront6targetE1EEEvSN_,@function
_ZN7rocprim17ROCPRIM_400000_NS6detail17trampoline_kernelINS0_14default_configENS1_29binary_search_config_selectorIiiEEZNS1_14transform_implILb0ES3_S5_N6thrust23THRUST_200600_302600_NS6detail15normal_iteratorINS8_10device_ptrIiEEEESD_ZNS1_13binary_searchIS3_S5_SD_SD_SD_NS1_16binary_search_opENS9_16wrapped_functionINS0_4lessIvEEbEEEE10hipError_tPvRmT1_T2_T3_mmT4_T5_P12ihipStream_tbEUlRKiE_EESK_SO_SP_mSQ_ST_bEUlT_E_NS1_11comp_targetILNS1_3genE2ELNS1_11target_archE906ELNS1_3gpuE6ELNS1_3repE0EEENS1_30default_config_static_selectorELNS0_4arch9wavefront6targetE1EEEvSN_: ; @_ZN7rocprim17ROCPRIM_400000_NS6detail17trampoline_kernelINS0_14default_configENS1_29binary_search_config_selectorIiiEEZNS1_14transform_implILb0ES3_S5_N6thrust23THRUST_200600_302600_NS6detail15normal_iteratorINS8_10device_ptrIiEEEESD_ZNS1_13binary_searchIS3_S5_SD_SD_SD_NS1_16binary_search_opENS9_16wrapped_functionINS0_4lessIvEEbEEEE10hipError_tPvRmT1_T2_T3_mmT4_T5_P12ihipStream_tbEUlRKiE_EESK_SO_SP_mSQ_ST_bEUlT_E_NS1_11comp_targetILNS1_3genE2ELNS1_11target_archE906ELNS1_3gpuE6ELNS1_3repE0EEENS1_30default_config_static_selectorELNS0_4arch9wavefront6targetE1EEEvSN_
; %bb.0:
	.section	.rodata,"a",@progbits
	.p2align	6, 0x0
	.amdhsa_kernel _ZN7rocprim17ROCPRIM_400000_NS6detail17trampoline_kernelINS0_14default_configENS1_29binary_search_config_selectorIiiEEZNS1_14transform_implILb0ES3_S5_N6thrust23THRUST_200600_302600_NS6detail15normal_iteratorINS8_10device_ptrIiEEEESD_ZNS1_13binary_searchIS3_S5_SD_SD_SD_NS1_16binary_search_opENS9_16wrapped_functionINS0_4lessIvEEbEEEE10hipError_tPvRmT1_T2_T3_mmT4_T5_P12ihipStream_tbEUlRKiE_EESK_SO_SP_mSQ_ST_bEUlT_E_NS1_11comp_targetILNS1_3genE2ELNS1_11target_archE906ELNS1_3gpuE6ELNS1_3repE0EEENS1_30default_config_static_selectorELNS0_4arch9wavefront6targetE1EEEvSN_
		.amdhsa_group_segment_fixed_size 0
		.amdhsa_private_segment_fixed_size 0
		.amdhsa_kernarg_size 56
		.amdhsa_user_sgpr_count 6
		.amdhsa_user_sgpr_private_segment_buffer 1
		.amdhsa_user_sgpr_dispatch_ptr 0
		.amdhsa_user_sgpr_queue_ptr 0
		.amdhsa_user_sgpr_kernarg_segment_ptr 1
		.amdhsa_user_sgpr_dispatch_id 0
		.amdhsa_user_sgpr_flat_scratch_init 0
		.amdhsa_user_sgpr_kernarg_preload_length 0
		.amdhsa_user_sgpr_kernarg_preload_offset 0
		.amdhsa_user_sgpr_private_segment_size 0
		.amdhsa_uses_dynamic_stack 0
		.amdhsa_system_sgpr_private_segment_wavefront_offset 0
		.amdhsa_system_sgpr_workgroup_id_x 1
		.amdhsa_system_sgpr_workgroup_id_y 0
		.amdhsa_system_sgpr_workgroup_id_z 0
		.amdhsa_system_sgpr_workgroup_info 0
		.amdhsa_system_vgpr_workitem_id 0
		.amdhsa_next_free_vgpr 1
		.amdhsa_next_free_sgpr 0
		.amdhsa_accum_offset 4
		.amdhsa_reserve_vcc 0
		.amdhsa_reserve_flat_scratch 0
		.amdhsa_float_round_mode_32 0
		.amdhsa_float_round_mode_16_64 0
		.amdhsa_float_denorm_mode_32 3
		.amdhsa_float_denorm_mode_16_64 3
		.amdhsa_dx10_clamp 1
		.amdhsa_ieee_mode 1
		.amdhsa_fp16_overflow 0
		.amdhsa_tg_split 0
		.amdhsa_exception_fp_ieee_invalid_op 0
		.amdhsa_exception_fp_denorm_src 0
		.amdhsa_exception_fp_ieee_div_zero 0
		.amdhsa_exception_fp_ieee_overflow 0
		.amdhsa_exception_fp_ieee_underflow 0
		.amdhsa_exception_fp_ieee_inexact 0
		.amdhsa_exception_int_div_zero 0
	.end_amdhsa_kernel
	.section	.text._ZN7rocprim17ROCPRIM_400000_NS6detail17trampoline_kernelINS0_14default_configENS1_29binary_search_config_selectorIiiEEZNS1_14transform_implILb0ES3_S5_N6thrust23THRUST_200600_302600_NS6detail15normal_iteratorINS8_10device_ptrIiEEEESD_ZNS1_13binary_searchIS3_S5_SD_SD_SD_NS1_16binary_search_opENS9_16wrapped_functionINS0_4lessIvEEbEEEE10hipError_tPvRmT1_T2_T3_mmT4_T5_P12ihipStream_tbEUlRKiE_EESK_SO_SP_mSQ_ST_bEUlT_E_NS1_11comp_targetILNS1_3genE2ELNS1_11target_archE906ELNS1_3gpuE6ELNS1_3repE0EEENS1_30default_config_static_selectorELNS0_4arch9wavefront6targetE1EEEvSN_,"axG",@progbits,_ZN7rocprim17ROCPRIM_400000_NS6detail17trampoline_kernelINS0_14default_configENS1_29binary_search_config_selectorIiiEEZNS1_14transform_implILb0ES3_S5_N6thrust23THRUST_200600_302600_NS6detail15normal_iteratorINS8_10device_ptrIiEEEESD_ZNS1_13binary_searchIS3_S5_SD_SD_SD_NS1_16binary_search_opENS9_16wrapped_functionINS0_4lessIvEEbEEEE10hipError_tPvRmT1_T2_T3_mmT4_T5_P12ihipStream_tbEUlRKiE_EESK_SO_SP_mSQ_ST_bEUlT_E_NS1_11comp_targetILNS1_3genE2ELNS1_11target_archE906ELNS1_3gpuE6ELNS1_3repE0EEENS1_30default_config_static_selectorELNS0_4arch9wavefront6targetE1EEEvSN_,comdat
.Lfunc_end523:
	.size	_ZN7rocprim17ROCPRIM_400000_NS6detail17trampoline_kernelINS0_14default_configENS1_29binary_search_config_selectorIiiEEZNS1_14transform_implILb0ES3_S5_N6thrust23THRUST_200600_302600_NS6detail15normal_iteratorINS8_10device_ptrIiEEEESD_ZNS1_13binary_searchIS3_S5_SD_SD_SD_NS1_16binary_search_opENS9_16wrapped_functionINS0_4lessIvEEbEEEE10hipError_tPvRmT1_T2_T3_mmT4_T5_P12ihipStream_tbEUlRKiE_EESK_SO_SP_mSQ_ST_bEUlT_E_NS1_11comp_targetILNS1_3genE2ELNS1_11target_archE906ELNS1_3gpuE6ELNS1_3repE0EEENS1_30default_config_static_selectorELNS0_4arch9wavefront6targetE1EEEvSN_, .Lfunc_end523-_ZN7rocprim17ROCPRIM_400000_NS6detail17trampoline_kernelINS0_14default_configENS1_29binary_search_config_selectorIiiEEZNS1_14transform_implILb0ES3_S5_N6thrust23THRUST_200600_302600_NS6detail15normal_iteratorINS8_10device_ptrIiEEEESD_ZNS1_13binary_searchIS3_S5_SD_SD_SD_NS1_16binary_search_opENS9_16wrapped_functionINS0_4lessIvEEbEEEE10hipError_tPvRmT1_T2_T3_mmT4_T5_P12ihipStream_tbEUlRKiE_EESK_SO_SP_mSQ_ST_bEUlT_E_NS1_11comp_targetILNS1_3genE2ELNS1_11target_archE906ELNS1_3gpuE6ELNS1_3repE0EEENS1_30default_config_static_selectorELNS0_4arch9wavefront6targetE1EEEvSN_
                                        ; -- End function
	.section	.AMDGPU.csdata,"",@progbits
; Kernel info:
; codeLenInByte = 0
; NumSgprs: 4
; NumVgprs: 0
; NumAgprs: 0
; TotalNumVgprs: 0
; ScratchSize: 0
; MemoryBound: 0
; FloatMode: 240
; IeeeMode: 1
; LDSByteSize: 0 bytes/workgroup (compile time only)
; SGPRBlocks: 0
; VGPRBlocks: 0
; NumSGPRsForWavesPerEU: 4
; NumVGPRsForWavesPerEU: 1
; AccumOffset: 4
; Occupancy: 8
; WaveLimiterHint : 0
; COMPUTE_PGM_RSRC2:SCRATCH_EN: 0
; COMPUTE_PGM_RSRC2:USER_SGPR: 6
; COMPUTE_PGM_RSRC2:TRAP_HANDLER: 0
; COMPUTE_PGM_RSRC2:TGID_X_EN: 1
; COMPUTE_PGM_RSRC2:TGID_Y_EN: 0
; COMPUTE_PGM_RSRC2:TGID_Z_EN: 0
; COMPUTE_PGM_RSRC2:TIDIG_COMP_CNT: 0
; COMPUTE_PGM_RSRC3_GFX90A:ACCUM_OFFSET: 0
; COMPUTE_PGM_RSRC3_GFX90A:TG_SPLIT: 0
	.section	.text._ZN7rocprim17ROCPRIM_400000_NS6detail17trampoline_kernelINS0_14default_configENS1_29binary_search_config_selectorIiiEEZNS1_14transform_implILb0ES3_S5_N6thrust23THRUST_200600_302600_NS6detail15normal_iteratorINS8_10device_ptrIiEEEESD_ZNS1_13binary_searchIS3_S5_SD_SD_SD_NS1_16binary_search_opENS9_16wrapped_functionINS0_4lessIvEEbEEEE10hipError_tPvRmT1_T2_T3_mmT4_T5_P12ihipStream_tbEUlRKiE_EESK_SO_SP_mSQ_ST_bEUlT_E_NS1_11comp_targetILNS1_3genE10ELNS1_11target_archE1201ELNS1_3gpuE5ELNS1_3repE0EEENS1_30default_config_static_selectorELNS0_4arch9wavefront6targetE1EEEvSN_,"axG",@progbits,_ZN7rocprim17ROCPRIM_400000_NS6detail17trampoline_kernelINS0_14default_configENS1_29binary_search_config_selectorIiiEEZNS1_14transform_implILb0ES3_S5_N6thrust23THRUST_200600_302600_NS6detail15normal_iteratorINS8_10device_ptrIiEEEESD_ZNS1_13binary_searchIS3_S5_SD_SD_SD_NS1_16binary_search_opENS9_16wrapped_functionINS0_4lessIvEEbEEEE10hipError_tPvRmT1_T2_T3_mmT4_T5_P12ihipStream_tbEUlRKiE_EESK_SO_SP_mSQ_ST_bEUlT_E_NS1_11comp_targetILNS1_3genE10ELNS1_11target_archE1201ELNS1_3gpuE5ELNS1_3repE0EEENS1_30default_config_static_selectorELNS0_4arch9wavefront6targetE1EEEvSN_,comdat
	.protected	_ZN7rocprim17ROCPRIM_400000_NS6detail17trampoline_kernelINS0_14default_configENS1_29binary_search_config_selectorIiiEEZNS1_14transform_implILb0ES3_S5_N6thrust23THRUST_200600_302600_NS6detail15normal_iteratorINS8_10device_ptrIiEEEESD_ZNS1_13binary_searchIS3_S5_SD_SD_SD_NS1_16binary_search_opENS9_16wrapped_functionINS0_4lessIvEEbEEEE10hipError_tPvRmT1_T2_T3_mmT4_T5_P12ihipStream_tbEUlRKiE_EESK_SO_SP_mSQ_ST_bEUlT_E_NS1_11comp_targetILNS1_3genE10ELNS1_11target_archE1201ELNS1_3gpuE5ELNS1_3repE0EEENS1_30default_config_static_selectorELNS0_4arch9wavefront6targetE1EEEvSN_ ; -- Begin function _ZN7rocprim17ROCPRIM_400000_NS6detail17trampoline_kernelINS0_14default_configENS1_29binary_search_config_selectorIiiEEZNS1_14transform_implILb0ES3_S5_N6thrust23THRUST_200600_302600_NS6detail15normal_iteratorINS8_10device_ptrIiEEEESD_ZNS1_13binary_searchIS3_S5_SD_SD_SD_NS1_16binary_search_opENS9_16wrapped_functionINS0_4lessIvEEbEEEE10hipError_tPvRmT1_T2_T3_mmT4_T5_P12ihipStream_tbEUlRKiE_EESK_SO_SP_mSQ_ST_bEUlT_E_NS1_11comp_targetILNS1_3genE10ELNS1_11target_archE1201ELNS1_3gpuE5ELNS1_3repE0EEENS1_30default_config_static_selectorELNS0_4arch9wavefront6targetE1EEEvSN_
	.globl	_ZN7rocprim17ROCPRIM_400000_NS6detail17trampoline_kernelINS0_14default_configENS1_29binary_search_config_selectorIiiEEZNS1_14transform_implILb0ES3_S5_N6thrust23THRUST_200600_302600_NS6detail15normal_iteratorINS8_10device_ptrIiEEEESD_ZNS1_13binary_searchIS3_S5_SD_SD_SD_NS1_16binary_search_opENS9_16wrapped_functionINS0_4lessIvEEbEEEE10hipError_tPvRmT1_T2_T3_mmT4_T5_P12ihipStream_tbEUlRKiE_EESK_SO_SP_mSQ_ST_bEUlT_E_NS1_11comp_targetILNS1_3genE10ELNS1_11target_archE1201ELNS1_3gpuE5ELNS1_3repE0EEENS1_30default_config_static_selectorELNS0_4arch9wavefront6targetE1EEEvSN_
	.p2align	8
	.type	_ZN7rocprim17ROCPRIM_400000_NS6detail17trampoline_kernelINS0_14default_configENS1_29binary_search_config_selectorIiiEEZNS1_14transform_implILb0ES3_S5_N6thrust23THRUST_200600_302600_NS6detail15normal_iteratorINS8_10device_ptrIiEEEESD_ZNS1_13binary_searchIS3_S5_SD_SD_SD_NS1_16binary_search_opENS9_16wrapped_functionINS0_4lessIvEEbEEEE10hipError_tPvRmT1_T2_T3_mmT4_T5_P12ihipStream_tbEUlRKiE_EESK_SO_SP_mSQ_ST_bEUlT_E_NS1_11comp_targetILNS1_3genE10ELNS1_11target_archE1201ELNS1_3gpuE5ELNS1_3repE0EEENS1_30default_config_static_selectorELNS0_4arch9wavefront6targetE1EEEvSN_,@function
_ZN7rocprim17ROCPRIM_400000_NS6detail17trampoline_kernelINS0_14default_configENS1_29binary_search_config_selectorIiiEEZNS1_14transform_implILb0ES3_S5_N6thrust23THRUST_200600_302600_NS6detail15normal_iteratorINS8_10device_ptrIiEEEESD_ZNS1_13binary_searchIS3_S5_SD_SD_SD_NS1_16binary_search_opENS9_16wrapped_functionINS0_4lessIvEEbEEEE10hipError_tPvRmT1_T2_T3_mmT4_T5_P12ihipStream_tbEUlRKiE_EESK_SO_SP_mSQ_ST_bEUlT_E_NS1_11comp_targetILNS1_3genE10ELNS1_11target_archE1201ELNS1_3gpuE5ELNS1_3repE0EEENS1_30default_config_static_selectorELNS0_4arch9wavefront6targetE1EEEvSN_: ; @_ZN7rocprim17ROCPRIM_400000_NS6detail17trampoline_kernelINS0_14default_configENS1_29binary_search_config_selectorIiiEEZNS1_14transform_implILb0ES3_S5_N6thrust23THRUST_200600_302600_NS6detail15normal_iteratorINS8_10device_ptrIiEEEESD_ZNS1_13binary_searchIS3_S5_SD_SD_SD_NS1_16binary_search_opENS9_16wrapped_functionINS0_4lessIvEEbEEEE10hipError_tPvRmT1_T2_T3_mmT4_T5_P12ihipStream_tbEUlRKiE_EESK_SO_SP_mSQ_ST_bEUlT_E_NS1_11comp_targetILNS1_3genE10ELNS1_11target_archE1201ELNS1_3gpuE5ELNS1_3repE0EEENS1_30default_config_static_selectorELNS0_4arch9wavefront6targetE1EEEvSN_
; %bb.0:
	.section	.rodata,"a",@progbits
	.p2align	6, 0x0
	.amdhsa_kernel _ZN7rocprim17ROCPRIM_400000_NS6detail17trampoline_kernelINS0_14default_configENS1_29binary_search_config_selectorIiiEEZNS1_14transform_implILb0ES3_S5_N6thrust23THRUST_200600_302600_NS6detail15normal_iteratorINS8_10device_ptrIiEEEESD_ZNS1_13binary_searchIS3_S5_SD_SD_SD_NS1_16binary_search_opENS9_16wrapped_functionINS0_4lessIvEEbEEEE10hipError_tPvRmT1_T2_T3_mmT4_T5_P12ihipStream_tbEUlRKiE_EESK_SO_SP_mSQ_ST_bEUlT_E_NS1_11comp_targetILNS1_3genE10ELNS1_11target_archE1201ELNS1_3gpuE5ELNS1_3repE0EEENS1_30default_config_static_selectorELNS0_4arch9wavefront6targetE1EEEvSN_
		.amdhsa_group_segment_fixed_size 0
		.amdhsa_private_segment_fixed_size 0
		.amdhsa_kernarg_size 56
		.amdhsa_user_sgpr_count 6
		.amdhsa_user_sgpr_private_segment_buffer 1
		.amdhsa_user_sgpr_dispatch_ptr 0
		.amdhsa_user_sgpr_queue_ptr 0
		.amdhsa_user_sgpr_kernarg_segment_ptr 1
		.amdhsa_user_sgpr_dispatch_id 0
		.amdhsa_user_sgpr_flat_scratch_init 0
		.amdhsa_user_sgpr_kernarg_preload_length 0
		.amdhsa_user_sgpr_kernarg_preload_offset 0
		.amdhsa_user_sgpr_private_segment_size 0
		.amdhsa_uses_dynamic_stack 0
		.amdhsa_system_sgpr_private_segment_wavefront_offset 0
		.amdhsa_system_sgpr_workgroup_id_x 1
		.amdhsa_system_sgpr_workgroup_id_y 0
		.amdhsa_system_sgpr_workgroup_id_z 0
		.amdhsa_system_sgpr_workgroup_info 0
		.amdhsa_system_vgpr_workitem_id 0
		.amdhsa_next_free_vgpr 1
		.amdhsa_next_free_sgpr 0
		.amdhsa_accum_offset 4
		.amdhsa_reserve_vcc 0
		.amdhsa_reserve_flat_scratch 0
		.amdhsa_float_round_mode_32 0
		.amdhsa_float_round_mode_16_64 0
		.amdhsa_float_denorm_mode_32 3
		.amdhsa_float_denorm_mode_16_64 3
		.amdhsa_dx10_clamp 1
		.amdhsa_ieee_mode 1
		.amdhsa_fp16_overflow 0
		.amdhsa_tg_split 0
		.amdhsa_exception_fp_ieee_invalid_op 0
		.amdhsa_exception_fp_denorm_src 0
		.amdhsa_exception_fp_ieee_div_zero 0
		.amdhsa_exception_fp_ieee_overflow 0
		.amdhsa_exception_fp_ieee_underflow 0
		.amdhsa_exception_fp_ieee_inexact 0
		.amdhsa_exception_int_div_zero 0
	.end_amdhsa_kernel
	.section	.text._ZN7rocprim17ROCPRIM_400000_NS6detail17trampoline_kernelINS0_14default_configENS1_29binary_search_config_selectorIiiEEZNS1_14transform_implILb0ES3_S5_N6thrust23THRUST_200600_302600_NS6detail15normal_iteratorINS8_10device_ptrIiEEEESD_ZNS1_13binary_searchIS3_S5_SD_SD_SD_NS1_16binary_search_opENS9_16wrapped_functionINS0_4lessIvEEbEEEE10hipError_tPvRmT1_T2_T3_mmT4_T5_P12ihipStream_tbEUlRKiE_EESK_SO_SP_mSQ_ST_bEUlT_E_NS1_11comp_targetILNS1_3genE10ELNS1_11target_archE1201ELNS1_3gpuE5ELNS1_3repE0EEENS1_30default_config_static_selectorELNS0_4arch9wavefront6targetE1EEEvSN_,"axG",@progbits,_ZN7rocprim17ROCPRIM_400000_NS6detail17trampoline_kernelINS0_14default_configENS1_29binary_search_config_selectorIiiEEZNS1_14transform_implILb0ES3_S5_N6thrust23THRUST_200600_302600_NS6detail15normal_iteratorINS8_10device_ptrIiEEEESD_ZNS1_13binary_searchIS3_S5_SD_SD_SD_NS1_16binary_search_opENS9_16wrapped_functionINS0_4lessIvEEbEEEE10hipError_tPvRmT1_T2_T3_mmT4_T5_P12ihipStream_tbEUlRKiE_EESK_SO_SP_mSQ_ST_bEUlT_E_NS1_11comp_targetILNS1_3genE10ELNS1_11target_archE1201ELNS1_3gpuE5ELNS1_3repE0EEENS1_30default_config_static_selectorELNS0_4arch9wavefront6targetE1EEEvSN_,comdat
.Lfunc_end524:
	.size	_ZN7rocprim17ROCPRIM_400000_NS6detail17trampoline_kernelINS0_14default_configENS1_29binary_search_config_selectorIiiEEZNS1_14transform_implILb0ES3_S5_N6thrust23THRUST_200600_302600_NS6detail15normal_iteratorINS8_10device_ptrIiEEEESD_ZNS1_13binary_searchIS3_S5_SD_SD_SD_NS1_16binary_search_opENS9_16wrapped_functionINS0_4lessIvEEbEEEE10hipError_tPvRmT1_T2_T3_mmT4_T5_P12ihipStream_tbEUlRKiE_EESK_SO_SP_mSQ_ST_bEUlT_E_NS1_11comp_targetILNS1_3genE10ELNS1_11target_archE1201ELNS1_3gpuE5ELNS1_3repE0EEENS1_30default_config_static_selectorELNS0_4arch9wavefront6targetE1EEEvSN_, .Lfunc_end524-_ZN7rocprim17ROCPRIM_400000_NS6detail17trampoline_kernelINS0_14default_configENS1_29binary_search_config_selectorIiiEEZNS1_14transform_implILb0ES3_S5_N6thrust23THRUST_200600_302600_NS6detail15normal_iteratorINS8_10device_ptrIiEEEESD_ZNS1_13binary_searchIS3_S5_SD_SD_SD_NS1_16binary_search_opENS9_16wrapped_functionINS0_4lessIvEEbEEEE10hipError_tPvRmT1_T2_T3_mmT4_T5_P12ihipStream_tbEUlRKiE_EESK_SO_SP_mSQ_ST_bEUlT_E_NS1_11comp_targetILNS1_3genE10ELNS1_11target_archE1201ELNS1_3gpuE5ELNS1_3repE0EEENS1_30default_config_static_selectorELNS0_4arch9wavefront6targetE1EEEvSN_
                                        ; -- End function
	.section	.AMDGPU.csdata,"",@progbits
; Kernel info:
; codeLenInByte = 0
; NumSgprs: 4
; NumVgprs: 0
; NumAgprs: 0
; TotalNumVgprs: 0
; ScratchSize: 0
; MemoryBound: 0
; FloatMode: 240
; IeeeMode: 1
; LDSByteSize: 0 bytes/workgroup (compile time only)
; SGPRBlocks: 0
; VGPRBlocks: 0
; NumSGPRsForWavesPerEU: 4
; NumVGPRsForWavesPerEU: 1
; AccumOffset: 4
; Occupancy: 8
; WaveLimiterHint : 0
; COMPUTE_PGM_RSRC2:SCRATCH_EN: 0
; COMPUTE_PGM_RSRC2:USER_SGPR: 6
; COMPUTE_PGM_RSRC2:TRAP_HANDLER: 0
; COMPUTE_PGM_RSRC2:TGID_X_EN: 1
; COMPUTE_PGM_RSRC2:TGID_Y_EN: 0
; COMPUTE_PGM_RSRC2:TGID_Z_EN: 0
; COMPUTE_PGM_RSRC2:TIDIG_COMP_CNT: 0
; COMPUTE_PGM_RSRC3_GFX90A:ACCUM_OFFSET: 0
; COMPUTE_PGM_RSRC3_GFX90A:TG_SPLIT: 0
	.section	.text._ZN7rocprim17ROCPRIM_400000_NS6detail17trampoline_kernelINS0_14default_configENS1_29binary_search_config_selectorIiiEEZNS1_14transform_implILb0ES3_S5_N6thrust23THRUST_200600_302600_NS6detail15normal_iteratorINS8_10device_ptrIiEEEESD_ZNS1_13binary_searchIS3_S5_SD_SD_SD_NS1_16binary_search_opENS9_16wrapped_functionINS0_4lessIvEEbEEEE10hipError_tPvRmT1_T2_T3_mmT4_T5_P12ihipStream_tbEUlRKiE_EESK_SO_SP_mSQ_ST_bEUlT_E_NS1_11comp_targetILNS1_3genE10ELNS1_11target_archE1200ELNS1_3gpuE4ELNS1_3repE0EEENS1_30default_config_static_selectorELNS0_4arch9wavefront6targetE1EEEvSN_,"axG",@progbits,_ZN7rocprim17ROCPRIM_400000_NS6detail17trampoline_kernelINS0_14default_configENS1_29binary_search_config_selectorIiiEEZNS1_14transform_implILb0ES3_S5_N6thrust23THRUST_200600_302600_NS6detail15normal_iteratorINS8_10device_ptrIiEEEESD_ZNS1_13binary_searchIS3_S5_SD_SD_SD_NS1_16binary_search_opENS9_16wrapped_functionINS0_4lessIvEEbEEEE10hipError_tPvRmT1_T2_T3_mmT4_T5_P12ihipStream_tbEUlRKiE_EESK_SO_SP_mSQ_ST_bEUlT_E_NS1_11comp_targetILNS1_3genE10ELNS1_11target_archE1200ELNS1_3gpuE4ELNS1_3repE0EEENS1_30default_config_static_selectorELNS0_4arch9wavefront6targetE1EEEvSN_,comdat
	.protected	_ZN7rocprim17ROCPRIM_400000_NS6detail17trampoline_kernelINS0_14default_configENS1_29binary_search_config_selectorIiiEEZNS1_14transform_implILb0ES3_S5_N6thrust23THRUST_200600_302600_NS6detail15normal_iteratorINS8_10device_ptrIiEEEESD_ZNS1_13binary_searchIS3_S5_SD_SD_SD_NS1_16binary_search_opENS9_16wrapped_functionINS0_4lessIvEEbEEEE10hipError_tPvRmT1_T2_T3_mmT4_T5_P12ihipStream_tbEUlRKiE_EESK_SO_SP_mSQ_ST_bEUlT_E_NS1_11comp_targetILNS1_3genE10ELNS1_11target_archE1200ELNS1_3gpuE4ELNS1_3repE0EEENS1_30default_config_static_selectorELNS0_4arch9wavefront6targetE1EEEvSN_ ; -- Begin function _ZN7rocprim17ROCPRIM_400000_NS6detail17trampoline_kernelINS0_14default_configENS1_29binary_search_config_selectorIiiEEZNS1_14transform_implILb0ES3_S5_N6thrust23THRUST_200600_302600_NS6detail15normal_iteratorINS8_10device_ptrIiEEEESD_ZNS1_13binary_searchIS3_S5_SD_SD_SD_NS1_16binary_search_opENS9_16wrapped_functionINS0_4lessIvEEbEEEE10hipError_tPvRmT1_T2_T3_mmT4_T5_P12ihipStream_tbEUlRKiE_EESK_SO_SP_mSQ_ST_bEUlT_E_NS1_11comp_targetILNS1_3genE10ELNS1_11target_archE1200ELNS1_3gpuE4ELNS1_3repE0EEENS1_30default_config_static_selectorELNS0_4arch9wavefront6targetE1EEEvSN_
	.globl	_ZN7rocprim17ROCPRIM_400000_NS6detail17trampoline_kernelINS0_14default_configENS1_29binary_search_config_selectorIiiEEZNS1_14transform_implILb0ES3_S5_N6thrust23THRUST_200600_302600_NS6detail15normal_iteratorINS8_10device_ptrIiEEEESD_ZNS1_13binary_searchIS3_S5_SD_SD_SD_NS1_16binary_search_opENS9_16wrapped_functionINS0_4lessIvEEbEEEE10hipError_tPvRmT1_T2_T3_mmT4_T5_P12ihipStream_tbEUlRKiE_EESK_SO_SP_mSQ_ST_bEUlT_E_NS1_11comp_targetILNS1_3genE10ELNS1_11target_archE1200ELNS1_3gpuE4ELNS1_3repE0EEENS1_30default_config_static_selectorELNS0_4arch9wavefront6targetE1EEEvSN_
	.p2align	8
	.type	_ZN7rocprim17ROCPRIM_400000_NS6detail17trampoline_kernelINS0_14default_configENS1_29binary_search_config_selectorIiiEEZNS1_14transform_implILb0ES3_S5_N6thrust23THRUST_200600_302600_NS6detail15normal_iteratorINS8_10device_ptrIiEEEESD_ZNS1_13binary_searchIS3_S5_SD_SD_SD_NS1_16binary_search_opENS9_16wrapped_functionINS0_4lessIvEEbEEEE10hipError_tPvRmT1_T2_T3_mmT4_T5_P12ihipStream_tbEUlRKiE_EESK_SO_SP_mSQ_ST_bEUlT_E_NS1_11comp_targetILNS1_3genE10ELNS1_11target_archE1200ELNS1_3gpuE4ELNS1_3repE0EEENS1_30default_config_static_selectorELNS0_4arch9wavefront6targetE1EEEvSN_,@function
_ZN7rocprim17ROCPRIM_400000_NS6detail17trampoline_kernelINS0_14default_configENS1_29binary_search_config_selectorIiiEEZNS1_14transform_implILb0ES3_S5_N6thrust23THRUST_200600_302600_NS6detail15normal_iteratorINS8_10device_ptrIiEEEESD_ZNS1_13binary_searchIS3_S5_SD_SD_SD_NS1_16binary_search_opENS9_16wrapped_functionINS0_4lessIvEEbEEEE10hipError_tPvRmT1_T2_T3_mmT4_T5_P12ihipStream_tbEUlRKiE_EESK_SO_SP_mSQ_ST_bEUlT_E_NS1_11comp_targetILNS1_3genE10ELNS1_11target_archE1200ELNS1_3gpuE4ELNS1_3repE0EEENS1_30default_config_static_selectorELNS0_4arch9wavefront6targetE1EEEvSN_: ; @_ZN7rocprim17ROCPRIM_400000_NS6detail17trampoline_kernelINS0_14default_configENS1_29binary_search_config_selectorIiiEEZNS1_14transform_implILb0ES3_S5_N6thrust23THRUST_200600_302600_NS6detail15normal_iteratorINS8_10device_ptrIiEEEESD_ZNS1_13binary_searchIS3_S5_SD_SD_SD_NS1_16binary_search_opENS9_16wrapped_functionINS0_4lessIvEEbEEEE10hipError_tPvRmT1_T2_T3_mmT4_T5_P12ihipStream_tbEUlRKiE_EESK_SO_SP_mSQ_ST_bEUlT_E_NS1_11comp_targetILNS1_3genE10ELNS1_11target_archE1200ELNS1_3gpuE4ELNS1_3repE0EEENS1_30default_config_static_selectorELNS0_4arch9wavefront6targetE1EEEvSN_
; %bb.0:
	.section	.rodata,"a",@progbits
	.p2align	6, 0x0
	.amdhsa_kernel _ZN7rocprim17ROCPRIM_400000_NS6detail17trampoline_kernelINS0_14default_configENS1_29binary_search_config_selectorIiiEEZNS1_14transform_implILb0ES3_S5_N6thrust23THRUST_200600_302600_NS6detail15normal_iteratorINS8_10device_ptrIiEEEESD_ZNS1_13binary_searchIS3_S5_SD_SD_SD_NS1_16binary_search_opENS9_16wrapped_functionINS0_4lessIvEEbEEEE10hipError_tPvRmT1_T2_T3_mmT4_T5_P12ihipStream_tbEUlRKiE_EESK_SO_SP_mSQ_ST_bEUlT_E_NS1_11comp_targetILNS1_3genE10ELNS1_11target_archE1200ELNS1_3gpuE4ELNS1_3repE0EEENS1_30default_config_static_selectorELNS0_4arch9wavefront6targetE1EEEvSN_
		.amdhsa_group_segment_fixed_size 0
		.amdhsa_private_segment_fixed_size 0
		.amdhsa_kernarg_size 56
		.amdhsa_user_sgpr_count 6
		.amdhsa_user_sgpr_private_segment_buffer 1
		.amdhsa_user_sgpr_dispatch_ptr 0
		.amdhsa_user_sgpr_queue_ptr 0
		.amdhsa_user_sgpr_kernarg_segment_ptr 1
		.amdhsa_user_sgpr_dispatch_id 0
		.amdhsa_user_sgpr_flat_scratch_init 0
		.amdhsa_user_sgpr_kernarg_preload_length 0
		.amdhsa_user_sgpr_kernarg_preload_offset 0
		.amdhsa_user_sgpr_private_segment_size 0
		.amdhsa_uses_dynamic_stack 0
		.amdhsa_system_sgpr_private_segment_wavefront_offset 0
		.amdhsa_system_sgpr_workgroup_id_x 1
		.amdhsa_system_sgpr_workgroup_id_y 0
		.amdhsa_system_sgpr_workgroup_id_z 0
		.amdhsa_system_sgpr_workgroup_info 0
		.amdhsa_system_vgpr_workitem_id 0
		.amdhsa_next_free_vgpr 1
		.amdhsa_next_free_sgpr 0
		.amdhsa_accum_offset 4
		.amdhsa_reserve_vcc 0
		.amdhsa_reserve_flat_scratch 0
		.amdhsa_float_round_mode_32 0
		.amdhsa_float_round_mode_16_64 0
		.amdhsa_float_denorm_mode_32 3
		.amdhsa_float_denorm_mode_16_64 3
		.amdhsa_dx10_clamp 1
		.amdhsa_ieee_mode 1
		.amdhsa_fp16_overflow 0
		.amdhsa_tg_split 0
		.amdhsa_exception_fp_ieee_invalid_op 0
		.amdhsa_exception_fp_denorm_src 0
		.amdhsa_exception_fp_ieee_div_zero 0
		.amdhsa_exception_fp_ieee_overflow 0
		.amdhsa_exception_fp_ieee_underflow 0
		.amdhsa_exception_fp_ieee_inexact 0
		.amdhsa_exception_int_div_zero 0
	.end_amdhsa_kernel
	.section	.text._ZN7rocprim17ROCPRIM_400000_NS6detail17trampoline_kernelINS0_14default_configENS1_29binary_search_config_selectorIiiEEZNS1_14transform_implILb0ES3_S5_N6thrust23THRUST_200600_302600_NS6detail15normal_iteratorINS8_10device_ptrIiEEEESD_ZNS1_13binary_searchIS3_S5_SD_SD_SD_NS1_16binary_search_opENS9_16wrapped_functionINS0_4lessIvEEbEEEE10hipError_tPvRmT1_T2_T3_mmT4_T5_P12ihipStream_tbEUlRKiE_EESK_SO_SP_mSQ_ST_bEUlT_E_NS1_11comp_targetILNS1_3genE10ELNS1_11target_archE1200ELNS1_3gpuE4ELNS1_3repE0EEENS1_30default_config_static_selectorELNS0_4arch9wavefront6targetE1EEEvSN_,"axG",@progbits,_ZN7rocprim17ROCPRIM_400000_NS6detail17trampoline_kernelINS0_14default_configENS1_29binary_search_config_selectorIiiEEZNS1_14transform_implILb0ES3_S5_N6thrust23THRUST_200600_302600_NS6detail15normal_iteratorINS8_10device_ptrIiEEEESD_ZNS1_13binary_searchIS3_S5_SD_SD_SD_NS1_16binary_search_opENS9_16wrapped_functionINS0_4lessIvEEbEEEE10hipError_tPvRmT1_T2_T3_mmT4_T5_P12ihipStream_tbEUlRKiE_EESK_SO_SP_mSQ_ST_bEUlT_E_NS1_11comp_targetILNS1_3genE10ELNS1_11target_archE1200ELNS1_3gpuE4ELNS1_3repE0EEENS1_30default_config_static_selectorELNS0_4arch9wavefront6targetE1EEEvSN_,comdat
.Lfunc_end525:
	.size	_ZN7rocprim17ROCPRIM_400000_NS6detail17trampoline_kernelINS0_14default_configENS1_29binary_search_config_selectorIiiEEZNS1_14transform_implILb0ES3_S5_N6thrust23THRUST_200600_302600_NS6detail15normal_iteratorINS8_10device_ptrIiEEEESD_ZNS1_13binary_searchIS3_S5_SD_SD_SD_NS1_16binary_search_opENS9_16wrapped_functionINS0_4lessIvEEbEEEE10hipError_tPvRmT1_T2_T3_mmT4_T5_P12ihipStream_tbEUlRKiE_EESK_SO_SP_mSQ_ST_bEUlT_E_NS1_11comp_targetILNS1_3genE10ELNS1_11target_archE1200ELNS1_3gpuE4ELNS1_3repE0EEENS1_30default_config_static_selectorELNS0_4arch9wavefront6targetE1EEEvSN_, .Lfunc_end525-_ZN7rocprim17ROCPRIM_400000_NS6detail17trampoline_kernelINS0_14default_configENS1_29binary_search_config_selectorIiiEEZNS1_14transform_implILb0ES3_S5_N6thrust23THRUST_200600_302600_NS6detail15normal_iteratorINS8_10device_ptrIiEEEESD_ZNS1_13binary_searchIS3_S5_SD_SD_SD_NS1_16binary_search_opENS9_16wrapped_functionINS0_4lessIvEEbEEEE10hipError_tPvRmT1_T2_T3_mmT4_T5_P12ihipStream_tbEUlRKiE_EESK_SO_SP_mSQ_ST_bEUlT_E_NS1_11comp_targetILNS1_3genE10ELNS1_11target_archE1200ELNS1_3gpuE4ELNS1_3repE0EEENS1_30default_config_static_selectorELNS0_4arch9wavefront6targetE1EEEvSN_
                                        ; -- End function
	.section	.AMDGPU.csdata,"",@progbits
; Kernel info:
; codeLenInByte = 0
; NumSgprs: 4
; NumVgprs: 0
; NumAgprs: 0
; TotalNumVgprs: 0
; ScratchSize: 0
; MemoryBound: 0
; FloatMode: 240
; IeeeMode: 1
; LDSByteSize: 0 bytes/workgroup (compile time only)
; SGPRBlocks: 0
; VGPRBlocks: 0
; NumSGPRsForWavesPerEU: 4
; NumVGPRsForWavesPerEU: 1
; AccumOffset: 4
; Occupancy: 8
; WaveLimiterHint : 0
; COMPUTE_PGM_RSRC2:SCRATCH_EN: 0
; COMPUTE_PGM_RSRC2:USER_SGPR: 6
; COMPUTE_PGM_RSRC2:TRAP_HANDLER: 0
; COMPUTE_PGM_RSRC2:TGID_X_EN: 1
; COMPUTE_PGM_RSRC2:TGID_Y_EN: 0
; COMPUTE_PGM_RSRC2:TGID_Z_EN: 0
; COMPUTE_PGM_RSRC2:TIDIG_COMP_CNT: 0
; COMPUTE_PGM_RSRC3_GFX90A:ACCUM_OFFSET: 0
; COMPUTE_PGM_RSRC3_GFX90A:TG_SPLIT: 0
	.section	.text._ZN7rocprim17ROCPRIM_400000_NS6detail17trampoline_kernelINS0_14default_configENS1_29binary_search_config_selectorIiiEEZNS1_14transform_implILb0ES3_S5_N6thrust23THRUST_200600_302600_NS6detail15normal_iteratorINS8_10device_ptrIiEEEESD_ZNS1_13binary_searchIS3_S5_SD_SD_SD_NS1_16binary_search_opENS9_16wrapped_functionINS0_4lessIvEEbEEEE10hipError_tPvRmT1_T2_T3_mmT4_T5_P12ihipStream_tbEUlRKiE_EESK_SO_SP_mSQ_ST_bEUlT_E_NS1_11comp_targetILNS1_3genE9ELNS1_11target_archE1100ELNS1_3gpuE3ELNS1_3repE0EEENS1_30default_config_static_selectorELNS0_4arch9wavefront6targetE1EEEvSN_,"axG",@progbits,_ZN7rocprim17ROCPRIM_400000_NS6detail17trampoline_kernelINS0_14default_configENS1_29binary_search_config_selectorIiiEEZNS1_14transform_implILb0ES3_S5_N6thrust23THRUST_200600_302600_NS6detail15normal_iteratorINS8_10device_ptrIiEEEESD_ZNS1_13binary_searchIS3_S5_SD_SD_SD_NS1_16binary_search_opENS9_16wrapped_functionINS0_4lessIvEEbEEEE10hipError_tPvRmT1_T2_T3_mmT4_T5_P12ihipStream_tbEUlRKiE_EESK_SO_SP_mSQ_ST_bEUlT_E_NS1_11comp_targetILNS1_3genE9ELNS1_11target_archE1100ELNS1_3gpuE3ELNS1_3repE0EEENS1_30default_config_static_selectorELNS0_4arch9wavefront6targetE1EEEvSN_,comdat
	.protected	_ZN7rocprim17ROCPRIM_400000_NS6detail17trampoline_kernelINS0_14default_configENS1_29binary_search_config_selectorIiiEEZNS1_14transform_implILb0ES3_S5_N6thrust23THRUST_200600_302600_NS6detail15normal_iteratorINS8_10device_ptrIiEEEESD_ZNS1_13binary_searchIS3_S5_SD_SD_SD_NS1_16binary_search_opENS9_16wrapped_functionINS0_4lessIvEEbEEEE10hipError_tPvRmT1_T2_T3_mmT4_T5_P12ihipStream_tbEUlRKiE_EESK_SO_SP_mSQ_ST_bEUlT_E_NS1_11comp_targetILNS1_3genE9ELNS1_11target_archE1100ELNS1_3gpuE3ELNS1_3repE0EEENS1_30default_config_static_selectorELNS0_4arch9wavefront6targetE1EEEvSN_ ; -- Begin function _ZN7rocprim17ROCPRIM_400000_NS6detail17trampoline_kernelINS0_14default_configENS1_29binary_search_config_selectorIiiEEZNS1_14transform_implILb0ES3_S5_N6thrust23THRUST_200600_302600_NS6detail15normal_iteratorINS8_10device_ptrIiEEEESD_ZNS1_13binary_searchIS3_S5_SD_SD_SD_NS1_16binary_search_opENS9_16wrapped_functionINS0_4lessIvEEbEEEE10hipError_tPvRmT1_T2_T3_mmT4_T5_P12ihipStream_tbEUlRKiE_EESK_SO_SP_mSQ_ST_bEUlT_E_NS1_11comp_targetILNS1_3genE9ELNS1_11target_archE1100ELNS1_3gpuE3ELNS1_3repE0EEENS1_30default_config_static_selectorELNS0_4arch9wavefront6targetE1EEEvSN_
	.globl	_ZN7rocprim17ROCPRIM_400000_NS6detail17trampoline_kernelINS0_14default_configENS1_29binary_search_config_selectorIiiEEZNS1_14transform_implILb0ES3_S5_N6thrust23THRUST_200600_302600_NS6detail15normal_iteratorINS8_10device_ptrIiEEEESD_ZNS1_13binary_searchIS3_S5_SD_SD_SD_NS1_16binary_search_opENS9_16wrapped_functionINS0_4lessIvEEbEEEE10hipError_tPvRmT1_T2_T3_mmT4_T5_P12ihipStream_tbEUlRKiE_EESK_SO_SP_mSQ_ST_bEUlT_E_NS1_11comp_targetILNS1_3genE9ELNS1_11target_archE1100ELNS1_3gpuE3ELNS1_3repE0EEENS1_30default_config_static_selectorELNS0_4arch9wavefront6targetE1EEEvSN_
	.p2align	8
	.type	_ZN7rocprim17ROCPRIM_400000_NS6detail17trampoline_kernelINS0_14default_configENS1_29binary_search_config_selectorIiiEEZNS1_14transform_implILb0ES3_S5_N6thrust23THRUST_200600_302600_NS6detail15normal_iteratorINS8_10device_ptrIiEEEESD_ZNS1_13binary_searchIS3_S5_SD_SD_SD_NS1_16binary_search_opENS9_16wrapped_functionINS0_4lessIvEEbEEEE10hipError_tPvRmT1_T2_T3_mmT4_T5_P12ihipStream_tbEUlRKiE_EESK_SO_SP_mSQ_ST_bEUlT_E_NS1_11comp_targetILNS1_3genE9ELNS1_11target_archE1100ELNS1_3gpuE3ELNS1_3repE0EEENS1_30default_config_static_selectorELNS0_4arch9wavefront6targetE1EEEvSN_,@function
_ZN7rocprim17ROCPRIM_400000_NS6detail17trampoline_kernelINS0_14default_configENS1_29binary_search_config_selectorIiiEEZNS1_14transform_implILb0ES3_S5_N6thrust23THRUST_200600_302600_NS6detail15normal_iteratorINS8_10device_ptrIiEEEESD_ZNS1_13binary_searchIS3_S5_SD_SD_SD_NS1_16binary_search_opENS9_16wrapped_functionINS0_4lessIvEEbEEEE10hipError_tPvRmT1_T2_T3_mmT4_T5_P12ihipStream_tbEUlRKiE_EESK_SO_SP_mSQ_ST_bEUlT_E_NS1_11comp_targetILNS1_3genE9ELNS1_11target_archE1100ELNS1_3gpuE3ELNS1_3repE0EEENS1_30default_config_static_selectorELNS0_4arch9wavefront6targetE1EEEvSN_: ; @_ZN7rocprim17ROCPRIM_400000_NS6detail17trampoline_kernelINS0_14default_configENS1_29binary_search_config_selectorIiiEEZNS1_14transform_implILb0ES3_S5_N6thrust23THRUST_200600_302600_NS6detail15normal_iteratorINS8_10device_ptrIiEEEESD_ZNS1_13binary_searchIS3_S5_SD_SD_SD_NS1_16binary_search_opENS9_16wrapped_functionINS0_4lessIvEEbEEEE10hipError_tPvRmT1_T2_T3_mmT4_T5_P12ihipStream_tbEUlRKiE_EESK_SO_SP_mSQ_ST_bEUlT_E_NS1_11comp_targetILNS1_3genE9ELNS1_11target_archE1100ELNS1_3gpuE3ELNS1_3repE0EEENS1_30default_config_static_selectorELNS0_4arch9wavefront6targetE1EEEvSN_
; %bb.0:
	.section	.rodata,"a",@progbits
	.p2align	6, 0x0
	.amdhsa_kernel _ZN7rocprim17ROCPRIM_400000_NS6detail17trampoline_kernelINS0_14default_configENS1_29binary_search_config_selectorIiiEEZNS1_14transform_implILb0ES3_S5_N6thrust23THRUST_200600_302600_NS6detail15normal_iteratorINS8_10device_ptrIiEEEESD_ZNS1_13binary_searchIS3_S5_SD_SD_SD_NS1_16binary_search_opENS9_16wrapped_functionINS0_4lessIvEEbEEEE10hipError_tPvRmT1_T2_T3_mmT4_T5_P12ihipStream_tbEUlRKiE_EESK_SO_SP_mSQ_ST_bEUlT_E_NS1_11comp_targetILNS1_3genE9ELNS1_11target_archE1100ELNS1_3gpuE3ELNS1_3repE0EEENS1_30default_config_static_selectorELNS0_4arch9wavefront6targetE1EEEvSN_
		.amdhsa_group_segment_fixed_size 0
		.amdhsa_private_segment_fixed_size 0
		.amdhsa_kernarg_size 56
		.amdhsa_user_sgpr_count 6
		.amdhsa_user_sgpr_private_segment_buffer 1
		.amdhsa_user_sgpr_dispatch_ptr 0
		.amdhsa_user_sgpr_queue_ptr 0
		.amdhsa_user_sgpr_kernarg_segment_ptr 1
		.amdhsa_user_sgpr_dispatch_id 0
		.amdhsa_user_sgpr_flat_scratch_init 0
		.amdhsa_user_sgpr_kernarg_preload_length 0
		.amdhsa_user_sgpr_kernarg_preload_offset 0
		.amdhsa_user_sgpr_private_segment_size 0
		.amdhsa_uses_dynamic_stack 0
		.amdhsa_system_sgpr_private_segment_wavefront_offset 0
		.amdhsa_system_sgpr_workgroup_id_x 1
		.amdhsa_system_sgpr_workgroup_id_y 0
		.amdhsa_system_sgpr_workgroup_id_z 0
		.amdhsa_system_sgpr_workgroup_info 0
		.amdhsa_system_vgpr_workitem_id 0
		.amdhsa_next_free_vgpr 1
		.amdhsa_next_free_sgpr 0
		.amdhsa_accum_offset 4
		.amdhsa_reserve_vcc 0
		.amdhsa_reserve_flat_scratch 0
		.amdhsa_float_round_mode_32 0
		.amdhsa_float_round_mode_16_64 0
		.amdhsa_float_denorm_mode_32 3
		.amdhsa_float_denorm_mode_16_64 3
		.amdhsa_dx10_clamp 1
		.amdhsa_ieee_mode 1
		.amdhsa_fp16_overflow 0
		.amdhsa_tg_split 0
		.amdhsa_exception_fp_ieee_invalid_op 0
		.amdhsa_exception_fp_denorm_src 0
		.amdhsa_exception_fp_ieee_div_zero 0
		.amdhsa_exception_fp_ieee_overflow 0
		.amdhsa_exception_fp_ieee_underflow 0
		.amdhsa_exception_fp_ieee_inexact 0
		.amdhsa_exception_int_div_zero 0
	.end_amdhsa_kernel
	.section	.text._ZN7rocprim17ROCPRIM_400000_NS6detail17trampoline_kernelINS0_14default_configENS1_29binary_search_config_selectorIiiEEZNS1_14transform_implILb0ES3_S5_N6thrust23THRUST_200600_302600_NS6detail15normal_iteratorINS8_10device_ptrIiEEEESD_ZNS1_13binary_searchIS3_S5_SD_SD_SD_NS1_16binary_search_opENS9_16wrapped_functionINS0_4lessIvEEbEEEE10hipError_tPvRmT1_T2_T3_mmT4_T5_P12ihipStream_tbEUlRKiE_EESK_SO_SP_mSQ_ST_bEUlT_E_NS1_11comp_targetILNS1_3genE9ELNS1_11target_archE1100ELNS1_3gpuE3ELNS1_3repE0EEENS1_30default_config_static_selectorELNS0_4arch9wavefront6targetE1EEEvSN_,"axG",@progbits,_ZN7rocprim17ROCPRIM_400000_NS6detail17trampoline_kernelINS0_14default_configENS1_29binary_search_config_selectorIiiEEZNS1_14transform_implILb0ES3_S5_N6thrust23THRUST_200600_302600_NS6detail15normal_iteratorINS8_10device_ptrIiEEEESD_ZNS1_13binary_searchIS3_S5_SD_SD_SD_NS1_16binary_search_opENS9_16wrapped_functionINS0_4lessIvEEbEEEE10hipError_tPvRmT1_T2_T3_mmT4_T5_P12ihipStream_tbEUlRKiE_EESK_SO_SP_mSQ_ST_bEUlT_E_NS1_11comp_targetILNS1_3genE9ELNS1_11target_archE1100ELNS1_3gpuE3ELNS1_3repE0EEENS1_30default_config_static_selectorELNS0_4arch9wavefront6targetE1EEEvSN_,comdat
.Lfunc_end526:
	.size	_ZN7rocprim17ROCPRIM_400000_NS6detail17trampoline_kernelINS0_14default_configENS1_29binary_search_config_selectorIiiEEZNS1_14transform_implILb0ES3_S5_N6thrust23THRUST_200600_302600_NS6detail15normal_iteratorINS8_10device_ptrIiEEEESD_ZNS1_13binary_searchIS3_S5_SD_SD_SD_NS1_16binary_search_opENS9_16wrapped_functionINS0_4lessIvEEbEEEE10hipError_tPvRmT1_T2_T3_mmT4_T5_P12ihipStream_tbEUlRKiE_EESK_SO_SP_mSQ_ST_bEUlT_E_NS1_11comp_targetILNS1_3genE9ELNS1_11target_archE1100ELNS1_3gpuE3ELNS1_3repE0EEENS1_30default_config_static_selectorELNS0_4arch9wavefront6targetE1EEEvSN_, .Lfunc_end526-_ZN7rocprim17ROCPRIM_400000_NS6detail17trampoline_kernelINS0_14default_configENS1_29binary_search_config_selectorIiiEEZNS1_14transform_implILb0ES3_S5_N6thrust23THRUST_200600_302600_NS6detail15normal_iteratorINS8_10device_ptrIiEEEESD_ZNS1_13binary_searchIS3_S5_SD_SD_SD_NS1_16binary_search_opENS9_16wrapped_functionINS0_4lessIvEEbEEEE10hipError_tPvRmT1_T2_T3_mmT4_T5_P12ihipStream_tbEUlRKiE_EESK_SO_SP_mSQ_ST_bEUlT_E_NS1_11comp_targetILNS1_3genE9ELNS1_11target_archE1100ELNS1_3gpuE3ELNS1_3repE0EEENS1_30default_config_static_selectorELNS0_4arch9wavefront6targetE1EEEvSN_
                                        ; -- End function
	.section	.AMDGPU.csdata,"",@progbits
; Kernel info:
; codeLenInByte = 0
; NumSgprs: 4
; NumVgprs: 0
; NumAgprs: 0
; TotalNumVgprs: 0
; ScratchSize: 0
; MemoryBound: 0
; FloatMode: 240
; IeeeMode: 1
; LDSByteSize: 0 bytes/workgroup (compile time only)
; SGPRBlocks: 0
; VGPRBlocks: 0
; NumSGPRsForWavesPerEU: 4
; NumVGPRsForWavesPerEU: 1
; AccumOffset: 4
; Occupancy: 8
; WaveLimiterHint : 0
; COMPUTE_PGM_RSRC2:SCRATCH_EN: 0
; COMPUTE_PGM_RSRC2:USER_SGPR: 6
; COMPUTE_PGM_RSRC2:TRAP_HANDLER: 0
; COMPUTE_PGM_RSRC2:TGID_X_EN: 1
; COMPUTE_PGM_RSRC2:TGID_Y_EN: 0
; COMPUTE_PGM_RSRC2:TGID_Z_EN: 0
; COMPUTE_PGM_RSRC2:TIDIG_COMP_CNT: 0
; COMPUTE_PGM_RSRC3_GFX90A:ACCUM_OFFSET: 0
; COMPUTE_PGM_RSRC3_GFX90A:TG_SPLIT: 0
	.section	.text._ZN7rocprim17ROCPRIM_400000_NS6detail17trampoline_kernelINS0_14default_configENS1_29binary_search_config_selectorIiiEEZNS1_14transform_implILb0ES3_S5_N6thrust23THRUST_200600_302600_NS6detail15normal_iteratorINS8_10device_ptrIiEEEESD_ZNS1_13binary_searchIS3_S5_SD_SD_SD_NS1_16binary_search_opENS9_16wrapped_functionINS0_4lessIvEEbEEEE10hipError_tPvRmT1_T2_T3_mmT4_T5_P12ihipStream_tbEUlRKiE_EESK_SO_SP_mSQ_ST_bEUlT_E_NS1_11comp_targetILNS1_3genE8ELNS1_11target_archE1030ELNS1_3gpuE2ELNS1_3repE0EEENS1_30default_config_static_selectorELNS0_4arch9wavefront6targetE1EEEvSN_,"axG",@progbits,_ZN7rocprim17ROCPRIM_400000_NS6detail17trampoline_kernelINS0_14default_configENS1_29binary_search_config_selectorIiiEEZNS1_14transform_implILb0ES3_S5_N6thrust23THRUST_200600_302600_NS6detail15normal_iteratorINS8_10device_ptrIiEEEESD_ZNS1_13binary_searchIS3_S5_SD_SD_SD_NS1_16binary_search_opENS9_16wrapped_functionINS0_4lessIvEEbEEEE10hipError_tPvRmT1_T2_T3_mmT4_T5_P12ihipStream_tbEUlRKiE_EESK_SO_SP_mSQ_ST_bEUlT_E_NS1_11comp_targetILNS1_3genE8ELNS1_11target_archE1030ELNS1_3gpuE2ELNS1_3repE0EEENS1_30default_config_static_selectorELNS0_4arch9wavefront6targetE1EEEvSN_,comdat
	.protected	_ZN7rocprim17ROCPRIM_400000_NS6detail17trampoline_kernelINS0_14default_configENS1_29binary_search_config_selectorIiiEEZNS1_14transform_implILb0ES3_S5_N6thrust23THRUST_200600_302600_NS6detail15normal_iteratorINS8_10device_ptrIiEEEESD_ZNS1_13binary_searchIS3_S5_SD_SD_SD_NS1_16binary_search_opENS9_16wrapped_functionINS0_4lessIvEEbEEEE10hipError_tPvRmT1_T2_T3_mmT4_T5_P12ihipStream_tbEUlRKiE_EESK_SO_SP_mSQ_ST_bEUlT_E_NS1_11comp_targetILNS1_3genE8ELNS1_11target_archE1030ELNS1_3gpuE2ELNS1_3repE0EEENS1_30default_config_static_selectorELNS0_4arch9wavefront6targetE1EEEvSN_ ; -- Begin function _ZN7rocprim17ROCPRIM_400000_NS6detail17trampoline_kernelINS0_14default_configENS1_29binary_search_config_selectorIiiEEZNS1_14transform_implILb0ES3_S5_N6thrust23THRUST_200600_302600_NS6detail15normal_iteratorINS8_10device_ptrIiEEEESD_ZNS1_13binary_searchIS3_S5_SD_SD_SD_NS1_16binary_search_opENS9_16wrapped_functionINS0_4lessIvEEbEEEE10hipError_tPvRmT1_T2_T3_mmT4_T5_P12ihipStream_tbEUlRKiE_EESK_SO_SP_mSQ_ST_bEUlT_E_NS1_11comp_targetILNS1_3genE8ELNS1_11target_archE1030ELNS1_3gpuE2ELNS1_3repE0EEENS1_30default_config_static_selectorELNS0_4arch9wavefront6targetE1EEEvSN_
	.globl	_ZN7rocprim17ROCPRIM_400000_NS6detail17trampoline_kernelINS0_14default_configENS1_29binary_search_config_selectorIiiEEZNS1_14transform_implILb0ES3_S5_N6thrust23THRUST_200600_302600_NS6detail15normal_iteratorINS8_10device_ptrIiEEEESD_ZNS1_13binary_searchIS3_S5_SD_SD_SD_NS1_16binary_search_opENS9_16wrapped_functionINS0_4lessIvEEbEEEE10hipError_tPvRmT1_T2_T3_mmT4_T5_P12ihipStream_tbEUlRKiE_EESK_SO_SP_mSQ_ST_bEUlT_E_NS1_11comp_targetILNS1_3genE8ELNS1_11target_archE1030ELNS1_3gpuE2ELNS1_3repE0EEENS1_30default_config_static_selectorELNS0_4arch9wavefront6targetE1EEEvSN_
	.p2align	8
	.type	_ZN7rocprim17ROCPRIM_400000_NS6detail17trampoline_kernelINS0_14default_configENS1_29binary_search_config_selectorIiiEEZNS1_14transform_implILb0ES3_S5_N6thrust23THRUST_200600_302600_NS6detail15normal_iteratorINS8_10device_ptrIiEEEESD_ZNS1_13binary_searchIS3_S5_SD_SD_SD_NS1_16binary_search_opENS9_16wrapped_functionINS0_4lessIvEEbEEEE10hipError_tPvRmT1_T2_T3_mmT4_T5_P12ihipStream_tbEUlRKiE_EESK_SO_SP_mSQ_ST_bEUlT_E_NS1_11comp_targetILNS1_3genE8ELNS1_11target_archE1030ELNS1_3gpuE2ELNS1_3repE0EEENS1_30default_config_static_selectorELNS0_4arch9wavefront6targetE1EEEvSN_,@function
_ZN7rocprim17ROCPRIM_400000_NS6detail17trampoline_kernelINS0_14default_configENS1_29binary_search_config_selectorIiiEEZNS1_14transform_implILb0ES3_S5_N6thrust23THRUST_200600_302600_NS6detail15normal_iteratorINS8_10device_ptrIiEEEESD_ZNS1_13binary_searchIS3_S5_SD_SD_SD_NS1_16binary_search_opENS9_16wrapped_functionINS0_4lessIvEEbEEEE10hipError_tPvRmT1_T2_T3_mmT4_T5_P12ihipStream_tbEUlRKiE_EESK_SO_SP_mSQ_ST_bEUlT_E_NS1_11comp_targetILNS1_3genE8ELNS1_11target_archE1030ELNS1_3gpuE2ELNS1_3repE0EEENS1_30default_config_static_selectorELNS0_4arch9wavefront6targetE1EEEvSN_: ; @_ZN7rocprim17ROCPRIM_400000_NS6detail17trampoline_kernelINS0_14default_configENS1_29binary_search_config_selectorIiiEEZNS1_14transform_implILb0ES3_S5_N6thrust23THRUST_200600_302600_NS6detail15normal_iteratorINS8_10device_ptrIiEEEESD_ZNS1_13binary_searchIS3_S5_SD_SD_SD_NS1_16binary_search_opENS9_16wrapped_functionINS0_4lessIvEEbEEEE10hipError_tPvRmT1_T2_T3_mmT4_T5_P12ihipStream_tbEUlRKiE_EESK_SO_SP_mSQ_ST_bEUlT_E_NS1_11comp_targetILNS1_3genE8ELNS1_11target_archE1030ELNS1_3gpuE2ELNS1_3repE0EEENS1_30default_config_static_selectorELNS0_4arch9wavefront6targetE1EEEvSN_
; %bb.0:
	.section	.rodata,"a",@progbits
	.p2align	6, 0x0
	.amdhsa_kernel _ZN7rocprim17ROCPRIM_400000_NS6detail17trampoline_kernelINS0_14default_configENS1_29binary_search_config_selectorIiiEEZNS1_14transform_implILb0ES3_S5_N6thrust23THRUST_200600_302600_NS6detail15normal_iteratorINS8_10device_ptrIiEEEESD_ZNS1_13binary_searchIS3_S5_SD_SD_SD_NS1_16binary_search_opENS9_16wrapped_functionINS0_4lessIvEEbEEEE10hipError_tPvRmT1_T2_T3_mmT4_T5_P12ihipStream_tbEUlRKiE_EESK_SO_SP_mSQ_ST_bEUlT_E_NS1_11comp_targetILNS1_3genE8ELNS1_11target_archE1030ELNS1_3gpuE2ELNS1_3repE0EEENS1_30default_config_static_selectorELNS0_4arch9wavefront6targetE1EEEvSN_
		.amdhsa_group_segment_fixed_size 0
		.amdhsa_private_segment_fixed_size 0
		.amdhsa_kernarg_size 56
		.amdhsa_user_sgpr_count 6
		.amdhsa_user_sgpr_private_segment_buffer 1
		.amdhsa_user_sgpr_dispatch_ptr 0
		.amdhsa_user_sgpr_queue_ptr 0
		.amdhsa_user_sgpr_kernarg_segment_ptr 1
		.amdhsa_user_sgpr_dispatch_id 0
		.amdhsa_user_sgpr_flat_scratch_init 0
		.amdhsa_user_sgpr_kernarg_preload_length 0
		.amdhsa_user_sgpr_kernarg_preload_offset 0
		.amdhsa_user_sgpr_private_segment_size 0
		.amdhsa_uses_dynamic_stack 0
		.amdhsa_system_sgpr_private_segment_wavefront_offset 0
		.amdhsa_system_sgpr_workgroup_id_x 1
		.amdhsa_system_sgpr_workgroup_id_y 0
		.amdhsa_system_sgpr_workgroup_id_z 0
		.amdhsa_system_sgpr_workgroup_info 0
		.amdhsa_system_vgpr_workitem_id 0
		.amdhsa_next_free_vgpr 1
		.amdhsa_next_free_sgpr 0
		.amdhsa_accum_offset 4
		.amdhsa_reserve_vcc 0
		.amdhsa_reserve_flat_scratch 0
		.amdhsa_float_round_mode_32 0
		.amdhsa_float_round_mode_16_64 0
		.amdhsa_float_denorm_mode_32 3
		.amdhsa_float_denorm_mode_16_64 3
		.amdhsa_dx10_clamp 1
		.amdhsa_ieee_mode 1
		.amdhsa_fp16_overflow 0
		.amdhsa_tg_split 0
		.amdhsa_exception_fp_ieee_invalid_op 0
		.amdhsa_exception_fp_denorm_src 0
		.amdhsa_exception_fp_ieee_div_zero 0
		.amdhsa_exception_fp_ieee_overflow 0
		.amdhsa_exception_fp_ieee_underflow 0
		.amdhsa_exception_fp_ieee_inexact 0
		.amdhsa_exception_int_div_zero 0
	.end_amdhsa_kernel
	.section	.text._ZN7rocprim17ROCPRIM_400000_NS6detail17trampoline_kernelINS0_14default_configENS1_29binary_search_config_selectorIiiEEZNS1_14transform_implILb0ES3_S5_N6thrust23THRUST_200600_302600_NS6detail15normal_iteratorINS8_10device_ptrIiEEEESD_ZNS1_13binary_searchIS3_S5_SD_SD_SD_NS1_16binary_search_opENS9_16wrapped_functionINS0_4lessIvEEbEEEE10hipError_tPvRmT1_T2_T3_mmT4_T5_P12ihipStream_tbEUlRKiE_EESK_SO_SP_mSQ_ST_bEUlT_E_NS1_11comp_targetILNS1_3genE8ELNS1_11target_archE1030ELNS1_3gpuE2ELNS1_3repE0EEENS1_30default_config_static_selectorELNS0_4arch9wavefront6targetE1EEEvSN_,"axG",@progbits,_ZN7rocprim17ROCPRIM_400000_NS6detail17trampoline_kernelINS0_14default_configENS1_29binary_search_config_selectorIiiEEZNS1_14transform_implILb0ES3_S5_N6thrust23THRUST_200600_302600_NS6detail15normal_iteratorINS8_10device_ptrIiEEEESD_ZNS1_13binary_searchIS3_S5_SD_SD_SD_NS1_16binary_search_opENS9_16wrapped_functionINS0_4lessIvEEbEEEE10hipError_tPvRmT1_T2_T3_mmT4_T5_P12ihipStream_tbEUlRKiE_EESK_SO_SP_mSQ_ST_bEUlT_E_NS1_11comp_targetILNS1_3genE8ELNS1_11target_archE1030ELNS1_3gpuE2ELNS1_3repE0EEENS1_30default_config_static_selectorELNS0_4arch9wavefront6targetE1EEEvSN_,comdat
.Lfunc_end527:
	.size	_ZN7rocprim17ROCPRIM_400000_NS6detail17trampoline_kernelINS0_14default_configENS1_29binary_search_config_selectorIiiEEZNS1_14transform_implILb0ES3_S5_N6thrust23THRUST_200600_302600_NS6detail15normal_iteratorINS8_10device_ptrIiEEEESD_ZNS1_13binary_searchIS3_S5_SD_SD_SD_NS1_16binary_search_opENS9_16wrapped_functionINS0_4lessIvEEbEEEE10hipError_tPvRmT1_T2_T3_mmT4_T5_P12ihipStream_tbEUlRKiE_EESK_SO_SP_mSQ_ST_bEUlT_E_NS1_11comp_targetILNS1_3genE8ELNS1_11target_archE1030ELNS1_3gpuE2ELNS1_3repE0EEENS1_30default_config_static_selectorELNS0_4arch9wavefront6targetE1EEEvSN_, .Lfunc_end527-_ZN7rocprim17ROCPRIM_400000_NS6detail17trampoline_kernelINS0_14default_configENS1_29binary_search_config_selectorIiiEEZNS1_14transform_implILb0ES3_S5_N6thrust23THRUST_200600_302600_NS6detail15normal_iteratorINS8_10device_ptrIiEEEESD_ZNS1_13binary_searchIS3_S5_SD_SD_SD_NS1_16binary_search_opENS9_16wrapped_functionINS0_4lessIvEEbEEEE10hipError_tPvRmT1_T2_T3_mmT4_T5_P12ihipStream_tbEUlRKiE_EESK_SO_SP_mSQ_ST_bEUlT_E_NS1_11comp_targetILNS1_3genE8ELNS1_11target_archE1030ELNS1_3gpuE2ELNS1_3repE0EEENS1_30default_config_static_selectorELNS0_4arch9wavefront6targetE1EEEvSN_
                                        ; -- End function
	.section	.AMDGPU.csdata,"",@progbits
; Kernel info:
; codeLenInByte = 0
; NumSgprs: 4
; NumVgprs: 0
; NumAgprs: 0
; TotalNumVgprs: 0
; ScratchSize: 0
; MemoryBound: 0
; FloatMode: 240
; IeeeMode: 1
; LDSByteSize: 0 bytes/workgroup (compile time only)
; SGPRBlocks: 0
; VGPRBlocks: 0
; NumSGPRsForWavesPerEU: 4
; NumVGPRsForWavesPerEU: 1
; AccumOffset: 4
; Occupancy: 8
; WaveLimiterHint : 0
; COMPUTE_PGM_RSRC2:SCRATCH_EN: 0
; COMPUTE_PGM_RSRC2:USER_SGPR: 6
; COMPUTE_PGM_RSRC2:TRAP_HANDLER: 0
; COMPUTE_PGM_RSRC2:TGID_X_EN: 1
; COMPUTE_PGM_RSRC2:TGID_Y_EN: 0
; COMPUTE_PGM_RSRC2:TGID_Z_EN: 0
; COMPUTE_PGM_RSRC2:TIDIG_COMP_CNT: 0
; COMPUTE_PGM_RSRC3_GFX90A:ACCUM_OFFSET: 0
; COMPUTE_PGM_RSRC3_GFX90A:TG_SPLIT: 0
	.section	.text._ZN7rocprim17ROCPRIM_400000_NS6detail17trampoline_kernelINS0_14default_configENS1_29binary_search_config_selectorIsbEEZNS1_14transform_implILb0ES3_S5_N6thrust23THRUST_200600_302600_NS6detail15normal_iteratorINS8_10device_ptrIsEEEENSA_INSB_IbEEEEZNS1_13binary_searchIS3_S5_SD_SD_SF_NS1_16binary_search_opENS9_16wrapped_functionINS0_4lessIvEEbEEEE10hipError_tPvRmT1_T2_T3_mmT4_T5_P12ihipStream_tbEUlRKsE_EESM_SQ_SR_mSS_SV_bEUlT_E_NS1_11comp_targetILNS1_3genE0ELNS1_11target_archE4294967295ELNS1_3gpuE0ELNS1_3repE0EEENS1_30default_config_static_selectorELNS0_4arch9wavefront6targetE1EEEvSP_,"axG",@progbits,_ZN7rocprim17ROCPRIM_400000_NS6detail17trampoline_kernelINS0_14default_configENS1_29binary_search_config_selectorIsbEEZNS1_14transform_implILb0ES3_S5_N6thrust23THRUST_200600_302600_NS6detail15normal_iteratorINS8_10device_ptrIsEEEENSA_INSB_IbEEEEZNS1_13binary_searchIS3_S5_SD_SD_SF_NS1_16binary_search_opENS9_16wrapped_functionINS0_4lessIvEEbEEEE10hipError_tPvRmT1_T2_T3_mmT4_T5_P12ihipStream_tbEUlRKsE_EESM_SQ_SR_mSS_SV_bEUlT_E_NS1_11comp_targetILNS1_3genE0ELNS1_11target_archE4294967295ELNS1_3gpuE0ELNS1_3repE0EEENS1_30default_config_static_selectorELNS0_4arch9wavefront6targetE1EEEvSP_,comdat
	.protected	_ZN7rocprim17ROCPRIM_400000_NS6detail17trampoline_kernelINS0_14default_configENS1_29binary_search_config_selectorIsbEEZNS1_14transform_implILb0ES3_S5_N6thrust23THRUST_200600_302600_NS6detail15normal_iteratorINS8_10device_ptrIsEEEENSA_INSB_IbEEEEZNS1_13binary_searchIS3_S5_SD_SD_SF_NS1_16binary_search_opENS9_16wrapped_functionINS0_4lessIvEEbEEEE10hipError_tPvRmT1_T2_T3_mmT4_T5_P12ihipStream_tbEUlRKsE_EESM_SQ_SR_mSS_SV_bEUlT_E_NS1_11comp_targetILNS1_3genE0ELNS1_11target_archE4294967295ELNS1_3gpuE0ELNS1_3repE0EEENS1_30default_config_static_selectorELNS0_4arch9wavefront6targetE1EEEvSP_ ; -- Begin function _ZN7rocprim17ROCPRIM_400000_NS6detail17trampoline_kernelINS0_14default_configENS1_29binary_search_config_selectorIsbEEZNS1_14transform_implILb0ES3_S5_N6thrust23THRUST_200600_302600_NS6detail15normal_iteratorINS8_10device_ptrIsEEEENSA_INSB_IbEEEEZNS1_13binary_searchIS3_S5_SD_SD_SF_NS1_16binary_search_opENS9_16wrapped_functionINS0_4lessIvEEbEEEE10hipError_tPvRmT1_T2_T3_mmT4_T5_P12ihipStream_tbEUlRKsE_EESM_SQ_SR_mSS_SV_bEUlT_E_NS1_11comp_targetILNS1_3genE0ELNS1_11target_archE4294967295ELNS1_3gpuE0ELNS1_3repE0EEENS1_30default_config_static_selectorELNS0_4arch9wavefront6targetE1EEEvSP_
	.globl	_ZN7rocprim17ROCPRIM_400000_NS6detail17trampoline_kernelINS0_14default_configENS1_29binary_search_config_selectorIsbEEZNS1_14transform_implILb0ES3_S5_N6thrust23THRUST_200600_302600_NS6detail15normal_iteratorINS8_10device_ptrIsEEEENSA_INSB_IbEEEEZNS1_13binary_searchIS3_S5_SD_SD_SF_NS1_16binary_search_opENS9_16wrapped_functionINS0_4lessIvEEbEEEE10hipError_tPvRmT1_T2_T3_mmT4_T5_P12ihipStream_tbEUlRKsE_EESM_SQ_SR_mSS_SV_bEUlT_E_NS1_11comp_targetILNS1_3genE0ELNS1_11target_archE4294967295ELNS1_3gpuE0ELNS1_3repE0EEENS1_30default_config_static_selectorELNS0_4arch9wavefront6targetE1EEEvSP_
	.p2align	8
	.type	_ZN7rocprim17ROCPRIM_400000_NS6detail17trampoline_kernelINS0_14default_configENS1_29binary_search_config_selectorIsbEEZNS1_14transform_implILb0ES3_S5_N6thrust23THRUST_200600_302600_NS6detail15normal_iteratorINS8_10device_ptrIsEEEENSA_INSB_IbEEEEZNS1_13binary_searchIS3_S5_SD_SD_SF_NS1_16binary_search_opENS9_16wrapped_functionINS0_4lessIvEEbEEEE10hipError_tPvRmT1_T2_T3_mmT4_T5_P12ihipStream_tbEUlRKsE_EESM_SQ_SR_mSS_SV_bEUlT_E_NS1_11comp_targetILNS1_3genE0ELNS1_11target_archE4294967295ELNS1_3gpuE0ELNS1_3repE0EEENS1_30default_config_static_selectorELNS0_4arch9wavefront6targetE1EEEvSP_,@function
_ZN7rocprim17ROCPRIM_400000_NS6detail17trampoline_kernelINS0_14default_configENS1_29binary_search_config_selectorIsbEEZNS1_14transform_implILb0ES3_S5_N6thrust23THRUST_200600_302600_NS6detail15normal_iteratorINS8_10device_ptrIsEEEENSA_INSB_IbEEEEZNS1_13binary_searchIS3_S5_SD_SD_SF_NS1_16binary_search_opENS9_16wrapped_functionINS0_4lessIvEEbEEEE10hipError_tPvRmT1_T2_T3_mmT4_T5_P12ihipStream_tbEUlRKsE_EESM_SQ_SR_mSS_SV_bEUlT_E_NS1_11comp_targetILNS1_3genE0ELNS1_11target_archE4294967295ELNS1_3gpuE0ELNS1_3repE0EEENS1_30default_config_static_selectorELNS0_4arch9wavefront6targetE1EEEvSP_: ; @_ZN7rocprim17ROCPRIM_400000_NS6detail17trampoline_kernelINS0_14default_configENS1_29binary_search_config_selectorIsbEEZNS1_14transform_implILb0ES3_S5_N6thrust23THRUST_200600_302600_NS6detail15normal_iteratorINS8_10device_ptrIsEEEENSA_INSB_IbEEEEZNS1_13binary_searchIS3_S5_SD_SD_SF_NS1_16binary_search_opENS9_16wrapped_functionINS0_4lessIvEEbEEEE10hipError_tPvRmT1_T2_T3_mmT4_T5_P12ihipStream_tbEUlRKsE_EESM_SQ_SR_mSS_SV_bEUlT_E_NS1_11comp_targetILNS1_3genE0ELNS1_11target_archE4294967295ELNS1_3gpuE0ELNS1_3repE0EEENS1_30default_config_static_selectorELNS0_4arch9wavefront6targetE1EEEvSP_
; %bb.0:
	.section	.rodata,"a",@progbits
	.p2align	6, 0x0
	.amdhsa_kernel _ZN7rocprim17ROCPRIM_400000_NS6detail17trampoline_kernelINS0_14default_configENS1_29binary_search_config_selectorIsbEEZNS1_14transform_implILb0ES3_S5_N6thrust23THRUST_200600_302600_NS6detail15normal_iteratorINS8_10device_ptrIsEEEENSA_INSB_IbEEEEZNS1_13binary_searchIS3_S5_SD_SD_SF_NS1_16binary_search_opENS9_16wrapped_functionINS0_4lessIvEEbEEEE10hipError_tPvRmT1_T2_T3_mmT4_T5_P12ihipStream_tbEUlRKsE_EESM_SQ_SR_mSS_SV_bEUlT_E_NS1_11comp_targetILNS1_3genE0ELNS1_11target_archE4294967295ELNS1_3gpuE0ELNS1_3repE0EEENS1_30default_config_static_selectorELNS0_4arch9wavefront6targetE1EEEvSP_
		.amdhsa_group_segment_fixed_size 0
		.amdhsa_private_segment_fixed_size 0
		.amdhsa_kernarg_size 56
		.amdhsa_user_sgpr_count 6
		.amdhsa_user_sgpr_private_segment_buffer 1
		.amdhsa_user_sgpr_dispatch_ptr 0
		.amdhsa_user_sgpr_queue_ptr 0
		.amdhsa_user_sgpr_kernarg_segment_ptr 1
		.amdhsa_user_sgpr_dispatch_id 0
		.amdhsa_user_sgpr_flat_scratch_init 0
		.amdhsa_user_sgpr_kernarg_preload_length 0
		.amdhsa_user_sgpr_kernarg_preload_offset 0
		.amdhsa_user_sgpr_private_segment_size 0
		.amdhsa_uses_dynamic_stack 0
		.amdhsa_system_sgpr_private_segment_wavefront_offset 0
		.amdhsa_system_sgpr_workgroup_id_x 1
		.amdhsa_system_sgpr_workgroup_id_y 0
		.amdhsa_system_sgpr_workgroup_id_z 0
		.amdhsa_system_sgpr_workgroup_info 0
		.amdhsa_system_vgpr_workitem_id 0
		.amdhsa_next_free_vgpr 1
		.amdhsa_next_free_sgpr 0
		.amdhsa_accum_offset 4
		.amdhsa_reserve_vcc 0
		.amdhsa_reserve_flat_scratch 0
		.amdhsa_float_round_mode_32 0
		.amdhsa_float_round_mode_16_64 0
		.amdhsa_float_denorm_mode_32 3
		.amdhsa_float_denorm_mode_16_64 3
		.amdhsa_dx10_clamp 1
		.amdhsa_ieee_mode 1
		.amdhsa_fp16_overflow 0
		.amdhsa_tg_split 0
		.amdhsa_exception_fp_ieee_invalid_op 0
		.amdhsa_exception_fp_denorm_src 0
		.amdhsa_exception_fp_ieee_div_zero 0
		.amdhsa_exception_fp_ieee_overflow 0
		.amdhsa_exception_fp_ieee_underflow 0
		.amdhsa_exception_fp_ieee_inexact 0
		.amdhsa_exception_int_div_zero 0
	.end_amdhsa_kernel
	.section	.text._ZN7rocprim17ROCPRIM_400000_NS6detail17trampoline_kernelINS0_14default_configENS1_29binary_search_config_selectorIsbEEZNS1_14transform_implILb0ES3_S5_N6thrust23THRUST_200600_302600_NS6detail15normal_iteratorINS8_10device_ptrIsEEEENSA_INSB_IbEEEEZNS1_13binary_searchIS3_S5_SD_SD_SF_NS1_16binary_search_opENS9_16wrapped_functionINS0_4lessIvEEbEEEE10hipError_tPvRmT1_T2_T3_mmT4_T5_P12ihipStream_tbEUlRKsE_EESM_SQ_SR_mSS_SV_bEUlT_E_NS1_11comp_targetILNS1_3genE0ELNS1_11target_archE4294967295ELNS1_3gpuE0ELNS1_3repE0EEENS1_30default_config_static_selectorELNS0_4arch9wavefront6targetE1EEEvSP_,"axG",@progbits,_ZN7rocprim17ROCPRIM_400000_NS6detail17trampoline_kernelINS0_14default_configENS1_29binary_search_config_selectorIsbEEZNS1_14transform_implILb0ES3_S5_N6thrust23THRUST_200600_302600_NS6detail15normal_iteratorINS8_10device_ptrIsEEEENSA_INSB_IbEEEEZNS1_13binary_searchIS3_S5_SD_SD_SF_NS1_16binary_search_opENS9_16wrapped_functionINS0_4lessIvEEbEEEE10hipError_tPvRmT1_T2_T3_mmT4_T5_P12ihipStream_tbEUlRKsE_EESM_SQ_SR_mSS_SV_bEUlT_E_NS1_11comp_targetILNS1_3genE0ELNS1_11target_archE4294967295ELNS1_3gpuE0ELNS1_3repE0EEENS1_30default_config_static_selectorELNS0_4arch9wavefront6targetE1EEEvSP_,comdat
.Lfunc_end528:
	.size	_ZN7rocprim17ROCPRIM_400000_NS6detail17trampoline_kernelINS0_14default_configENS1_29binary_search_config_selectorIsbEEZNS1_14transform_implILb0ES3_S5_N6thrust23THRUST_200600_302600_NS6detail15normal_iteratorINS8_10device_ptrIsEEEENSA_INSB_IbEEEEZNS1_13binary_searchIS3_S5_SD_SD_SF_NS1_16binary_search_opENS9_16wrapped_functionINS0_4lessIvEEbEEEE10hipError_tPvRmT1_T2_T3_mmT4_T5_P12ihipStream_tbEUlRKsE_EESM_SQ_SR_mSS_SV_bEUlT_E_NS1_11comp_targetILNS1_3genE0ELNS1_11target_archE4294967295ELNS1_3gpuE0ELNS1_3repE0EEENS1_30default_config_static_selectorELNS0_4arch9wavefront6targetE1EEEvSP_, .Lfunc_end528-_ZN7rocprim17ROCPRIM_400000_NS6detail17trampoline_kernelINS0_14default_configENS1_29binary_search_config_selectorIsbEEZNS1_14transform_implILb0ES3_S5_N6thrust23THRUST_200600_302600_NS6detail15normal_iteratorINS8_10device_ptrIsEEEENSA_INSB_IbEEEEZNS1_13binary_searchIS3_S5_SD_SD_SF_NS1_16binary_search_opENS9_16wrapped_functionINS0_4lessIvEEbEEEE10hipError_tPvRmT1_T2_T3_mmT4_T5_P12ihipStream_tbEUlRKsE_EESM_SQ_SR_mSS_SV_bEUlT_E_NS1_11comp_targetILNS1_3genE0ELNS1_11target_archE4294967295ELNS1_3gpuE0ELNS1_3repE0EEENS1_30default_config_static_selectorELNS0_4arch9wavefront6targetE1EEEvSP_
                                        ; -- End function
	.section	.AMDGPU.csdata,"",@progbits
; Kernel info:
; codeLenInByte = 0
; NumSgprs: 4
; NumVgprs: 0
; NumAgprs: 0
; TotalNumVgprs: 0
; ScratchSize: 0
; MemoryBound: 0
; FloatMode: 240
; IeeeMode: 1
; LDSByteSize: 0 bytes/workgroup (compile time only)
; SGPRBlocks: 0
; VGPRBlocks: 0
; NumSGPRsForWavesPerEU: 4
; NumVGPRsForWavesPerEU: 1
; AccumOffset: 4
; Occupancy: 8
; WaveLimiterHint : 0
; COMPUTE_PGM_RSRC2:SCRATCH_EN: 0
; COMPUTE_PGM_RSRC2:USER_SGPR: 6
; COMPUTE_PGM_RSRC2:TRAP_HANDLER: 0
; COMPUTE_PGM_RSRC2:TGID_X_EN: 1
; COMPUTE_PGM_RSRC2:TGID_Y_EN: 0
; COMPUTE_PGM_RSRC2:TGID_Z_EN: 0
; COMPUTE_PGM_RSRC2:TIDIG_COMP_CNT: 0
; COMPUTE_PGM_RSRC3_GFX90A:ACCUM_OFFSET: 0
; COMPUTE_PGM_RSRC3_GFX90A:TG_SPLIT: 0
	.section	.text._ZN7rocprim17ROCPRIM_400000_NS6detail17trampoline_kernelINS0_14default_configENS1_29binary_search_config_selectorIsbEEZNS1_14transform_implILb0ES3_S5_N6thrust23THRUST_200600_302600_NS6detail15normal_iteratorINS8_10device_ptrIsEEEENSA_INSB_IbEEEEZNS1_13binary_searchIS3_S5_SD_SD_SF_NS1_16binary_search_opENS9_16wrapped_functionINS0_4lessIvEEbEEEE10hipError_tPvRmT1_T2_T3_mmT4_T5_P12ihipStream_tbEUlRKsE_EESM_SQ_SR_mSS_SV_bEUlT_E_NS1_11comp_targetILNS1_3genE5ELNS1_11target_archE942ELNS1_3gpuE9ELNS1_3repE0EEENS1_30default_config_static_selectorELNS0_4arch9wavefront6targetE1EEEvSP_,"axG",@progbits,_ZN7rocprim17ROCPRIM_400000_NS6detail17trampoline_kernelINS0_14default_configENS1_29binary_search_config_selectorIsbEEZNS1_14transform_implILb0ES3_S5_N6thrust23THRUST_200600_302600_NS6detail15normal_iteratorINS8_10device_ptrIsEEEENSA_INSB_IbEEEEZNS1_13binary_searchIS3_S5_SD_SD_SF_NS1_16binary_search_opENS9_16wrapped_functionINS0_4lessIvEEbEEEE10hipError_tPvRmT1_T2_T3_mmT4_T5_P12ihipStream_tbEUlRKsE_EESM_SQ_SR_mSS_SV_bEUlT_E_NS1_11comp_targetILNS1_3genE5ELNS1_11target_archE942ELNS1_3gpuE9ELNS1_3repE0EEENS1_30default_config_static_selectorELNS0_4arch9wavefront6targetE1EEEvSP_,comdat
	.protected	_ZN7rocprim17ROCPRIM_400000_NS6detail17trampoline_kernelINS0_14default_configENS1_29binary_search_config_selectorIsbEEZNS1_14transform_implILb0ES3_S5_N6thrust23THRUST_200600_302600_NS6detail15normal_iteratorINS8_10device_ptrIsEEEENSA_INSB_IbEEEEZNS1_13binary_searchIS3_S5_SD_SD_SF_NS1_16binary_search_opENS9_16wrapped_functionINS0_4lessIvEEbEEEE10hipError_tPvRmT1_T2_T3_mmT4_T5_P12ihipStream_tbEUlRKsE_EESM_SQ_SR_mSS_SV_bEUlT_E_NS1_11comp_targetILNS1_3genE5ELNS1_11target_archE942ELNS1_3gpuE9ELNS1_3repE0EEENS1_30default_config_static_selectorELNS0_4arch9wavefront6targetE1EEEvSP_ ; -- Begin function _ZN7rocprim17ROCPRIM_400000_NS6detail17trampoline_kernelINS0_14default_configENS1_29binary_search_config_selectorIsbEEZNS1_14transform_implILb0ES3_S5_N6thrust23THRUST_200600_302600_NS6detail15normal_iteratorINS8_10device_ptrIsEEEENSA_INSB_IbEEEEZNS1_13binary_searchIS3_S5_SD_SD_SF_NS1_16binary_search_opENS9_16wrapped_functionINS0_4lessIvEEbEEEE10hipError_tPvRmT1_T2_T3_mmT4_T5_P12ihipStream_tbEUlRKsE_EESM_SQ_SR_mSS_SV_bEUlT_E_NS1_11comp_targetILNS1_3genE5ELNS1_11target_archE942ELNS1_3gpuE9ELNS1_3repE0EEENS1_30default_config_static_selectorELNS0_4arch9wavefront6targetE1EEEvSP_
	.globl	_ZN7rocprim17ROCPRIM_400000_NS6detail17trampoline_kernelINS0_14default_configENS1_29binary_search_config_selectorIsbEEZNS1_14transform_implILb0ES3_S5_N6thrust23THRUST_200600_302600_NS6detail15normal_iteratorINS8_10device_ptrIsEEEENSA_INSB_IbEEEEZNS1_13binary_searchIS3_S5_SD_SD_SF_NS1_16binary_search_opENS9_16wrapped_functionINS0_4lessIvEEbEEEE10hipError_tPvRmT1_T2_T3_mmT4_T5_P12ihipStream_tbEUlRKsE_EESM_SQ_SR_mSS_SV_bEUlT_E_NS1_11comp_targetILNS1_3genE5ELNS1_11target_archE942ELNS1_3gpuE9ELNS1_3repE0EEENS1_30default_config_static_selectorELNS0_4arch9wavefront6targetE1EEEvSP_
	.p2align	8
	.type	_ZN7rocprim17ROCPRIM_400000_NS6detail17trampoline_kernelINS0_14default_configENS1_29binary_search_config_selectorIsbEEZNS1_14transform_implILb0ES3_S5_N6thrust23THRUST_200600_302600_NS6detail15normal_iteratorINS8_10device_ptrIsEEEENSA_INSB_IbEEEEZNS1_13binary_searchIS3_S5_SD_SD_SF_NS1_16binary_search_opENS9_16wrapped_functionINS0_4lessIvEEbEEEE10hipError_tPvRmT1_T2_T3_mmT4_T5_P12ihipStream_tbEUlRKsE_EESM_SQ_SR_mSS_SV_bEUlT_E_NS1_11comp_targetILNS1_3genE5ELNS1_11target_archE942ELNS1_3gpuE9ELNS1_3repE0EEENS1_30default_config_static_selectorELNS0_4arch9wavefront6targetE1EEEvSP_,@function
_ZN7rocprim17ROCPRIM_400000_NS6detail17trampoline_kernelINS0_14default_configENS1_29binary_search_config_selectorIsbEEZNS1_14transform_implILb0ES3_S5_N6thrust23THRUST_200600_302600_NS6detail15normal_iteratorINS8_10device_ptrIsEEEENSA_INSB_IbEEEEZNS1_13binary_searchIS3_S5_SD_SD_SF_NS1_16binary_search_opENS9_16wrapped_functionINS0_4lessIvEEbEEEE10hipError_tPvRmT1_T2_T3_mmT4_T5_P12ihipStream_tbEUlRKsE_EESM_SQ_SR_mSS_SV_bEUlT_E_NS1_11comp_targetILNS1_3genE5ELNS1_11target_archE942ELNS1_3gpuE9ELNS1_3repE0EEENS1_30default_config_static_selectorELNS0_4arch9wavefront6targetE1EEEvSP_: ; @_ZN7rocprim17ROCPRIM_400000_NS6detail17trampoline_kernelINS0_14default_configENS1_29binary_search_config_selectorIsbEEZNS1_14transform_implILb0ES3_S5_N6thrust23THRUST_200600_302600_NS6detail15normal_iteratorINS8_10device_ptrIsEEEENSA_INSB_IbEEEEZNS1_13binary_searchIS3_S5_SD_SD_SF_NS1_16binary_search_opENS9_16wrapped_functionINS0_4lessIvEEbEEEE10hipError_tPvRmT1_T2_T3_mmT4_T5_P12ihipStream_tbEUlRKsE_EESM_SQ_SR_mSS_SV_bEUlT_E_NS1_11comp_targetILNS1_3genE5ELNS1_11target_archE942ELNS1_3gpuE9ELNS1_3repE0EEENS1_30default_config_static_selectorELNS0_4arch9wavefront6targetE1EEEvSP_
; %bb.0:
	.section	.rodata,"a",@progbits
	.p2align	6, 0x0
	.amdhsa_kernel _ZN7rocprim17ROCPRIM_400000_NS6detail17trampoline_kernelINS0_14default_configENS1_29binary_search_config_selectorIsbEEZNS1_14transform_implILb0ES3_S5_N6thrust23THRUST_200600_302600_NS6detail15normal_iteratorINS8_10device_ptrIsEEEENSA_INSB_IbEEEEZNS1_13binary_searchIS3_S5_SD_SD_SF_NS1_16binary_search_opENS9_16wrapped_functionINS0_4lessIvEEbEEEE10hipError_tPvRmT1_T2_T3_mmT4_T5_P12ihipStream_tbEUlRKsE_EESM_SQ_SR_mSS_SV_bEUlT_E_NS1_11comp_targetILNS1_3genE5ELNS1_11target_archE942ELNS1_3gpuE9ELNS1_3repE0EEENS1_30default_config_static_selectorELNS0_4arch9wavefront6targetE1EEEvSP_
		.amdhsa_group_segment_fixed_size 0
		.amdhsa_private_segment_fixed_size 0
		.amdhsa_kernarg_size 56
		.amdhsa_user_sgpr_count 6
		.amdhsa_user_sgpr_private_segment_buffer 1
		.amdhsa_user_sgpr_dispatch_ptr 0
		.amdhsa_user_sgpr_queue_ptr 0
		.amdhsa_user_sgpr_kernarg_segment_ptr 1
		.amdhsa_user_sgpr_dispatch_id 0
		.amdhsa_user_sgpr_flat_scratch_init 0
		.amdhsa_user_sgpr_kernarg_preload_length 0
		.amdhsa_user_sgpr_kernarg_preload_offset 0
		.amdhsa_user_sgpr_private_segment_size 0
		.amdhsa_uses_dynamic_stack 0
		.amdhsa_system_sgpr_private_segment_wavefront_offset 0
		.amdhsa_system_sgpr_workgroup_id_x 1
		.amdhsa_system_sgpr_workgroup_id_y 0
		.amdhsa_system_sgpr_workgroup_id_z 0
		.amdhsa_system_sgpr_workgroup_info 0
		.amdhsa_system_vgpr_workitem_id 0
		.amdhsa_next_free_vgpr 1
		.amdhsa_next_free_sgpr 0
		.amdhsa_accum_offset 4
		.amdhsa_reserve_vcc 0
		.amdhsa_reserve_flat_scratch 0
		.amdhsa_float_round_mode_32 0
		.amdhsa_float_round_mode_16_64 0
		.amdhsa_float_denorm_mode_32 3
		.amdhsa_float_denorm_mode_16_64 3
		.amdhsa_dx10_clamp 1
		.amdhsa_ieee_mode 1
		.amdhsa_fp16_overflow 0
		.amdhsa_tg_split 0
		.amdhsa_exception_fp_ieee_invalid_op 0
		.amdhsa_exception_fp_denorm_src 0
		.amdhsa_exception_fp_ieee_div_zero 0
		.amdhsa_exception_fp_ieee_overflow 0
		.amdhsa_exception_fp_ieee_underflow 0
		.amdhsa_exception_fp_ieee_inexact 0
		.amdhsa_exception_int_div_zero 0
	.end_amdhsa_kernel
	.section	.text._ZN7rocprim17ROCPRIM_400000_NS6detail17trampoline_kernelINS0_14default_configENS1_29binary_search_config_selectorIsbEEZNS1_14transform_implILb0ES3_S5_N6thrust23THRUST_200600_302600_NS6detail15normal_iteratorINS8_10device_ptrIsEEEENSA_INSB_IbEEEEZNS1_13binary_searchIS3_S5_SD_SD_SF_NS1_16binary_search_opENS9_16wrapped_functionINS0_4lessIvEEbEEEE10hipError_tPvRmT1_T2_T3_mmT4_T5_P12ihipStream_tbEUlRKsE_EESM_SQ_SR_mSS_SV_bEUlT_E_NS1_11comp_targetILNS1_3genE5ELNS1_11target_archE942ELNS1_3gpuE9ELNS1_3repE0EEENS1_30default_config_static_selectorELNS0_4arch9wavefront6targetE1EEEvSP_,"axG",@progbits,_ZN7rocprim17ROCPRIM_400000_NS6detail17trampoline_kernelINS0_14default_configENS1_29binary_search_config_selectorIsbEEZNS1_14transform_implILb0ES3_S5_N6thrust23THRUST_200600_302600_NS6detail15normal_iteratorINS8_10device_ptrIsEEEENSA_INSB_IbEEEEZNS1_13binary_searchIS3_S5_SD_SD_SF_NS1_16binary_search_opENS9_16wrapped_functionINS0_4lessIvEEbEEEE10hipError_tPvRmT1_T2_T3_mmT4_T5_P12ihipStream_tbEUlRKsE_EESM_SQ_SR_mSS_SV_bEUlT_E_NS1_11comp_targetILNS1_3genE5ELNS1_11target_archE942ELNS1_3gpuE9ELNS1_3repE0EEENS1_30default_config_static_selectorELNS0_4arch9wavefront6targetE1EEEvSP_,comdat
.Lfunc_end529:
	.size	_ZN7rocprim17ROCPRIM_400000_NS6detail17trampoline_kernelINS0_14default_configENS1_29binary_search_config_selectorIsbEEZNS1_14transform_implILb0ES3_S5_N6thrust23THRUST_200600_302600_NS6detail15normal_iteratorINS8_10device_ptrIsEEEENSA_INSB_IbEEEEZNS1_13binary_searchIS3_S5_SD_SD_SF_NS1_16binary_search_opENS9_16wrapped_functionINS0_4lessIvEEbEEEE10hipError_tPvRmT1_T2_T3_mmT4_T5_P12ihipStream_tbEUlRKsE_EESM_SQ_SR_mSS_SV_bEUlT_E_NS1_11comp_targetILNS1_3genE5ELNS1_11target_archE942ELNS1_3gpuE9ELNS1_3repE0EEENS1_30default_config_static_selectorELNS0_4arch9wavefront6targetE1EEEvSP_, .Lfunc_end529-_ZN7rocprim17ROCPRIM_400000_NS6detail17trampoline_kernelINS0_14default_configENS1_29binary_search_config_selectorIsbEEZNS1_14transform_implILb0ES3_S5_N6thrust23THRUST_200600_302600_NS6detail15normal_iteratorINS8_10device_ptrIsEEEENSA_INSB_IbEEEEZNS1_13binary_searchIS3_S5_SD_SD_SF_NS1_16binary_search_opENS9_16wrapped_functionINS0_4lessIvEEbEEEE10hipError_tPvRmT1_T2_T3_mmT4_T5_P12ihipStream_tbEUlRKsE_EESM_SQ_SR_mSS_SV_bEUlT_E_NS1_11comp_targetILNS1_3genE5ELNS1_11target_archE942ELNS1_3gpuE9ELNS1_3repE0EEENS1_30default_config_static_selectorELNS0_4arch9wavefront6targetE1EEEvSP_
                                        ; -- End function
	.section	.AMDGPU.csdata,"",@progbits
; Kernel info:
; codeLenInByte = 0
; NumSgprs: 4
; NumVgprs: 0
; NumAgprs: 0
; TotalNumVgprs: 0
; ScratchSize: 0
; MemoryBound: 0
; FloatMode: 240
; IeeeMode: 1
; LDSByteSize: 0 bytes/workgroup (compile time only)
; SGPRBlocks: 0
; VGPRBlocks: 0
; NumSGPRsForWavesPerEU: 4
; NumVGPRsForWavesPerEU: 1
; AccumOffset: 4
; Occupancy: 8
; WaveLimiterHint : 0
; COMPUTE_PGM_RSRC2:SCRATCH_EN: 0
; COMPUTE_PGM_RSRC2:USER_SGPR: 6
; COMPUTE_PGM_RSRC2:TRAP_HANDLER: 0
; COMPUTE_PGM_RSRC2:TGID_X_EN: 1
; COMPUTE_PGM_RSRC2:TGID_Y_EN: 0
; COMPUTE_PGM_RSRC2:TGID_Z_EN: 0
; COMPUTE_PGM_RSRC2:TIDIG_COMP_CNT: 0
; COMPUTE_PGM_RSRC3_GFX90A:ACCUM_OFFSET: 0
; COMPUTE_PGM_RSRC3_GFX90A:TG_SPLIT: 0
	.section	.text._ZN7rocprim17ROCPRIM_400000_NS6detail17trampoline_kernelINS0_14default_configENS1_29binary_search_config_selectorIsbEEZNS1_14transform_implILb0ES3_S5_N6thrust23THRUST_200600_302600_NS6detail15normal_iteratorINS8_10device_ptrIsEEEENSA_INSB_IbEEEEZNS1_13binary_searchIS3_S5_SD_SD_SF_NS1_16binary_search_opENS9_16wrapped_functionINS0_4lessIvEEbEEEE10hipError_tPvRmT1_T2_T3_mmT4_T5_P12ihipStream_tbEUlRKsE_EESM_SQ_SR_mSS_SV_bEUlT_E_NS1_11comp_targetILNS1_3genE4ELNS1_11target_archE910ELNS1_3gpuE8ELNS1_3repE0EEENS1_30default_config_static_selectorELNS0_4arch9wavefront6targetE1EEEvSP_,"axG",@progbits,_ZN7rocprim17ROCPRIM_400000_NS6detail17trampoline_kernelINS0_14default_configENS1_29binary_search_config_selectorIsbEEZNS1_14transform_implILb0ES3_S5_N6thrust23THRUST_200600_302600_NS6detail15normal_iteratorINS8_10device_ptrIsEEEENSA_INSB_IbEEEEZNS1_13binary_searchIS3_S5_SD_SD_SF_NS1_16binary_search_opENS9_16wrapped_functionINS0_4lessIvEEbEEEE10hipError_tPvRmT1_T2_T3_mmT4_T5_P12ihipStream_tbEUlRKsE_EESM_SQ_SR_mSS_SV_bEUlT_E_NS1_11comp_targetILNS1_3genE4ELNS1_11target_archE910ELNS1_3gpuE8ELNS1_3repE0EEENS1_30default_config_static_selectorELNS0_4arch9wavefront6targetE1EEEvSP_,comdat
	.protected	_ZN7rocprim17ROCPRIM_400000_NS6detail17trampoline_kernelINS0_14default_configENS1_29binary_search_config_selectorIsbEEZNS1_14transform_implILb0ES3_S5_N6thrust23THRUST_200600_302600_NS6detail15normal_iteratorINS8_10device_ptrIsEEEENSA_INSB_IbEEEEZNS1_13binary_searchIS3_S5_SD_SD_SF_NS1_16binary_search_opENS9_16wrapped_functionINS0_4lessIvEEbEEEE10hipError_tPvRmT1_T2_T3_mmT4_T5_P12ihipStream_tbEUlRKsE_EESM_SQ_SR_mSS_SV_bEUlT_E_NS1_11comp_targetILNS1_3genE4ELNS1_11target_archE910ELNS1_3gpuE8ELNS1_3repE0EEENS1_30default_config_static_selectorELNS0_4arch9wavefront6targetE1EEEvSP_ ; -- Begin function _ZN7rocprim17ROCPRIM_400000_NS6detail17trampoline_kernelINS0_14default_configENS1_29binary_search_config_selectorIsbEEZNS1_14transform_implILb0ES3_S5_N6thrust23THRUST_200600_302600_NS6detail15normal_iteratorINS8_10device_ptrIsEEEENSA_INSB_IbEEEEZNS1_13binary_searchIS3_S5_SD_SD_SF_NS1_16binary_search_opENS9_16wrapped_functionINS0_4lessIvEEbEEEE10hipError_tPvRmT1_T2_T3_mmT4_T5_P12ihipStream_tbEUlRKsE_EESM_SQ_SR_mSS_SV_bEUlT_E_NS1_11comp_targetILNS1_3genE4ELNS1_11target_archE910ELNS1_3gpuE8ELNS1_3repE0EEENS1_30default_config_static_selectorELNS0_4arch9wavefront6targetE1EEEvSP_
	.globl	_ZN7rocprim17ROCPRIM_400000_NS6detail17trampoline_kernelINS0_14default_configENS1_29binary_search_config_selectorIsbEEZNS1_14transform_implILb0ES3_S5_N6thrust23THRUST_200600_302600_NS6detail15normal_iteratorINS8_10device_ptrIsEEEENSA_INSB_IbEEEEZNS1_13binary_searchIS3_S5_SD_SD_SF_NS1_16binary_search_opENS9_16wrapped_functionINS0_4lessIvEEbEEEE10hipError_tPvRmT1_T2_T3_mmT4_T5_P12ihipStream_tbEUlRKsE_EESM_SQ_SR_mSS_SV_bEUlT_E_NS1_11comp_targetILNS1_3genE4ELNS1_11target_archE910ELNS1_3gpuE8ELNS1_3repE0EEENS1_30default_config_static_selectorELNS0_4arch9wavefront6targetE1EEEvSP_
	.p2align	8
	.type	_ZN7rocprim17ROCPRIM_400000_NS6detail17trampoline_kernelINS0_14default_configENS1_29binary_search_config_selectorIsbEEZNS1_14transform_implILb0ES3_S5_N6thrust23THRUST_200600_302600_NS6detail15normal_iteratorINS8_10device_ptrIsEEEENSA_INSB_IbEEEEZNS1_13binary_searchIS3_S5_SD_SD_SF_NS1_16binary_search_opENS9_16wrapped_functionINS0_4lessIvEEbEEEE10hipError_tPvRmT1_T2_T3_mmT4_T5_P12ihipStream_tbEUlRKsE_EESM_SQ_SR_mSS_SV_bEUlT_E_NS1_11comp_targetILNS1_3genE4ELNS1_11target_archE910ELNS1_3gpuE8ELNS1_3repE0EEENS1_30default_config_static_selectorELNS0_4arch9wavefront6targetE1EEEvSP_,@function
_ZN7rocprim17ROCPRIM_400000_NS6detail17trampoline_kernelINS0_14default_configENS1_29binary_search_config_selectorIsbEEZNS1_14transform_implILb0ES3_S5_N6thrust23THRUST_200600_302600_NS6detail15normal_iteratorINS8_10device_ptrIsEEEENSA_INSB_IbEEEEZNS1_13binary_searchIS3_S5_SD_SD_SF_NS1_16binary_search_opENS9_16wrapped_functionINS0_4lessIvEEbEEEE10hipError_tPvRmT1_T2_T3_mmT4_T5_P12ihipStream_tbEUlRKsE_EESM_SQ_SR_mSS_SV_bEUlT_E_NS1_11comp_targetILNS1_3genE4ELNS1_11target_archE910ELNS1_3gpuE8ELNS1_3repE0EEENS1_30default_config_static_selectorELNS0_4arch9wavefront6targetE1EEEvSP_: ; @_ZN7rocprim17ROCPRIM_400000_NS6detail17trampoline_kernelINS0_14default_configENS1_29binary_search_config_selectorIsbEEZNS1_14transform_implILb0ES3_S5_N6thrust23THRUST_200600_302600_NS6detail15normal_iteratorINS8_10device_ptrIsEEEENSA_INSB_IbEEEEZNS1_13binary_searchIS3_S5_SD_SD_SF_NS1_16binary_search_opENS9_16wrapped_functionINS0_4lessIvEEbEEEE10hipError_tPvRmT1_T2_T3_mmT4_T5_P12ihipStream_tbEUlRKsE_EESM_SQ_SR_mSS_SV_bEUlT_E_NS1_11comp_targetILNS1_3genE4ELNS1_11target_archE910ELNS1_3gpuE8ELNS1_3repE0EEENS1_30default_config_static_selectorELNS0_4arch9wavefront6targetE1EEEvSP_
; %bb.0:
	s_load_dwordx4 s[12:15], s[4:5], 0x0
	s_load_dwordx4 s[0:3], s[4:5], 0x18
	s_load_dwordx2 s[10:11], s[4:5], 0x28
	s_load_dword s7, s[4:5], 0x38
	s_waitcnt lgkmcnt(0)
	s_lshl_b64 s[8:9], s[14:15], 1
	s_add_u32 s16, s12, s8
	s_addc_u32 s17, s13, s9
	s_add_u32 s14, s0, s14
	s_addc_u32 s15, s1, s15
	s_lshl_b32 s8, s6, 8
	s_add_i32 s7, s7, -1
	s_mov_b32 s9, 0
	s_cmp_lg_u32 s6, s7
	s_mov_b64 s[0:1], -1
	s_cbranch_scc0 .LBB530_8
; %bb.1:
	s_lshl_b64 s[0:1], s[8:9], 1
	s_add_u32 s0, s16, s0
	s_addc_u32 s1, s17, s1
	v_lshlrev_b32_e32 v1, 1, v0
	v_mov_b32_e32 v3, s1
	v_add_co_u32_e32 v2, vcc, s0, v1
	v_addc_co_u32_e32 v3, vcc, 0, v3, vcc
	flat_load_ushort v1, v[2:3]
	s_mov_b64 s[0:1], 0
	s_cmp_eq_u64 s[10:11], 0
	v_pk_mov_b32 v[2:3], 0, 0
	s_cbranch_scc1 .LBB530_5
; %bb.2:
	v_pk_mov_b32 v[2:3], 0, 0
	v_pk_mov_b32 v[4:5], s[10:11], s[10:11] op_sel:[0,1]
	v_mov_b32_e32 v6, s3
.LBB530_3:                              ; =>This Inner Loop Header: Depth=1
	v_sub_co_u32_e32 v8, vcc, v4, v2
	v_subb_co_u32_e32 v9, vcc, v5, v3, vcc
	v_lshrrev_b64 v[10:11], 1, v[8:9]
	v_add_co_u32_e32 v7, vcc, v10, v2
	v_lshrrev_b64 v[8:9], 6, v[8:9]
	v_addc_co_u32_e32 v10, vcc, v11, v3, vcc
	v_add_co_u32_e32 v8, vcc, v7, v8
	v_addc_co_u32_e32 v9, vcc, v10, v9, vcc
	v_lshlrev_b64 v[10:11], 1, v[8:9]
	v_add_co_u32_e32 v10, vcc, s2, v10
	v_addc_co_u32_e32 v11, vcc, v6, v11, vcc
	global_load_ushort v7, v[10:11], off
	v_add_co_u32_e32 v10, vcc, 1, v8
	v_addc_co_u32_e32 v11, vcc, 0, v9, vcc
	s_waitcnt vmcnt(0) lgkmcnt(0)
	v_cmp_lt_i16_e32 vcc, v7, v1
	v_cndmask_b32_e32 v5, v9, v5, vcc
	v_cndmask_b32_e32 v4, v8, v4, vcc
	;; [unrolled: 1-line block ×4, first 2 shown]
	v_cmp_ge_u64_e32 vcc, v[2:3], v[4:5]
	s_or_b64 s[0:1], vcc, s[0:1]
	s_andn2_b64 exec, exec, s[0:1]
	s_cbranch_execnz .LBB530_3
; %bb.4:
	s_or_b64 exec, exec, s[0:1]
.LBB530_5:
	v_cmp_ne_u64_e32 vcc, s[10:11], v[2:3]
	s_mov_b64 s[0:1], 0
	s_mov_b64 s[12:13], 0
	s_and_saveexec_b64 s[6:7], vcc
	s_cbranch_execz .LBB530_7
; %bb.6:
	v_lshlrev_b64 v[2:3], 1, v[2:3]
	v_mov_b32_e32 v4, s3
	v_add_co_u32_e32 v2, vcc, s2, v2
	v_addc_co_u32_e32 v3, vcc, v4, v3, vcc
	global_load_ushort v2, v[2:3], off
	s_waitcnt vmcnt(0) lgkmcnt(0)
	v_cmp_le_i16_e32 vcc, v2, v1
	s_and_b64 s[12:13], vcc, exec
.LBB530_7:
	s_or_b64 exec, exec, s[6:7]
	s_add_u32 s6, s14, s8
	s_addc_u32 s7, s15, 0
	v_mov_b32_e32 v3, s7
	v_add_co_u32_e32 v2, vcc, s6, v0
	s_waitcnt vmcnt(0) lgkmcnt(0)
	v_cndmask_b32_e64 v1, 0, 1, s[12:13]
	v_addc_co_u32_e32 v3, vcc, 0, v3, vcc
	flat_store_byte v[2:3], v1
.LBB530_8:
	s_and_b64 vcc, exec, s[0:1]
	s_cbranch_vccz .LBB530_13
; %bb.9:
	s_load_dword s0, s[4:5], 0x10
                                        ; implicit-def: $vgpr1
	s_waitcnt lgkmcnt(0)
	s_sub_i32 s0, s0, s8
	v_cmp_gt_u32_e32 vcc, s0, v0
	s_and_saveexec_b64 s[4:5], vcc
	s_cbranch_execnz .LBB530_14
; %bb.10:
	s_or_b64 exec, exec, s[4:5]
                                        ; implicit-def: $vgpr2
	s_and_saveexec_b64 s[4:5], vcc
	s_cbranch_execnz .LBB530_15
.LBB530_11:
	s_or_b64 exec, exec, s[4:5]
	s_and_saveexec_b64 s[0:1], vcc
	s_cbranch_execz .LBB530_13
.LBB530_12:
	s_add_u32 s0, s14, s8
	s_addc_u32 s1, s15, 0
	s_waitcnt vmcnt(0) lgkmcnt(0)
	v_mov_b32_e32 v1, s1
	v_add_co_u32_e32 v0, vcc, s0, v0
	v_addc_co_u32_e32 v1, vcc, 0, v1, vcc
	flat_store_byte v[0:1], v2
.LBB530_13:
	s_endpgm
.LBB530_14:
	s_lshl_b64 s[0:1], s[8:9], 1
	s_add_u32 s0, s16, s0
	s_addc_u32 s1, s17, s1
	v_lshlrev_b32_e32 v1, 1, v0
	v_mov_b32_e32 v3, s1
	v_add_co_u32_e64 v2, s[0:1], s0, v1
	v_addc_co_u32_e64 v3, s[0:1], 0, v3, s[0:1]
	flat_load_ushort v1, v[2:3]
	s_or_b64 exec, exec, s[4:5]
                                        ; implicit-def: $vgpr2
	s_and_saveexec_b64 s[4:5], vcc
	s_cbranch_execz .LBB530_11
.LBB530_15:
	s_mov_b64 s[6:7], 0
	s_cmp_eq_u64 s[10:11], 0
	v_pk_mov_b32 v[2:3], 0, 0
	s_cbranch_scc1 .LBB530_19
; %bb.16:
	v_pk_mov_b32 v[2:3], 0, 0
	v_pk_mov_b32 v[4:5], s[10:11], s[10:11] op_sel:[0,1]
	v_mov_b32_e32 v6, s3
.LBB530_17:                             ; =>This Inner Loop Header: Depth=1
	v_sub_co_u32_e64 v8, s[0:1], v4, v2
	v_subb_co_u32_e64 v9, s[0:1], v5, v3, s[0:1]
	v_lshrrev_b64 v[10:11], 1, v[8:9]
	v_add_co_u32_e64 v7, s[0:1], v10, v2
	v_lshrrev_b64 v[8:9], 6, v[8:9]
	v_addc_co_u32_e64 v10, s[0:1], v11, v3, s[0:1]
	v_add_co_u32_e64 v8, s[0:1], v7, v8
	v_addc_co_u32_e64 v9, s[0:1], v10, v9, s[0:1]
	v_lshlrev_b64 v[10:11], 1, v[8:9]
	v_add_co_u32_e64 v10, s[0:1], s2, v10
	v_addc_co_u32_e64 v11, s[0:1], v6, v11, s[0:1]
	global_load_ushort v7, v[10:11], off
	v_add_co_u32_e64 v10, s[0:1], 1, v8
	v_addc_co_u32_e64 v11, s[0:1], 0, v9, s[0:1]
	s_waitcnt vmcnt(0) lgkmcnt(0)
	v_cmp_lt_i16_e64 s[0:1], v7, v1
	v_cndmask_b32_e64 v5, v9, v5, s[0:1]
	v_cndmask_b32_e64 v4, v8, v4, s[0:1]
	;; [unrolled: 1-line block ×4, first 2 shown]
	v_cmp_ge_u64_e64 s[0:1], v[2:3], v[4:5]
	s_or_b64 s[6:7], s[0:1], s[6:7]
	s_andn2_b64 exec, exec, s[6:7]
	s_cbranch_execnz .LBB530_17
; %bb.18:
	s_or_b64 exec, exec, s[6:7]
.LBB530_19:
	v_cmp_ne_u64_e64 s[0:1], s[10:11], v[2:3]
	s_mov_b64 s[10:11], 0
	s_and_saveexec_b64 s[6:7], s[0:1]
	s_cbranch_execz .LBB530_21
; %bb.20:
	v_lshlrev_b64 v[2:3], 1, v[2:3]
	v_mov_b32_e32 v4, s3
	v_add_co_u32_e64 v2, s[0:1], s2, v2
	v_addc_co_u32_e64 v3, s[0:1], v4, v3, s[0:1]
	global_load_ushort v2, v[2:3], off
	s_waitcnt vmcnt(0) lgkmcnt(0)
	v_cmp_le_i16_e64 s[0:1], v2, v1
	s_and_b64 s[10:11], s[0:1], exec
.LBB530_21:
	s_or_b64 exec, exec, s[6:7]
	v_cndmask_b32_e64 v2, 0, 1, s[10:11]
	s_or_b64 exec, exec, s[4:5]
	s_and_saveexec_b64 s[0:1], vcc
	s_cbranch_execnz .LBB530_12
	s_branch .LBB530_13
	.section	.rodata,"a",@progbits
	.p2align	6, 0x0
	.amdhsa_kernel _ZN7rocprim17ROCPRIM_400000_NS6detail17trampoline_kernelINS0_14default_configENS1_29binary_search_config_selectorIsbEEZNS1_14transform_implILb0ES3_S5_N6thrust23THRUST_200600_302600_NS6detail15normal_iteratorINS8_10device_ptrIsEEEENSA_INSB_IbEEEEZNS1_13binary_searchIS3_S5_SD_SD_SF_NS1_16binary_search_opENS9_16wrapped_functionINS0_4lessIvEEbEEEE10hipError_tPvRmT1_T2_T3_mmT4_T5_P12ihipStream_tbEUlRKsE_EESM_SQ_SR_mSS_SV_bEUlT_E_NS1_11comp_targetILNS1_3genE4ELNS1_11target_archE910ELNS1_3gpuE8ELNS1_3repE0EEENS1_30default_config_static_selectorELNS0_4arch9wavefront6targetE1EEEvSP_
		.amdhsa_group_segment_fixed_size 0
		.amdhsa_private_segment_fixed_size 0
		.amdhsa_kernarg_size 312
		.amdhsa_user_sgpr_count 6
		.amdhsa_user_sgpr_private_segment_buffer 1
		.amdhsa_user_sgpr_dispatch_ptr 0
		.amdhsa_user_sgpr_queue_ptr 0
		.amdhsa_user_sgpr_kernarg_segment_ptr 1
		.amdhsa_user_sgpr_dispatch_id 0
		.amdhsa_user_sgpr_flat_scratch_init 0
		.amdhsa_user_sgpr_kernarg_preload_length 0
		.amdhsa_user_sgpr_kernarg_preload_offset 0
		.amdhsa_user_sgpr_private_segment_size 0
		.amdhsa_uses_dynamic_stack 0
		.amdhsa_system_sgpr_private_segment_wavefront_offset 0
		.amdhsa_system_sgpr_workgroup_id_x 1
		.amdhsa_system_sgpr_workgroup_id_y 0
		.amdhsa_system_sgpr_workgroup_id_z 0
		.amdhsa_system_sgpr_workgroup_info 0
		.amdhsa_system_vgpr_workitem_id 0
		.amdhsa_next_free_vgpr 12
		.amdhsa_next_free_sgpr 18
		.amdhsa_accum_offset 12
		.amdhsa_reserve_vcc 1
		.amdhsa_reserve_flat_scratch 0
		.amdhsa_float_round_mode_32 0
		.amdhsa_float_round_mode_16_64 0
		.amdhsa_float_denorm_mode_32 3
		.amdhsa_float_denorm_mode_16_64 3
		.amdhsa_dx10_clamp 1
		.amdhsa_ieee_mode 1
		.amdhsa_fp16_overflow 0
		.amdhsa_tg_split 0
		.amdhsa_exception_fp_ieee_invalid_op 0
		.amdhsa_exception_fp_denorm_src 0
		.amdhsa_exception_fp_ieee_div_zero 0
		.amdhsa_exception_fp_ieee_overflow 0
		.amdhsa_exception_fp_ieee_underflow 0
		.amdhsa_exception_fp_ieee_inexact 0
		.amdhsa_exception_int_div_zero 0
	.end_amdhsa_kernel
	.section	.text._ZN7rocprim17ROCPRIM_400000_NS6detail17trampoline_kernelINS0_14default_configENS1_29binary_search_config_selectorIsbEEZNS1_14transform_implILb0ES3_S5_N6thrust23THRUST_200600_302600_NS6detail15normal_iteratorINS8_10device_ptrIsEEEENSA_INSB_IbEEEEZNS1_13binary_searchIS3_S5_SD_SD_SF_NS1_16binary_search_opENS9_16wrapped_functionINS0_4lessIvEEbEEEE10hipError_tPvRmT1_T2_T3_mmT4_T5_P12ihipStream_tbEUlRKsE_EESM_SQ_SR_mSS_SV_bEUlT_E_NS1_11comp_targetILNS1_3genE4ELNS1_11target_archE910ELNS1_3gpuE8ELNS1_3repE0EEENS1_30default_config_static_selectorELNS0_4arch9wavefront6targetE1EEEvSP_,"axG",@progbits,_ZN7rocprim17ROCPRIM_400000_NS6detail17trampoline_kernelINS0_14default_configENS1_29binary_search_config_selectorIsbEEZNS1_14transform_implILb0ES3_S5_N6thrust23THRUST_200600_302600_NS6detail15normal_iteratorINS8_10device_ptrIsEEEENSA_INSB_IbEEEEZNS1_13binary_searchIS3_S5_SD_SD_SF_NS1_16binary_search_opENS9_16wrapped_functionINS0_4lessIvEEbEEEE10hipError_tPvRmT1_T2_T3_mmT4_T5_P12ihipStream_tbEUlRKsE_EESM_SQ_SR_mSS_SV_bEUlT_E_NS1_11comp_targetILNS1_3genE4ELNS1_11target_archE910ELNS1_3gpuE8ELNS1_3repE0EEENS1_30default_config_static_selectorELNS0_4arch9wavefront6targetE1EEEvSP_,comdat
.Lfunc_end530:
	.size	_ZN7rocprim17ROCPRIM_400000_NS6detail17trampoline_kernelINS0_14default_configENS1_29binary_search_config_selectorIsbEEZNS1_14transform_implILb0ES3_S5_N6thrust23THRUST_200600_302600_NS6detail15normal_iteratorINS8_10device_ptrIsEEEENSA_INSB_IbEEEEZNS1_13binary_searchIS3_S5_SD_SD_SF_NS1_16binary_search_opENS9_16wrapped_functionINS0_4lessIvEEbEEEE10hipError_tPvRmT1_T2_T3_mmT4_T5_P12ihipStream_tbEUlRKsE_EESM_SQ_SR_mSS_SV_bEUlT_E_NS1_11comp_targetILNS1_3genE4ELNS1_11target_archE910ELNS1_3gpuE8ELNS1_3repE0EEENS1_30default_config_static_selectorELNS0_4arch9wavefront6targetE1EEEvSP_, .Lfunc_end530-_ZN7rocprim17ROCPRIM_400000_NS6detail17trampoline_kernelINS0_14default_configENS1_29binary_search_config_selectorIsbEEZNS1_14transform_implILb0ES3_S5_N6thrust23THRUST_200600_302600_NS6detail15normal_iteratorINS8_10device_ptrIsEEEENSA_INSB_IbEEEEZNS1_13binary_searchIS3_S5_SD_SD_SF_NS1_16binary_search_opENS9_16wrapped_functionINS0_4lessIvEEbEEEE10hipError_tPvRmT1_T2_T3_mmT4_T5_P12ihipStream_tbEUlRKsE_EESM_SQ_SR_mSS_SV_bEUlT_E_NS1_11comp_targetILNS1_3genE4ELNS1_11target_archE910ELNS1_3gpuE8ELNS1_3repE0EEENS1_30default_config_static_selectorELNS0_4arch9wavefront6targetE1EEEvSP_
                                        ; -- End function
	.section	.AMDGPU.csdata,"",@progbits
; Kernel info:
; codeLenInByte = 848
; NumSgprs: 22
; NumVgprs: 12
; NumAgprs: 0
; TotalNumVgprs: 12
; ScratchSize: 0
; MemoryBound: 0
; FloatMode: 240
; IeeeMode: 1
; LDSByteSize: 0 bytes/workgroup (compile time only)
; SGPRBlocks: 2
; VGPRBlocks: 1
; NumSGPRsForWavesPerEU: 22
; NumVGPRsForWavesPerEU: 12
; AccumOffset: 12
; Occupancy: 8
; WaveLimiterHint : 0
; COMPUTE_PGM_RSRC2:SCRATCH_EN: 0
; COMPUTE_PGM_RSRC2:USER_SGPR: 6
; COMPUTE_PGM_RSRC2:TRAP_HANDLER: 0
; COMPUTE_PGM_RSRC2:TGID_X_EN: 1
; COMPUTE_PGM_RSRC2:TGID_Y_EN: 0
; COMPUTE_PGM_RSRC2:TGID_Z_EN: 0
; COMPUTE_PGM_RSRC2:TIDIG_COMP_CNT: 0
; COMPUTE_PGM_RSRC3_GFX90A:ACCUM_OFFSET: 2
; COMPUTE_PGM_RSRC3_GFX90A:TG_SPLIT: 0
	.section	.text._ZN7rocprim17ROCPRIM_400000_NS6detail17trampoline_kernelINS0_14default_configENS1_29binary_search_config_selectorIsbEEZNS1_14transform_implILb0ES3_S5_N6thrust23THRUST_200600_302600_NS6detail15normal_iteratorINS8_10device_ptrIsEEEENSA_INSB_IbEEEEZNS1_13binary_searchIS3_S5_SD_SD_SF_NS1_16binary_search_opENS9_16wrapped_functionINS0_4lessIvEEbEEEE10hipError_tPvRmT1_T2_T3_mmT4_T5_P12ihipStream_tbEUlRKsE_EESM_SQ_SR_mSS_SV_bEUlT_E_NS1_11comp_targetILNS1_3genE3ELNS1_11target_archE908ELNS1_3gpuE7ELNS1_3repE0EEENS1_30default_config_static_selectorELNS0_4arch9wavefront6targetE1EEEvSP_,"axG",@progbits,_ZN7rocprim17ROCPRIM_400000_NS6detail17trampoline_kernelINS0_14default_configENS1_29binary_search_config_selectorIsbEEZNS1_14transform_implILb0ES3_S5_N6thrust23THRUST_200600_302600_NS6detail15normal_iteratorINS8_10device_ptrIsEEEENSA_INSB_IbEEEEZNS1_13binary_searchIS3_S5_SD_SD_SF_NS1_16binary_search_opENS9_16wrapped_functionINS0_4lessIvEEbEEEE10hipError_tPvRmT1_T2_T3_mmT4_T5_P12ihipStream_tbEUlRKsE_EESM_SQ_SR_mSS_SV_bEUlT_E_NS1_11comp_targetILNS1_3genE3ELNS1_11target_archE908ELNS1_3gpuE7ELNS1_3repE0EEENS1_30default_config_static_selectorELNS0_4arch9wavefront6targetE1EEEvSP_,comdat
	.protected	_ZN7rocprim17ROCPRIM_400000_NS6detail17trampoline_kernelINS0_14default_configENS1_29binary_search_config_selectorIsbEEZNS1_14transform_implILb0ES3_S5_N6thrust23THRUST_200600_302600_NS6detail15normal_iteratorINS8_10device_ptrIsEEEENSA_INSB_IbEEEEZNS1_13binary_searchIS3_S5_SD_SD_SF_NS1_16binary_search_opENS9_16wrapped_functionINS0_4lessIvEEbEEEE10hipError_tPvRmT1_T2_T3_mmT4_T5_P12ihipStream_tbEUlRKsE_EESM_SQ_SR_mSS_SV_bEUlT_E_NS1_11comp_targetILNS1_3genE3ELNS1_11target_archE908ELNS1_3gpuE7ELNS1_3repE0EEENS1_30default_config_static_selectorELNS0_4arch9wavefront6targetE1EEEvSP_ ; -- Begin function _ZN7rocprim17ROCPRIM_400000_NS6detail17trampoline_kernelINS0_14default_configENS1_29binary_search_config_selectorIsbEEZNS1_14transform_implILb0ES3_S5_N6thrust23THRUST_200600_302600_NS6detail15normal_iteratorINS8_10device_ptrIsEEEENSA_INSB_IbEEEEZNS1_13binary_searchIS3_S5_SD_SD_SF_NS1_16binary_search_opENS9_16wrapped_functionINS0_4lessIvEEbEEEE10hipError_tPvRmT1_T2_T3_mmT4_T5_P12ihipStream_tbEUlRKsE_EESM_SQ_SR_mSS_SV_bEUlT_E_NS1_11comp_targetILNS1_3genE3ELNS1_11target_archE908ELNS1_3gpuE7ELNS1_3repE0EEENS1_30default_config_static_selectorELNS0_4arch9wavefront6targetE1EEEvSP_
	.globl	_ZN7rocprim17ROCPRIM_400000_NS6detail17trampoline_kernelINS0_14default_configENS1_29binary_search_config_selectorIsbEEZNS1_14transform_implILb0ES3_S5_N6thrust23THRUST_200600_302600_NS6detail15normal_iteratorINS8_10device_ptrIsEEEENSA_INSB_IbEEEEZNS1_13binary_searchIS3_S5_SD_SD_SF_NS1_16binary_search_opENS9_16wrapped_functionINS0_4lessIvEEbEEEE10hipError_tPvRmT1_T2_T3_mmT4_T5_P12ihipStream_tbEUlRKsE_EESM_SQ_SR_mSS_SV_bEUlT_E_NS1_11comp_targetILNS1_3genE3ELNS1_11target_archE908ELNS1_3gpuE7ELNS1_3repE0EEENS1_30default_config_static_selectorELNS0_4arch9wavefront6targetE1EEEvSP_
	.p2align	8
	.type	_ZN7rocprim17ROCPRIM_400000_NS6detail17trampoline_kernelINS0_14default_configENS1_29binary_search_config_selectorIsbEEZNS1_14transform_implILb0ES3_S5_N6thrust23THRUST_200600_302600_NS6detail15normal_iteratorINS8_10device_ptrIsEEEENSA_INSB_IbEEEEZNS1_13binary_searchIS3_S5_SD_SD_SF_NS1_16binary_search_opENS9_16wrapped_functionINS0_4lessIvEEbEEEE10hipError_tPvRmT1_T2_T3_mmT4_T5_P12ihipStream_tbEUlRKsE_EESM_SQ_SR_mSS_SV_bEUlT_E_NS1_11comp_targetILNS1_3genE3ELNS1_11target_archE908ELNS1_3gpuE7ELNS1_3repE0EEENS1_30default_config_static_selectorELNS0_4arch9wavefront6targetE1EEEvSP_,@function
_ZN7rocprim17ROCPRIM_400000_NS6detail17trampoline_kernelINS0_14default_configENS1_29binary_search_config_selectorIsbEEZNS1_14transform_implILb0ES3_S5_N6thrust23THRUST_200600_302600_NS6detail15normal_iteratorINS8_10device_ptrIsEEEENSA_INSB_IbEEEEZNS1_13binary_searchIS3_S5_SD_SD_SF_NS1_16binary_search_opENS9_16wrapped_functionINS0_4lessIvEEbEEEE10hipError_tPvRmT1_T2_T3_mmT4_T5_P12ihipStream_tbEUlRKsE_EESM_SQ_SR_mSS_SV_bEUlT_E_NS1_11comp_targetILNS1_3genE3ELNS1_11target_archE908ELNS1_3gpuE7ELNS1_3repE0EEENS1_30default_config_static_selectorELNS0_4arch9wavefront6targetE1EEEvSP_: ; @_ZN7rocprim17ROCPRIM_400000_NS6detail17trampoline_kernelINS0_14default_configENS1_29binary_search_config_selectorIsbEEZNS1_14transform_implILb0ES3_S5_N6thrust23THRUST_200600_302600_NS6detail15normal_iteratorINS8_10device_ptrIsEEEENSA_INSB_IbEEEEZNS1_13binary_searchIS3_S5_SD_SD_SF_NS1_16binary_search_opENS9_16wrapped_functionINS0_4lessIvEEbEEEE10hipError_tPvRmT1_T2_T3_mmT4_T5_P12ihipStream_tbEUlRKsE_EESM_SQ_SR_mSS_SV_bEUlT_E_NS1_11comp_targetILNS1_3genE3ELNS1_11target_archE908ELNS1_3gpuE7ELNS1_3repE0EEENS1_30default_config_static_selectorELNS0_4arch9wavefront6targetE1EEEvSP_
; %bb.0:
	.section	.rodata,"a",@progbits
	.p2align	6, 0x0
	.amdhsa_kernel _ZN7rocprim17ROCPRIM_400000_NS6detail17trampoline_kernelINS0_14default_configENS1_29binary_search_config_selectorIsbEEZNS1_14transform_implILb0ES3_S5_N6thrust23THRUST_200600_302600_NS6detail15normal_iteratorINS8_10device_ptrIsEEEENSA_INSB_IbEEEEZNS1_13binary_searchIS3_S5_SD_SD_SF_NS1_16binary_search_opENS9_16wrapped_functionINS0_4lessIvEEbEEEE10hipError_tPvRmT1_T2_T3_mmT4_T5_P12ihipStream_tbEUlRKsE_EESM_SQ_SR_mSS_SV_bEUlT_E_NS1_11comp_targetILNS1_3genE3ELNS1_11target_archE908ELNS1_3gpuE7ELNS1_3repE0EEENS1_30default_config_static_selectorELNS0_4arch9wavefront6targetE1EEEvSP_
		.amdhsa_group_segment_fixed_size 0
		.amdhsa_private_segment_fixed_size 0
		.amdhsa_kernarg_size 56
		.amdhsa_user_sgpr_count 6
		.amdhsa_user_sgpr_private_segment_buffer 1
		.amdhsa_user_sgpr_dispatch_ptr 0
		.amdhsa_user_sgpr_queue_ptr 0
		.amdhsa_user_sgpr_kernarg_segment_ptr 1
		.amdhsa_user_sgpr_dispatch_id 0
		.amdhsa_user_sgpr_flat_scratch_init 0
		.amdhsa_user_sgpr_kernarg_preload_length 0
		.amdhsa_user_sgpr_kernarg_preload_offset 0
		.amdhsa_user_sgpr_private_segment_size 0
		.amdhsa_uses_dynamic_stack 0
		.amdhsa_system_sgpr_private_segment_wavefront_offset 0
		.amdhsa_system_sgpr_workgroup_id_x 1
		.amdhsa_system_sgpr_workgroup_id_y 0
		.amdhsa_system_sgpr_workgroup_id_z 0
		.amdhsa_system_sgpr_workgroup_info 0
		.amdhsa_system_vgpr_workitem_id 0
		.amdhsa_next_free_vgpr 1
		.amdhsa_next_free_sgpr 0
		.amdhsa_accum_offset 4
		.amdhsa_reserve_vcc 0
		.amdhsa_reserve_flat_scratch 0
		.amdhsa_float_round_mode_32 0
		.amdhsa_float_round_mode_16_64 0
		.amdhsa_float_denorm_mode_32 3
		.amdhsa_float_denorm_mode_16_64 3
		.amdhsa_dx10_clamp 1
		.amdhsa_ieee_mode 1
		.amdhsa_fp16_overflow 0
		.amdhsa_tg_split 0
		.amdhsa_exception_fp_ieee_invalid_op 0
		.amdhsa_exception_fp_denorm_src 0
		.amdhsa_exception_fp_ieee_div_zero 0
		.amdhsa_exception_fp_ieee_overflow 0
		.amdhsa_exception_fp_ieee_underflow 0
		.amdhsa_exception_fp_ieee_inexact 0
		.amdhsa_exception_int_div_zero 0
	.end_amdhsa_kernel
	.section	.text._ZN7rocprim17ROCPRIM_400000_NS6detail17trampoline_kernelINS0_14default_configENS1_29binary_search_config_selectorIsbEEZNS1_14transform_implILb0ES3_S5_N6thrust23THRUST_200600_302600_NS6detail15normal_iteratorINS8_10device_ptrIsEEEENSA_INSB_IbEEEEZNS1_13binary_searchIS3_S5_SD_SD_SF_NS1_16binary_search_opENS9_16wrapped_functionINS0_4lessIvEEbEEEE10hipError_tPvRmT1_T2_T3_mmT4_T5_P12ihipStream_tbEUlRKsE_EESM_SQ_SR_mSS_SV_bEUlT_E_NS1_11comp_targetILNS1_3genE3ELNS1_11target_archE908ELNS1_3gpuE7ELNS1_3repE0EEENS1_30default_config_static_selectorELNS0_4arch9wavefront6targetE1EEEvSP_,"axG",@progbits,_ZN7rocprim17ROCPRIM_400000_NS6detail17trampoline_kernelINS0_14default_configENS1_29binary_search_config_selectorIsbEEZNS1_14transform_implILb0ES3_S5_N6thrust23THRUST_200600_302600_NS6detail15normal_iteratorINS8_10device_ptrIsEEEENSA_INSB_IbEEEEZNS1_13binary_searchIS3_S5_SD_SD_SF_NS1_16binary_search_opENS9_16wrapped_functionINS0_4lessIvEEbEEEE10hipError_tPvRmT1_T2_T3_mmT4_T5_P12ihipStream_tbEUlRKsE_EESM_SQ_SR_mSS_SV_bEUlT_E_NS1_11comp_targetILNS1_3genE3ELNS1_11target_archE908ELNS1_3gpuE7ELNS1_3repE0EEENS1_30default_config_static_selectorELNS0_4arch9wavefront6targetE1EEEvSP_,comdat
.Lfunc_end531:
	.size	_ZN7rocprim17ROCPRIM_400000_NS6detail17trampoline_kernelINS0_14default_configENS1_29binary_search_config_selectorIsbEEZNS1_14transform_implILb0ES3_S5_N6thrust23THRUST_200600_302600_NS6detail15normal_iteratorINS8_10device_ptrIsEEEENSA_INSB_IbEEEEZNS1_13binary_searchIS3_S5_SD_SD_SF_NS1_16binary_search_opENS9_16wrapped_functionINS0_4lessIvEEbEEEE10hipError_tPvRmT1_T2_T3_mmT4_T5_P12ihipStream_tbEUlRKsE_EESM_SQ_SR_mSS_SV_bEUlT_E_NS1_11comp_targetILNS1_3genE3ELNS1_11target_archE908ELNS1_3gpuE7ELNS1_3repE0EEENS1_30default_config_static_selectorELNS0_4arch9wavefront6targetE1EEEvSP_, .Lfunc_end531-_ZN7rocprim17ROCPRIM_400000_NS6detail17trampoline_kernelINS0_14default_configENS1_29binary_search_config_selectorIsbEEZNS1_14transform_implILb0ES3_S5_N6thrust23THRUST_200600_302600_NS6detail15normal_iteratorINS8_10device_ptrIsEEEENSA_INSB_IbEEEEZNS1_13binary_searchIS3_S5_SD_SD_SF_NS1_16binary_search_opENS9_16wrapped_functionINS0_4lessIvEEbEEEE10hipError_tPvRmT1_T2_T3_mmT4_T5_P12ihipStream_tbEUlRKsE_EESM_SQ_SR_mSS_SV_bEUlT_E_NS1_11comp_targetILNS1_3genE3ELNS1_11target_archE908ELNS1_3gpuE7ELNS1_3repE0EEENS1_30default_config_static_selectorELNS0_4arch9wavefront6targetE1EEEvSP_
                                        ; -- End function
	.section	.AMDGPU.csdata,"",@progbits
; Kernel info:
; codeLenInByte = 0
; NumSgprs: 4
; NumVgprs: 0
; NumAgprs: 0
; TotalNumVgprs: 0
; ScratchSize: 0
; MemoryBound: 0
; FloatMode: 240
; IeeeMode: 1
; LDSByteSize: 0 bytes/workgroup (compile time only)
; SGPRBlocks: 0
; VGPRBlocks: 0
; NumSGPRsForWavesPerEU: 4
; NumVGPRsForWavesPerEU: 1
; AccumOffset: 4
; Occupancy: 8
; WaveLimiterHint : 0
; COMPUTE_PGM_RSRC2:SCRATCH_EN: 0
; COMPUTE_PGM_RSRC2:USER_SGPR: 6
; COMPUTE_PGM_RSRC2:TRAP_HANDLER: 0
; COMPUTE_PGM_RSRC2:TGID_X_EN: 1
; COMPUTE_PGM_RSRC2:TGID_Y_EN: 0
; COMPUTE_PGM_RSRC2:TGID_Z_EN: 0
; COMPUTE_PGM_RSRC2:TIDIG_COMP_CNT: 0
; COMPUTE_PGM_RSRC3_GFX90A:ACCUM_OFFSET: 0
; COMPUTE_PGM_RSRC3_GFX90A:TG_SPLIT: 0
	.section	.text._ZN7rocprim17ROCPRIM_400000_NS6detail17trampoline_kernelINS0_14default_configENS1_29binary_search_config_selectorIsbEEZNS1_14transform_implILb0ES3_S5_N6thrust23THRUST_200600_302600_NS6detail15normal_iteratorINS8_10device_ptrIsEEEENSA_INSB_IbEEEEZNS1_13binary_searchIS3_S5_SD_SD_SF_NS1_16binary_search_opENS9_16wrapped_functionINS0_4lessIvEEbEEEE10hipError_tPvRmT1_T2_T3_mmT4_T5_P12ihipStream_tbEUlRKsE_EESM_SQ_SR_mSS_SV_bEUlT_E_NS1_11comp_targetILNS1_3genE2ELNS1_11target_archE906ELNS1_3gpuE6ELNS1_3repE0EEENS1_30default_config_static_selectorELNS0_4arch9wavefront6targetE1EEEvSP_,"axG",@progbits,_ZN7rocprim17ROCPRIM_400000_NS6detail17trampoline_kernelINS0_14default_configENS1_29binary_search_config_selectorIsbEEZNS1_14transform_implILb0ES3_S5_N6thrust23THRUST_200600_302600_NS6detail15normal_iteratorINS8_10device_ptrIsEEEENSA_INSB_IbEEEEZNS1_13binary_searchIS3_S5_SD_SD_SF_NS1_16binary_search_opENS9_16wrapped_functionINS0_4lessIvEEbEEEE10hipError_tPvRmT1_T2_T3_mmT4_T5_P12ihipStream_tbEUlRKsE_EESM_SQ_SR_mSS_SV_bEUlT_E_NS1_11comp_targetILNS1_3genE2ELNS1_11target_archE906ELNS1_3gpuE6ELNS1_3repE0EEENS1_30default_config_static_selectorELNS0_4arch9wavefront6targetE1EEEvSP_,comdat
	.protected	_ZN7rocprim17ROCPRIM_400000_NS6detail17trampoline_kernelINS0_14default_configENS1_29binary_search_config_selectorIsbEEZNS1_14transform_implILb0ES3_S5_N6thrust23THRUST_200600_302600_NS6detail15normal_iteratorINS8_10device_ptrIsEEEENSA_INSB_IbEEEEZNS1_13binary_searchIS3_S5_SD_SD_SF_NS1_16binary_search_opENS9_16wrapped_functionINS0_4lessIvEEbEEEE10hipError_tPvRmT1_T2_T3_mmT4_T5_P12ihipStream_tbEUlRKsE_EESM_SQ_SR_mSS_SV_bEUlT_E_NS1_11comp_targetILNS1_3genE2ELNS1_11target_archE906ELNS1_3gpuE6ELNS1_3repE0EEENS1_30default_config_static_selectorELNS0_4arch9wavefront6targetE1EEEvSP_ ; -- Begin function _ZN7rocprim17ROCPRIM_400000_NS6detail17trampoline_kernelINS0_14default_configENS1_29binary_search_config_selectorIsbEEZNS1_14transform_implILb0ES3_S5_N6thrust23THRUST_200600_302600_NS6detail15normal_iteratorINS8_10device_ptrIsEEEENSA_INSB_IbEEEEZNS1_13binary_searchIS3_S5_SD_SD_SF_NS1_16binary_search_opENS9_16wrapped_functionINS0_4lessIvEEbEEEE10hipError_tPvRmT1_T2_T3_mmT4_T5_P12ihipStream_tbEUlRKsE_EESM_SQ_SR_mSS_SV_bEUlT_E_NS1_11comp_targetILNS1_3genE2ELNS1_11target_archE906ELNS1_3gpuE6ELNS1_3repE0EEENS1_30default_config_static_selectorELNS0_4arch9wavefront6targetE1EEEvSP_
	.globl	_ZN7rocprim17ROCPRIM_400000_NS6detail17trampoline_kernelINS0_14default_configENS1_29binary_search_config_selectorIsbEEZNS1_14transform_implILb0ES3_S5_N6thrust23THRUST_200600_302600_NS6detail15normal_iteratorINS8_10device_ptrIsEEEENSA_INSB_IbEEEEZNS1_13binary_searchIS3_S5_SD_SD_SF_NS1_16binary_search_opENS9_16wrapped_functionINS0_4lessIvEEbEEEE10hipError_tPvRmT1_T2_T3_mmT4_T5_P12ihipStream_tbEUlRKsE_EESM_SQ_SR_mSS_SV_bEUlT_E_NS1_11comp_targetILNS1_3genE2ELNS1_11target_archE906ELNS1_3gpuE6ELNS1_3repE0EEENS1_30default_config_static_selectorELNS0_4arch9wavefront6targetE1EEEvSP_
	.p2align	8
	.type	_ZN7rocprim17ROCPRIM_400000_NS6detail17trampoline_kernelINS0_14default_configENS1_29binary_search_config_selectorIsbEEZNS1_14transform_implILb0ES3_S5_N6thrust23THRUST_200600_302600_NS6detail15normal_iteratorINS8_10device_ptrIsEEEENSA_INSB_IbEEEEZNS1_13binary_searchIS3_S5_SD_SD_SF_NS1_16binary_search_opENS9_16wrapped_functionINS0_4lessIvEEbEEEE10hipError_tPvRmT1_T2_T3_mmT4_T5_P12ihipStream_tbEUlRKsE_EESM_SQ_SR_mSS_SV_bEUlT_E_NS1_11comp_targetILNS1_3genE2ELNS1_11target_archE906ELNS1_3gpuE6ELNS1_3repE0EEENS1_30default_config_static_selectorELNS0_4arch9wavefront6targetE1EEEvSP_,@function
_ZN7rocprim17ROCPRIM_400000_NS6detail17trampoline_kernelINS0_14default_configENS1_29binary_search_config_selectorIsbEEZNS1_14transform_implILb0ES3_S5_N6thrust23THRUST_200600_302600_NS6detail15normal_iteratorINS8_10device_ptrIsEEEENSA_INSB_IbEEEEZNS1_13binary_searchIS3_S5_SD_SD_SF_NS1_16binary_search_opENS9_16wrapped_functionINS0_4lessIvEEbEEEE10hipError_tPvRmT1_T2_T3_mmT4_T5_P12ihipStream_tbEUlRKsE_EESM_SQ_SR_mSS_SV_bEUlT_E_NS1_11comp_targetILNS1_3genE2ELNS1_11target_archE906ELNS1_3gpuE6ELNS1_3repE0EEENS1_30default_config_static_selectorELNS0_4arch9wavefront6targetE1EEEvSP_: ; @_ZN7rocprim17ROCPRIM_400000_NS6detail17trampoline_kernelINS0_14default_configENS1_29binary_search_config_selectorIsbEEZNS1_14transform_implILb0ES3_S5_N6thrust23THRUST_200600_302600_NS6detail15normal_iteratorINS8_10device_ptrIsEEEENSA_INSB_IbEEEEZNS1_13binary_searchIS3_S5_SD_SD_SF_NS1_16binary_search_opENS9_16wrapped_functionINS0_4lessIvEEbEEEE10hipError_tPvRmT1_T2_T3_mmT4_T5_P12ihipStream_tbEUlRKsE_EESM_SQ_SR_mSS_SV_bEUlT_E_NS1_11comp_targetILNS1_3genE2ELNS1_11target_archE906ELNS1_3gpuE6ELNS1_3repE0EEENS1_30default_config_static_selectorELNS0_4arch9wavefront6targetE1EEEvSP_
; %bb.0:
	.section	.rodata,"a",@progbits
	.p2align	6, 0x0
	.amdhsa_kernel _ZN7rocprim17ROCPRIM_400000_NS6detail17trampoline_kernelINS0_14default_configENS1_29binary_search_config_selectorIsbEEZNS1_14transform_implILb0ES3_S5_N6thrust23THRUST_200600_302600_NS6detail15normal_iteratorINS8_10device_ptrIsEEEENSA_INSB_IbEEEEZNS1_13binary_searchIS3_S5_SD_SD_SF_NS1_16binary_search_opENS9_16wrapped_functionINS0_4lessIvEEbEEEE10hipError_tPvRmT1_T2_T3_mmT4_T5_P12ihipStream_tbEUlRKsE_EESM_SQ_SR_mSS_SV_bEUlT_E_NS1_11comp_targetILNS1_3genE2ELNS1_11target_archE906ELNS1_3gpuE6ELNS1_3repE0EEENS1_30default_config_static_selectorELNS0_4arch9wavefront6targetE1EEEvSP_
		.amdhsa_group_segment_fixed_size 0
		.amdhsa_private_segment_fixed_size 0
		.amdhsa_kernarg_size 56
		.amdhsa_user_sgpr_count 6
		.amdhsa_user_sgpr_private_segment_buffer 1
		.amdhsa_user_sgpr_dispatch_ptr 0
		.amdhsa_user_sgpr_queue_ptr 0
		.amdhsa_user_sgpr_kernarg_segment_ptr 1
		.amdhsa_user_sgpr_dispatch_id 0
		.amdhsa_user_sgpr_flat_scratch_init 0
		.amdhsa_user_sgpr_kernarg_preload_length 0
		.amdhsa_user_sgpr_kernarg_preload_offset 0
		.amdhsa_user_sgpr_private_segment_size 0
		.amdhsa_uses_dynamic_stack 0
		.amdhsa_system_sgpr_private_segment_wavefront_offset 0
		.amdhsa_system_sgpr_workgroup_id_x 1
		.amdhsa_system_sgpr_workgroup_id_y 0
		.amdhsa_system_sgpr_workgroup_id_z 0
		.amdhsa_system_sgpr_workgroup_info 0
		.amdhsa_system_vgpr_workitem_id 0
		.amdhsa_next_free_vgpr 1
		.amdhsa_next_free_sgpr 0
		.amdhsa_accum_offset 4
		.amdhsa_reserve_vcc 0
		.amdhsa_reserve_flat_scratch 0
		.amdhsa_float_round_mode_32 0
		.amdhsa_float_round_mode_16_64 0
		.amdhsa_float_denorm_mode_32 3
		.amdhsa_float_denorm_mode_16_64 3
		.amdhsa_dx10_clamp 1
		.amdhsa_ieee_mode 1
		.amdhsa_fp16_overflow 0
		.amdhsa_tg_split 0
		.amdhsa_exception_fp_ieee_invalid_op 0
		.amdhsa_exception_fp_denorm_src 0
		.amdhsa_exception_fp_ieee_div_zero 0
		.amdhsa_exception_fp_ieee_overflow 0
		.amdhsa_exception_fp_ieee_underflow 0
		.amdhsa_exception_fp_ieee_inexact 0
		.amdhsa_exception_int_div_zero 0
	.end_amdhsa_kernel
	.section	.text._ZN7rocprim17ROCPRIM_400000_NS6detail17trampoline_kernelINS0_14default_configENS1_29binary_search_config_selectorIsbEEZNS1_14transform_implILb0ES3_S5_N6thrust23THRUST_200600_302600_NS6detail15normal_iteratorINS8_10device_ptrIsEEEENSA_INSB_IbEEEEZNS1_13binary_searchIS3_S5_SD_SD_SF_NS1_16binary_search_opENS9_16wrapped_functionINS0_4lessIvEEbEEEE10hipError_tPvRmT1_T2_T3_mmT4_T5_P12ihipStream_tbEUlRKsE_EESM_SQ_SR_mSS_SV_bEUlT_E_NS1_11comp_targetILNS1_3genE2ELNS1_11target_archE906ELNS1_3gpuE6ELNS1_3repE0EEENS1_30default_config_static_selectorELNS0_4arch9wavefront6targetE1EEEvSP_,"axG",@progbits,_ZN7rocprim17ROCPRIM_400000_NS6detail17trampoline_kernelINS0_14default_configENS1_29binary_search_config_selectorIsbEEZNS1_14transform_implILb0ES3_S5_N6thrust23THRUST_200600_302600_NS6detail15normal_iteratorINS8_10device_ptrIsEEEENSA_INSB_IbEEEEZNS1_13binary_searchIS3_S5_SD_SD_SF_NS1_16binary_search_opENS9_16wrapped_functionINS0_4lessIvEEbEEEE10hipError_tPvRmT1_T2_T3_mmT4_T5_P12ihipStream_tbEUlRKsE_EESM_SQ_SR_mSS_SV_bEUlT_E_NS1_11comp_targetILNS1_3genE2ELNS1_11target_archE906ELNS1_3gpuE6ELNS1_3repE0EEENS1_30default_config_static_selectorELNS0_4arch9wavefront6targetE1EEEvSP_,comdat
.Lfunc_end532:
	.size	_ZN7rocprim17ROCPRIM_400000_NS6detail17trampoline_kernelINS0_14default_configENS1_29binary_search_config_selectorIsbEEZNS1_14transform_implILb0ES3_S5_N6thrust23THRUST_200600_302600_NS6detail15normal_iteratorINS8_10device_ptrIsEEEENSA_INSB_IbEEEEZNS1_13binary_searchIS3_S5_SD_SD_SF_NS1_16binary_search_opENS9_16wrapped_functionINS0_4lessIvEEbEEEE10hipError_tPvRmT1_T2_T3_mmT4_T5_P12ihipStream_tbEUlRKsE_EESM_SQ_SR_mSS_SV_bEUlT_E_NS1_11comp_targetILNS1_3genE2ELNS1_11target_archE906ELNS1_3gpuE6ELNS1_3repE0EEENS1_30default_config_static_selectorELNS0_4arch9wavefront6targetE1EEEvSP_, .Lfunc_end532-_ZN7rocprim17ROCPRIM_400000_NS6detail17trampoline_kernelINS0_14default_configENS1_29binary_search_config_selectorIsbEEZNS1_14transform_implILb0ES3_S5_N6thrust23THRUST_200600_302600_NS6detail15normal_iteratorINS8_10device_ptrIsEEEENSA_INSB_IbEEEEZNS1_13binary_searchIS3_S5_SD_SD_SF_NS1_16binary_search_opENS9_16wrapped_functionINS0_4lessIvEEbEEEE10hipError_tPvRmT1_T2_T3_mmT4_T5_P12ihipStream_tbEUlRKsE_EESM_SQ_SR_mSS_SV_bEUlT_E_NS1_11comp_targetILNS1_3genE2ELNS1_11target_archE906ELNS1_3gpuE6ELNS1_3repE0EEENS1_30default_config_static_selectorELNS0_4arch9wavefront6targetE1EEEvSP_
                                        ; -- End function
	.section	.AMDGPU.csdata,"",@progbits
; Kernel info:
; codeLenInByte = 0
; NumSgprs: 4
; NumVgprs: 0
; NumAgprs: 0
; TotalNumVgprs: 0
; ScratchSize: 0
; MemoryBound: 0
; FloatMode: 240
; IeeeMode: 1
; LDSByteSize: 0 bytes/workgroup (compile time only)
; SGPRBlocks: 0
; VGPRBlocks: 0
; NumSGPRsForWavesPerEU: 4
; NumVGPRsForWavesPerEU: 1
; AccumOffset: 4
; Occupancy: 8
; WaveLimiterHint : 0
; COMPUTE_PGM_RSRC2:SCRATCH_EN: 0
; COMPUTE_PGM_RSRC2:USER_SGPR: 6
; COMPUTE_PGM_RSRC2:TRAP_HANDLER: 0
; COMPUTE_PGM_RSRC2:TGID_X_EN: 1
; COMPUTE_PGM_RSRC2:TGID_Y_EN: 0
; COMPUTE_PGM_RSRC2:TGID_Z_EN: 0
; COMPUTE_PGM_RSRC2:TIDIG_COMP_CNT: 0
; COMPUTE_PGM_RSRC3_GFX90A:ACCUM_OFFSET: 0
; COMPUTE_PGM_RSRC3_GFX90A:TG_SPLIT: 0
	.section	.text._ZN7rocprim17ROCPRIM_400000_NS6detail17trampoline_kernelINS0_14default_configENS1_29binary_search_config_selectorIsbEEZNS1_14transform_implILb0ES3_S5_N6thrust23THRUST_200600_302600_NS6detail15normal_iteratorINS8_10device_ptrIsEEEENSA_INSB_IbEEEEZNS1_13binary_searchIS3_S5_SD_SD_SF_NS1_16binary_search_opENS9_16wrapped_functionINS0_4lessIvEEbEEEE10hipError_tPvRmT1_T2_T3_mmT4_T5_P12ihipStream_tbEUlRKsE_EESM_SQ_SR_mSS_SV_bEUlT_E_NS1_11comp_targetILNS1_3genE10ELNS1_11target_archE1201ELNS1_3gpuE5ELNS1_3repE0EEENS1_30default_config_static_selectorELNS0_4arch9wavefront6targetE1EEEvSP_,"axG",@progbits,_ZN7rocprim17ROCPRIM_400000_NS6detail17trampoline_kernelINS0_14default_configENS1_29binary_search_config_selectorIsbEEZNS1_14transform_implILb0ES3_S5_N6thrust23THRUST_200600_302600_NS6detail15normal_iteratorINS8_10device_ptrIsEEEENSA_INSB_IbEEEEZNS1_13binary_searchIS3_S5_SD_SD_SF_NS1_16binary_search_opENS9_16wrapped_functionINS0_4lessIvEEbEEEE10hipError_tPvRmT1_T2_T3_mmT4_T5_P12ihipStream_tbEUlRKsE_EESM_SQ_SR_mSS_SV_bEUlT_E_NS1_11comp_targetILNS1_3genE10ELNS1_11target_archE1201ELNS1_3gpuE5ELNS1_3repE0EEENS1_30default_config_static_selectorELNS0_4arch9wavefront6targetE1EEEvSP_,comdat
	.protected	_ZN7rocprim17ROCPRIM_400000_NS6detail17trampoline_kernelINS0_14default_configENS1_29binary_search_config_selectorIsbEEZNS1_14transform_implILb0ES3_S5_N6thrust23THRUST_200600_302600_NS6detail15normal_iteratorINS8_10device_ptrIsEEEENSA_INSB_IbEEEEZNS1_13binary_searchIS3_S5_SD_SD_SF_NS1_16binary_search_opENS9_16wrapped_functionINS0_4lessIvEEbEEEE10hipError_tPvRmT1_T2_T3_mmT4_T5_P12ihipStream_tbEUlRKsE_EESM_SQ_SR_mSS_SV_bEUlT_E_NS1_11comp_targetILNS1_3genE10ELNS1_11target_archE1201ELNS1_3gpuE5ELNS1_3repE0EEENS1_30default_config_static_selectorELNS0_4arch9wavefront6targetE1EEEvSP_ ; -- Begin function _ZN7rocprim17ROCPRIM_400000_NS6detail17trampoline_kernelINS0_14default_configENS1_29binary_search_config_selectorIsbEEZNS1_14transform_implILb0ES3_S5_N6thrust23THRUST_200600_302600_NS6detail15normal_iteratorINS8_10device_ptrIsEEEENSA_INSB_IbEEEEZNS1_13binary_searchIS3_S5_SD_SD_SF_NS1_16binary_search_opENS9_16wrapped_functionINS0_4lessIvEEbEEEE10hipError_tPvRmT1_T2_T3_mmT4_T5_P12ihipStream_tbEUlRKsE_EESM_SQ_SR_mSS_SV_bEUlT_E_NS1_11comp_targetILNS1_3genE10ELNS1_11target_archE1201ELNS1_3gpuE5ELNS1_3repE0EEENS1_30default_config_static_selectorELNS0_4arch9wavefront6targetE1EEEvSP_
	.globl	_ZN7rocprim17ROCPRIM_400000_NS6detail17trampoline_kernelINS0_14default_configENS1_29binary_search_config_selectorIsbEEZNS1_14transform_implILb0ES3_S5_N6thrust23THRUST_200600_302600_NS6detail15normal_iteratorINS8_10device_ptrIsEEEENSA_INSB_IbEEEEZNS1_13binary_searchIS3_S5_SD_SD_SF_NS1_16binary_search_opENS9_16wrapped_functionINS0_4lessIvEEbEEEE10hipError_tPvRmT1_T2_T3_mmT4_T5_P12ihipStream_tbEUlRKsE_EESM_SQ_SR_mSS_SV_bEUlT_E_NS1_11comp_targetILNS1_3genE10ELNS1_11target_archE1201ELNS1_3gpuE5ELNS1_3repE0EEENS1_30default_config_static_selectorELNS0_4arch9wavefront6targetE1EEEvSP_
	.p2align	8
	.type	_ZN7rocprim17ROCPRIM_400000_NS6detail17trampoline_kernelINS0_14default_configENS1_29binary_search_config_selectorIsbEEZNS1_14transform_implILb0ES3_S5_N6thrust23THRUST_200600_302600_NS6detail15normal_iteratorINS8_10device_ptrIsEEEENSA_INSB_IbEEEEZNS1_13binary_searchIS3_S5_SD_SD_SF_NS1_16binary_search_opENS9_16wrapped_functionINS0_4lessIvEEbEEEE10hipError_tPvRmT1_T2_T3_mmT4_T5_P12ihipStream_tbEUlRKsE_EESM_SQ_SR_mSS_SV_bEUlT_E_NS1_11comp_targetILNS1_3genE10ELNS1_11target_archE1201ELNS1_3gpuE5ELNS1_3repE0EEENS1_30default_config_static_selectorELNS0_4arch9wavefront6targetE1EEEvSP_,@function
_ZN7rocprim17ROCPRIM_400000_NS6detail17trampoline_kernelINS0_14default_configENS1_29binary_search_config_selectorIsbEEZNS1_14transform_implILb0ES3_S5_N6thrust23THRUST_200600_302600_NS6detail15normal_iteratorINS8_10device_ptrIsEEEENSA_INSB_IbEEEEZNS1_13binary_searchIS3_S5_SD_SD_SF_NS1_16binary_search_opENS9_16wrapped_functionINS0_4lessIvEEbEEEE10hipError_tPvRmT1_T2_T3_mmT4_T5_P12ihipStream_tbEUlRKsE_EESM_SQ_SR_mSS_SV_bEUlT_E_NS1_11comp_targetILNS1_3genE10ELNS1_11target_archE1201ELNS1_3gpuE5ELNS1_3repE0EEENS1_30default_config_static_selectorELNS0_4arch9wavefront6targetE1EEEvSP_: ; @_ZN7rocprim17ROCPRIM_400000_NS6detail17trampoline_kernelINS0_14default_configENS1_29binary_search_config_selectorIsbEEZNS1_14transform_implILb0ES3_S5_N6thrust23THRUST_200600_302600_NS6detail15normal_iteratorINS8_10device_ptrIsEEEENSA_INSB_IbEEEEZNS1_13binary_searchIS3_S5_SD_SD_SF_NS1_16binary_search_opENS9_16wrapped_functionINS0_4lessIvEEbEEEE10hipError_tPvRmT1_T2_T3_mmT4_T5_P12ihipStream_tbEUlRKsE_EESM_SQ_SR_mSS_SV_bEUlT_E_NS1_11comp_targetILNS1_3genE10ELNS1_11target_archE1201ELNS1_3gpuE5ELNS1_3repE0EEENS1_30default_config_static_selectorELNS0_4arch9wavefront6targetE1EEEvSP_
; %bb.0:
	.section	.rodata,"a",@progbits
	.p2align	6, 0x0
	.amdhsa_kernel _ZN7rocprim17ROCPRIM_400000_NS6detail17trampoline_kernelINS0_14default_configENS1_29binary_search_config_selectorIsbEEZNS1_14transform_implILb0ES3_S5_N6thrust23THRUST_200600_302600_NS6detail15normal_iteratorINS8_10device_ptrIsEEEENSA_INSB_IbEEEEZNS1_13binary_searchIS3_S5_SD_SD_SF_NS1_16binary_search_opENS9_16wrapped_functionINS0_4lessIvEEbEEEE10hipError_tPvRmT1_T2_T3_mmT4_T5_P12ihipStream_tbEUlRKsE_EESM_SQ_SR_mSS_SV_bEUlT_E_NS1_11comp_targetILNS1_3genE10ELNS1_11target_archE1201ELNS1_3gpuE5ELNS1_3repE0EEENS1_30default_config_static_selectorELNS0_4arch9wavefront6targetE1EEEvSP_
		.amdhsa_group_segment_fixed_size 0
		.amdhsa_private_segment_fixed_size 0
		.amdhsa_kernarg_size 56
		.amdhsa_user_sgpr_count 6
		.amdhsa_user_sgpr_private_segment_buffer 1
		.amdhsa_user_sgpr_dispatch_ptr 0
		.amdhsa_user_sgpr_queue_ptr 0
		.amdhsa_user_sgpr_kernarg_segment_ptr 1
		.amdhsa_user_sgpr_dispatch_id 0
		.amdhsa_user_sgpr_flat_scratch_init 0
		.amdhsa_user_sgpr_kernarg_preload_length 0
		.amdhsa_user_sgpr_kernarg_preload_offset 0
		.amdhsa_user_sgpr_private_segment_size 0
		.amdhsa_uses_dynamic_stack 0
		.amdhsa_system_sgpr_private_segment_wavefront_offset 0
		.amdhsa_system_sgpr_workgroup_id_x 1
		.amdhsa_system_sgpr_workgroup_id_y 0
		.amdhsa_system_sgpr_workgroup_id_z 0
		.amdhsa_system_sgpr_workgroup_info 0
		.amdhsa_system_vgpr_workitem_id 0
		.amdhsa_next_free_vgpr 1
		.amdhsa_next_free_sgpr 0
		.amdhsa_accum_offset 4
		.amdhsa_reserve_vcc 0
		.amdhsa_reserve_flat_scratch 0
		.amdhsa_float_round_mode_32 0
		.amdhsa_float_round_mode_16_64 0
		.amdhsa_float_denorm_mode_32 3
		.amdhsa_float_denorm_mode_16_64 3
		.amdhsa_dx10_clamp 1
		.amdhsa_ieee_mode 1
		.amdhsa_fp16_overflow 0
		.amdhsa_tg_split 0
		.amdhsa_exception_fp_ieee_invalid_op 0
		.amdhsa_exception_fp_denorm_src 0
		.amdhsa_exception_fp_ieee_div_zero 0
		.amdhsa_exception_fp_ieee_overflow 0
		.amdhsa_exception_fp_ieee_underflow 0
		.amdhsa_exception_fp_ieee_inexact 0
		.amdhsa_exception_int_div_zero 0
	.end_amdhsa_kernel
	.section	.text._ZN7rocprim17ROCPRIM_400000_NS6detail17trampoline_kernelINS0_14default_configENS1_29binary_search_config_selectorIsbEEZNS1_14transform_implILb0ES3_S5_N6thrust23THRUST_200600_302600_NS6detail15normal_iteratorINS8_10device_ptrIsEEEENSA_INSB_IbEEEEZNS1_13binary_searchIS3_S5_SD_SD_SF_NS1_16binary_search_opENS9_16wrapped_functionINS0_4lessIvEEbEEEE10hipError_tPvRmT1_T2_T3_mmT4_T5_P12ihipStream_tbEUlRKsE_EESM_SQ_SR_mSS_SV_bEUlT_E_NS1_11comp_targetILNS1_3genE10ELNS1_11target_archE1201ELNS1_3gpuE5ELNS1_3repE0EEENS1_30default_config_static_selectorELNS0_4arch9wavefront6targetE1EEEvSP_,"axG",@progbits,_ZN7rocprim17ROCPRIM_400000_NS6detail17trampoline_kernelINS0_14default_configENS1_29binary_search_config_selectorIsbEEZNS1_14transform_implILb0ES3_S5_N6thrust23THRUST_200600_302600_NS6detail15normal_iteratorINS8_10device_ptrIsEEEENSA_INSB_IbEEEEZNS1_13binary_searchIS3_S5_SD_SD_SF_NS1_16binary_search_opENS9_16wrapped_functionINS0_4lessIvEEbEEEE10hipError_tPvRmT1_T2_T3_mmT4_T5_P12ihipStream_tbEUlRKsE_EESM_SQ_SR_mSS_SV_bEUlT_E_NS1_11comp_targetILNS1_3genE10ELNS1_11target_archE1201ELNS1_3gpuE5ELNS1_3repE0EEENS1_30default_config_static_selectorELNS0_4arch9wavefront6targetE1EEEvSP_,comdat
.Lfunc_end533:
	.size	_ZN7rocprim17ROCPRIM_400000_NS6detail17trampoline_kernelINS0_14default_configENS1_29binary_search_config_selectorIsbEEZNS1_14transform_implILb0ES3_S5_N6thrust23THRUST_200600_302600_NS6detail15normal_iteratorINS8_10device_ptrIsEEEENSA_INSB_IbEEEEZNS1_13binary_searchIS3_S5_SD_SD_SF_NS1_16binary_search_opENS9_16wrapped_functionINS0_4lessIvEEbEEEE10hipError_tPvRmT1_T2_T3_mmT4_T5_P12ihipStream_tbEUlRKsE_EESM_SQ_SR_mSS_SV_bEUlT_E_NS1_11comp_targetILNS1_3genE10ELNS1_11target_archE1201ELNS1_3gpuE5ELNS1_3repE0EEENS1_30default_config_static_selectorELNS0_4arch9wavefront6targetE1EEEvSP_, .Lfunc_end533-_ZN7rocprim17ROCPRIM_400000_NS6detail17trampoline_kernelINS0_14default_configENS1_29binary_search_config_selectorIsbEEZNS1_14transform_implILb0ES3_S5_N6thrust23THRUST_200600_302600_NS6detail15normal_iteratorINS8_10device_ptrIsEEEENSA_INSB_IbEEEEZNS1_13binary_searchIS3_S5_SD_SD_SF_NS1_16binary_search_opENS9_16wrapped_functionINS0_4lessIvEEbEEEE10hipError_tPvRmT1_T2_T3_mmT4_T5_P12ihipStream_tbEUlRKsE_EESM_SQ_SR_mSS_SV_bEUlT_E_NS1_11comp_targetILNS1_3genE10ELNS1_11target_archE1201ELNS1_3gpuE5ELNS1_3repE0EEENS1_30default_config_static_selectorELNS0_4arch9wavefront6targetE1EEEvSP_
                                        ; -- End function
	.section	.AMDGPU.csdata,"",@progbits
; Kernel info:
; codeLenInByte = 0
; NumSgprs: 4
; NumVgprs: 0
; NumAgprs: 0
; TotalNumVgprs: 0
; ScratchSize: 0
; MemoryBound: 0
; FloatMode: 240
; IeeeMode: 1
; LDSByteSize: 0 bytes/workgroup (compile time only)
; SGPRBlocks: 0
; VGPRBlocks: 0
; NumSGPRsForWavesPerEU: 4
; NumVGPRsForWavesPerEU: 1
; AccumOffset: 4
; Occupancy: 8
; WaveLimiterHint : 0
; COMPUTE_PGM_RSRC2:SCRATCH_EN: 0
; COMPUTE_PGM_RSRC2:USER_SGPR: 6
; COMPUTE_PGM_RSRC2:TRAP_HANDLER: 0
; COMPUTE_PGM_RSRC2:TGID_X_EN: 1
; COMPUTE_PGM_RSRC2:TGID_Y_EN: 0
; COMPUTE_PGM_RSRC2:TGID_Z_EN: 0
; COMPUTE_PGM_RSRC2:TIDIG_COMP_CNT: 0
; COMPUTE_PGM_RSRC3_GFX90A:ACCUM_OFFSET: 0
; COMPUTE_PGM_RSRC3_GFX90A:TG_SPLIT: 0
	.section	.text._ZN7rocprim17ROCPRIM_400000_NS6detail17trampoline_kernelINS0_14default_configENS1_29binary_search_config_selectorIsbEEZNS1_14transform_implILb0ES3_S5_N6thrust23THRUST_200600_302600_NS6detail15normal_iteratorINS8_10device_ptrIsEEEENSA_INSB_IbEEEEZNS1_13binary_searchIS3_S5_SD_SD_SF_NS1_16binary_search_opENS9_16wrapped_functionINS0_4lessIvEEbEEEE10hipError_tPvRmT1_T2_T3_mmT4_T5_P12ihipStream_tbEUlRKsE_EESM_SQ_SR_mSS_SV_bEUlT_E_NS1_11comp_targetILNS1_3genE10ELNS1_11target_archE1200ELNS1_3gpuE4ELNS1_3repE0EEENS1_30default_config_static_selectorELNS0_4arch9wavefront6targetE1EEEvSP_,"axG",@progbits,_ZN7rocprim17ROCPRIM_400000_NS6detail17trampoline_kernelINS0_14default_configENS1_29binary_search_config_selectorIsbEEZNS1_14transform_implILb0ES3_S5_N6thrust23THRUST_200600_302600_NS6detail15normal_iteratorINS8_10device_ptrIsEEEENSA_INSB_IbEEEEZNS1_13binary_searchIS3_S5_SD_SD_SF_NS1_16binary_search_opENS9_16wrapped_functionINS0_4lessIvEEbEEEE10hipError_tPvRmT1_T2_T3_mmT4_T5_P12ihipStream_tbEUlRKsE_EESM_SQ_SR_mSS_SV_bEUlT_E_NS1_11comp_targetILNS1_3genE10ELNS1_11target_archE1200ELNS1_3gpuE4ELNS1_3repE0EEENS1_30default_config_static_selectorELNS0_4arch9wavefront6targetE1EEEvSP_,comdat
	.protected	_ZN7rocprim17ROCPRIM_400000_NS6detail17trampoline_kernelINS0_14default_configENS1_29binary_search_config_selectorIsbEEZNS1_14transform_implILb0ES3_S5_N6thrust23THRUST_200600_302600_NS6detail15normal_iteratorINS8_10device_ptrIsEEEENSA_INSB_IbEEEEZNS1_13binary_searchIS3_S5_SD_SD_SF_NS1_16binary_search_opENS9_16wrapped_functionINS0_4lessIvEEbEEEE10hipError_tPvRmT1_T2_T3_mmT4_T5_P12ihipStream_tbEUlRKsE_EESM_SQ_SR_mSS_SV_bEUlT_E_NS1_11comp_targetILNS1_3genE10ELNS1_11target_archE1200ELNS1_3gpuE4ELNS1_3repE0EEENS1_30default_config_static_selectorELNS0_4arch9wavefront6targetE1EEEvSP_ ; -- Begin function _ZN7rocprim17ROCPRIM_400000_NS6detail17trampoline_kernelINS0_14default_configENS1_29binary_search_config_selectorIsbEEZNS1_14transform_implILb0ES3_S5_N6thrust23THRUST_200600_302600_NS6detail15normal_iteratorINS8_10device_ptrIsEEEENSA_INSB_IbEEEEZNS1_13binary_searchIS3_S5_SD_SD_SF_NS1_16binary_search_opENS9_16wrapped_functionINS0_4lessIvEEbEEEE10hipError_tPvRmT1_T2_T3_mmT4_T5_P12ihipStream_tbEUlRKsE_EESM_SQ_SR_mSS_SV_bEUlT_E_NS1_11comp_targetILNS1_3genE10ELNS1_11target_archE1200ELNS1_3gpuE4ELNS1_3repE0EEENS1_30default_config_static_selectorELNS0_4arch9wavefront6targetE1EEEvSP_
	.globl	_ZN7rocprim17ROCPRIM_400000_NS6detail17trampoline_kernelINS0_14default_configENS1_29binary_search_config_selectorIsbEEZNS1_14transform_implILb0ES3_S5_N6thrust23THRUST_200600_302600_NS6detail15normal_iteratorINS8_10device_ptrIsEEEENSA_INSB_IbEEEEZNS1_13binary_searchIS3_S5_SD_SD_SF_NS1_16binary_search_opENS9_16wrapped_functionINS0_4lessIvEEbEEEE10hipError_tPvRmT1_T2_T3_mmT4_T5_P12ihipStream_tbEUlRKsE_EESM_SQ_SR_mSS_SV_bEUlT_E_NS1_11comp_targetILNS1_3genE10ELNS1_11target_archE1200ELNS1_3gpuE4ELNS1_3repE0EEENS1_30default_config_static_selectorELNS0_4arch9wavefront6targetE1EEEvSP_
	.p2align	8
	.type	_ZN7rocprim17ROCPRIM_400000_NS6detail17trampoline_kernelINS0_14default_configENS1_29binary_search_config_selectorIsbEEZNS1_14transform_implILb0ES3_S5_N6thrust23THRUST_200600_302600_NS6detail15normal_iteratorINS8_10device_ptrIsEEEENSA_INSB_IbEEEEZNS1_13binary_searchIS3_S5_SD_SD_SF_NS1_16binary_search_opENS9_16wrapped_functionINS0_4lessIvEEbEEEE10hipError_tPvRmT1_T2_T3_mmT4_T5_P12ihipStream_tbEUlRKsE_EESM_SQ_SR_mSS_SV_bEUlT_E_NS1_11comp_targetILNS1_3genE10ELNS1_11target_archE1200ELNS1_3gpuE4ELNS1_3repE0EEENS1_30default_config_static_selectorELNS0_4arch9wavefront6targetE1EEEvSP_,@function
_ZN7rocprim17ROCPRIM_400000_NS6detail17trampoline_kernelINS0_14default_configENS1_29binary_search_config_selectorIsbEEZNS1_14transform_implILb0ES3_S5_N6thrust23THRUST_200600_302600_NS6detail15normal_iteratorINS8_10device_ptrIsEEEENSA_INSB_IbEEEEZNS1_13binary_searchIS3_S5_SD_SD_SF_NS1_16binary_search_opENS9_16wrapped_functionINS0_4lessIvEEbEEEE10hipError_tPvRmT1_T2_T3_mmT4_T5_P12ihipStream_tbEUlRKsE_EESM_SQ_SR_mSS_SV_bEUlT_E_NS1_11comp_targetILNS1_3genE10ELNS1_11target_archE1200ELNS1_3gpuE4ELNS1_3repE0EEENS1_30default_config_static_selectorELNS0_4arch9wavefront6targetE1EEEvSP_: ; @_ZN7rocprim17ROCPRIM_400000_NS6detail17trampoline_kernelINS0_14default_configENS1_29binary_search_config_selectorIsbEEZNS1_14transform_implILb0ES3_S5_N6thrust23THRUST_200600_302600_NS6detail15normal_iteratorINS8_10device_ptrIsEEEENSA_INSB_IbEEEEZNS1_13binary_searchIS3_S5_SD_SD_SF_NS1_16binary_search_opENS9_16wrapped_functionINS0_4lessIvEEbEEEE10hipError_tPvRmT1_T2_T3_mmT4_T5_P12ihipStream_tbEUlRKsE_EESM_SQ_SR_mSS_SV_bEUlT_E_NS1_11comp_targetILNS1_3genE10ELNS1_11target_archE1200ELNS1_3gpuE4ELNS1_3repE0EEENS1_30default_config_static_selectorELNS0_4arch9wavefront6targetE1EEEvSP_
; %bb.0:
	.section	.rodata,"a",@progbits
	.p2align	6, 0x0
	.amdhsa_kernel _ZN7rocprim17ROCPRIM_400000_NS6detail17trampoline_kernelINS0_14default_configENS1_29binary_search_config_selectorIsbEEZNS1_14transform_implILb0ES3_S5_N6thrust23THRUST_200600_302600_NS6detail15normal_iteratorINS8_10device_ptrIsEEEENSA_INSB_IbEEEEZNS1_13binary_searchIS3_S5_SD_SD_SF_NS1_16binary_search_opENS9_16wrapped_functionINS0_4lessIvEEbEEEE10hipError_tPvRmT1_T2_T3_mmT4_T5_P12ihipStream_tbEUlRKsE_EESM_SQ_SR_mSS_SV_bEUlT_E_NS1_11comp_targetILNS1_3genE10ELNS1_11target_archE1200ELNS1_3gpuE4ELNS1_3repE0EEENS1_30default_config_static_selectorELNS0_4arch9wavefront6targetE1EEEvSP_
		.amdhsa_group_segment_fixed_size 0
		.amdhsa_private_segment_fixed_size 0
		.amdhsa_kernarg_size 56
		.amdhsa_user_sgpr_count 6
		.amdhsa_user_sgpr_private_segment_buffer 1
		.amdhsa_user_sgpr_dispatch_ptr 0
		.amdhsa_user_sgpr_queue_ptr 0
		.amdhsa_user_sgpr_kernarg_segment_ptr 1
		.amdhsa_user_sgpr_dispatch_id 0
		.amdhsa_user_sgpr_flat_scratch_init 0
		.amdhsa_user_sgpr_kernarg_preload_length 0
		.amdhsa_user_sgpr_kernarg_preload_offset 0
		.amdhsa_user_sgpr_private_segment_size 0
		.amdhsa_uses_dynamic_stack 0
		.amdhsa_system_sgpr_private_segment_wavefront_offset 0
		.amdhsa_system_sgpr_workgroup_id_x 1
		.amdhsa_system_sgpr_workgroup_id_y 0
		.amdhsa_system_sgpr_workgroup_id_z 0
		.amdhsa_system_sgpr_workgroup_info 0
		.amdhsa_system_vgpr_workitem_id 0
		.amdhsa_next_free_vgpr 1
		.amdhsa_next_free_sgpr 0
		.amdhsa_accum_offset 4
		.amdhsa_reserve_vcc 0
		.amdhsa_reserve_flat_scratch 0
		.amdhsa_float_round_mode_32 0
		.amdhsa_float_round_mode_16_64 0
		.amdhsa_float_denorm_mode_32 3
		.amdhsa_float_denorm_mode_16_64 3
		.amdhsa_dx10_clamp 1
		.amdhsa_ieee_mode 1
		.amdhsa_fp16_overflow 0
		.amdhsa_tg_split 0
		.amdhsa_exception_fp_ieee_invalid_op 0
		.amdhsa_exception_fp_denorm_src 0
		.amdhsa_exception_fp_ieee_div_zero 0
		.amdhsa_exception_fp_ieee_overflow 0
		.amdhsa_exception_fp_ieee_underflow 0
		.amdhsa_exception_fp_ieee_inexact 0
		.amdhsa_exception_int_div_zero 0
	.end_amdhsa_kernel
	.section	.text._ZN7rocprim17ROCPRIM_400000_NS6detail17trampoline_kernelINS0_14default_configENS1_29binary_search_config_selectorIsbEEZNS1_14transform_implILb0ES3_S5_N6thrust23THRUST_200600_302600_NS6detail15normal_iteratorINS8_10device_ptrIsEEEENSA_INSB_IbEEEEZNS1_13binary_searchIS3_S5_SD_SD_SF_NS1_16binary_search_opENS9_16wrapped_functionINS0_4lessIvEEbEEEE10hipError_tPvRmT1_T2_T3_mmT4_T5_P12ihipStream_tbEUlRKsE_EESM_SQ_SR_mSS_SV_bEUlT_E_NS1_11comp_targetILNS1_3genE10ELNS1_11target_archE1200ELNS1_3gpuE4ELNS1_3repE0EEENS1_30default_config_static_selectorELNS0_4arch9wavefront6targetE1EEEvSP_,"axG",@progbits,_ZN7rocprim17ROCPRIM_400000_NS6detail17trampoline_kernelINS0_14default_configENS1_29binary_search_config_selectorIsbEEZNS1_14transform_implILb0ES3_S5_N6thrust23THRUST_200600_302600_NS6detail15normal_iteratorINS8_10device_ptrIsEEEENSA_INSB_IbEEEEZNS1_13binary_searchIS3_S5_SD_SD_SF_NS1_16binary_search_opENS9_16wrapped_functionINS0_4lessIvEEbEEEE10hipError_tPvRmT1_T2_T3_mmT4_T5_P12ihipStream_tbEUlRKsE_EESM_SQ_SR_mSS_SV_bEUlT_E_NS1_11comp_targetILNS1_3genE10ELNS1_11target_archE1200ELNS1_3gpuE4ELNS1_3repE0EEENS1_30default_config_static_selectorELNS0_4arch9wavefront6targetE1EEEvSP_,comdat
.Lfunc_end534:
	.size	_ZN7rocprim17ROCPRIM_400000_NS6detail17trampoline_kernelINS0_14default_configENS1_29binary_search_config_selectorIsbEEZNS1_14transform_implILb0ES3_S5_N6thrust23THRUST_200600_302600_NS6detail15normal_iteratorINS8_10device_ptrIsEEEENSA_INSB_IbEEEEZNS1_13binary_searchIS3_S5_SD_SD_SF_NS1_16binary_search_opENS9_16wrapped_functionINS0_4lessIvEEbEEEE10hipError_tPvRmT1_T2_T3_mmT4_T5_P12ihipStream_tbEUlRKsE_EESM_SQ_SR_mSS_SV_bEUlT_E_NS1_11comp_targetILNS1_3genE10ELNS1_11target_archE1200ELNS1_3gpuE4ELNS1_3repE0EEENS1_30default_config_static_selectorELNS0_4arch9wavefront6targetE1EEEvSP_, .Lfunc_end534-_ZN7rocprim17ROCPRIM_400000_NS6detail17trampoline_kernelINS0_14default_configENS1_29binary_search_config_selectorIsbEEZNS1_14transform_implILb0ES3_S5_N6thrust23THRUST_200600_302600_NS6detail15normal_iteratorINS8_10device_ptrIsEEEENSA_INSB_IbEEEEZNS1_13binary_searchIS3_S5_SD_SD_SF_NS1_16binary_search_opENS9_16wrapped_functionINS0_4lessIvEEbEEEE10hipError_tPvRmT1_T2_T3_mmT4_T5_P12ihipStream_tbEUlRKsE_EESM_SQ_SR_mSS_SV_bEUlT_E_NS1_11comp_targetILNS1_3genE10ELNS1_11target_archE1200ELNS1_3gpuE4ELNS1_3repE0EEENS1_30default_config_static_selectorELNS0_4arch9wavefront6targetE1EEEvSP_
                                        ; -- End function
	.section	.AMDGPU.csdata,"",@progbits
; Kernel info:
; codeLenInByte = 0
; NumSgprs: 4
; NumVgprs: 0
; NumAgprs: 0
; TotalNumVgprs: 0
; ScratchSize: 0
; MemoryBound: 0
; FloatMode: 240
; IeeeMode: 1
; LDSByteSize: 0 bytes/workgroup (compile time only)
; SGPRBlocks: 0
; VGPRBlocks: 0
; NumSGPRsForWavesPerEU: 4
; NumVGPRsForWavesPerEU: 1
; AccumOffset: 4
; Occupancy: 8
; WaveLimiterHint : 0
; COMPUTE_PGM_RSRC2:SCRATCH_EN: 0
; COMPUTE_PGM_RSRC2:USER_SGPR: 6
; COMPUTE_PGM_RSRC2:TRAP_HANDLER: 0
; COMPUTE_PGM_RSRC2:TGID_X_EN: 1
; COMPUTE_PGM_RSRC2:TGID_Y_EN: 0
; COMPUTE_PGM_RSRC2:TGID_Z_EN: 0
; COMPUTE_PGM_RSRC2:TIDIG_COMP_CNT: 0
; COMPUTE_PGM_RSRC3_GFX90A:ACCUM_OFFSET: 0
; COMPUTE_PGM_RSRC3_GFX90A:TG_SPLIT: 0
	.section	.text._ZN7rocprim17ROCPRIM_400000_NS6detail17trampoline_kernelINS0_14default_configENS1_29binary_search_config_selectorIsbEEZNS1_14transform_implILb0ES3_S5_N6thrust23THRUST_200600_302600_NS6detail15normal_iteratorINS8_10device_ptrIsEEEENSA_INSB_IbEEEEZNS1_13binary_searchIS3_S5_SD_SD_SF_NS1_16binary_search_opENS9_16wrapped_functionINS0_4lessIvEEbEEEE10hipError_tPvRmT1_T2_T3_mmT4_T5_P12ihipStream_tbEUlRKsE_EESM_SQ_SR_mSS_SV_bEUlT_E_NS1_11comp_targetILNS1_3genE9ELNS1_11target_archE1100ELNS1_3gpuE3ELNS1_3repE0EEENS1_30default_config_static_selectorELNS0_4arch9wavefront6targetE1EEEvSP_,"axG",@progbits,_ZN7rocprim17ROCPRIM_400000_NS6detail17trampoline_kernelINS0_14default_configENS1_29binary_search_config_selectorIsbEEZNS1_14transform_implILb0ES3_S5_N6thrust23THRUST_200600_302600_NS6detail15normal_iteratorINS8_10device_ptrIsEEEENSA_INSB_IbEEEEZNS1_13binary_searchIS3_S5_SD_SD_SF_NS1_16binary_search_opENS9_16wrapped_functionINS0_4lessIvEEbEEEE10hipError_tPvRmT1_T2_T3_mmT4_T5_P12ihipStream_tbEUlRKsE_EESM_SQ_SR_mSS_SV_bEUlT_E_NS1_11comp_targetILNS1_3genE9ELNS1_11target_archE1100ELNS1_3gpuE3ELNS1_3repE0EEENS1_30default_config_static_selectorELNS0_4arch9wavefront6targetE1EEEvSP_,comdat
	.protected	_ZN7rocprim17ROCPRIM_400000_NS6detail17trampoline_kernelINS0_14default_configENS1_29binary_search_config_selectorIsbEEZNS1_14transform_implILb0ES3_S5_N6thrust23THRUST_200600_302600_NS6detail15normal_iteratorINS8_10device_ptrIsEEEENSA_INSB_IbEEEEZNS1_13binary_searchIS3_S5_SD_SD_SF_NS1_16binary_search_opENS9_16wrapped_functionINS0_4lessIvEEbEEEE10hipError_tPvRmT1_T2_T3_mmT4_T5_P12ihipStream_tbEUlRKsE_EESM_SQ_SR_mSS_SV_bEUlT_E_NS1_11comp_targetILNS1_3genE9ELNS1_11target_archE1100ELNS1_3gpuE3ELNS1_3repE0EEENS1_30default_config_static_selectorELNS0_4arch9wavefront6targetE1EEEvSP_ ; -- Begin function _ZN7rocprim17ROCPRIM_400000_NS6detail17trampoline_kernelINS0_14default_configENS1_29binary_search_config_selectorIsbEEZNS1_14transform_implILb0ES3_S5_N6thrust23THRUST_200600_302600_NS6detail15normal_iteratorINS8_10device_ptrIsEEEENSA_INSB_IbEEEEZNS1_13binary_searchIS3_S5_SD_SD_SF_NS1_16binary_search_opENS9_16wrapped_functionINS0_4lessIvEEbEEEE10hipError_tPvRmT1_T2_T3_mmT4_T5_P12ihipStream_tbEUlRKsE_EESM_SQ_SR_mSS_SV_bEUlT_E_NS1_11comp_targetILNS1_3genE9ELNS1_11target_archE1100ELNS1_3gpuE3ELNS1_3repE0EEENS1_30default_config_static_selectorELNS0_4arch9wavefront6targetE1EEEvSP_
	.globl	_ZN7rocprim17ROCPRIM_400000_NS6detail17trampoline_kernelINS0_14default_configENS1_29binary_search_config_selectorIsbEEZNS1_14transform_implILb0ES3_S5_N6thrust23THRUST_200600_302600_NS6detail15normal_iteratorINS8_10device_ptrIsEEEENSA_INSB_IbEEEEZNS1_13binary_searchIS3_S5_SD_SD_SF_NS1_16binary_search_opENS9_16wrapped_functionINS0_4lessIvEEbEEEE10hipError_tPvRmT1_T2_T3_mmT4_T5_P12ihipStream_tbEUlRKsE_EESM_SQ_SR_mSS_SV_bEUlT_E_NS1_11comp_targetILNS1_3genE9ELNS1_11target_archE1100ELNS1_3gpuE3ELNS1_3repE0EEENS1_30default_config_static_selectorELNS0_4arch9wavefront6targetE1EEEvSP_
	.p2align	8
	.type	_ZN7rocprim17ROCPRIM_400000_NS6detail17trampoline_kernelINS0_14default_configENS1_29binary_search_config_selectorIsbEEZNS1_14transform_implILb0ES3_S5_N6thrust23THRUST_200600_302600_NS6detail15normal_iteratorINS8_10device_ptrIsEEEENSA_INSB_IbEEEEZNS1_13binary_searchIS3_S5_SD_SD_SF_NS1_16binary_search_opENS9_16wrapped_functionINS0_4lessIvEEbEEEE10hipError_tPvRmT1_T2_T3_mmT4_T5_P12ihipStream_tbEUlRKsE_EESM_SQ_SR_mSS_SV_bEUlT_E_NS1_11comp_targetILNS1_3genE9ELNS1_11target_archE1100ELNS1_3gpuE3ELNS1_3repE0EEENS1_30default_config_static_selectorELNS0_4arch9wavefront6targetE1EEEvSP_,@function
_ZN7rocprim17ROCPRIM_400000_NS6detail17trampoline_kernelINS0_14default_configENS1_29binary_search_config_selectorIsbEEZNS1_14transform_implILb0ES3_S5_N6thrust23THRUST_200600_302600_NS6detail15normal_iteratorINS8_10device_ptrIsEEEENSA_INSB_IbEEEEZNS1_13binary_searchIS3_S5_SD_SD_SF_NS1_16binary_search_opENS9_16wrapped_functionINS0_4lessIvEEbEEEE10hipError_tPvRmT1_T2_T3_mmT4_T5_P12ihipStream_tbEUlRKsE_EESM_SQ_SR_mSS_SV_bEUlT_E_NS1_11comp_targetILNS1_3genE9ELNS1_11target_archE1100ELNS1_3gpuE3ELNS1_3repE0EEENS1_30default_config_static_selectorELNS0_4arch9wavefront6targetE1EEEvSP_: ; @_ZN7rocprim17ROCPRIM_400000_NS6detail17trampoline_kernelINS0_14default_configENS1_29binary_search_config_selectorIsbEEZNS1_14transform_implILb0ES3_S5_N6thrust23THRUST_200600_302600_NS6detail15normal_iteratorINS8_10device_ptrIsEEEENSA_INSB_IbEEEEZNS1_13binary_searchIS3_S5_SD_SD_SF_NS1_16binary_search_opENS9_16wrapped_functionINS0_4lessIvEEbEEEE10hipError_tPvRmT1_T2_T3_mmT4_T5_P12ihipStream_tbEUlRKsE_EESM_SQ_SR_mSS_SV_bEUlT_E_NS1_11comp_targetILNS1_3genE9ELNS1_11target_archE1100ELNS1_3gpuE3ELNS1_3repE0EEENS1_30default_config_static_selectorELNS0_4arch9wavefront6targetE1EEEvSP_
; %bb.0:
	.section	.rodata,"a",@progbits
	.p2align	6, 0x0
	.amdhsa_kernel _ZN7rocprim17ROCPRIM_400000_NS6detail17trampoline_kernelINS0_14default_configENS1_29binary_search_config_selectorIsbEEZNS1_14transform_implILb0ES3_S5_N6thrust23THRUST_200600_302600_NS6detail15normal_iteratorINS8_10device_ptrIsEEEENSA_INSB_IbEEEEZNS1_13binary_searchIS3_S5_SD_SD_SF_NS1_16binary_search_opENS9_16wrapped_functionINS0_4lessIvEEbEEEE10hipError_tPvRmT1_T2_T3_mmT4_T5_P12ihipStream_tbEUlRKsE_EESM_SQ_SR_mSS_SV_bEUlT_E_NS1_11comp_targetILNS1_3genE9ELNS1_11target_archE1100ELNS1_3gpuE3ELNS1_3repE0EEENS1_30default_config_static_selectorELNS0_4arch9wavefront6targetE1EEEvSP_
		.amdhsa_group_segment_fixed_size 0
		.amdhsa_private_segment_fixed_size 0
		.amdhsa_kernarg_size 56
		.amdhsa_user_sgpr_count 6
		.amdhsa_user_sgpr_private_segment_buffer 1
		.amdhsa_user_sgpr_dispatch_ptr 0
		.amdhsa_user_sgpr_queue_ptr 0
		.amdhsa_user_sgpr_kernarg_segment_ptr 1
		.amdhsa_user_sgpr_dispatch_id 0
		.amdhsa_user_sgpr_flat_scratch_init 0
		.amdhsa_user_sgpr_kernarg_preload_length 0
		.amdhsa_user_sgpr_kernarg_preload_offset 0
		.amdhsa_user_sgpr_private_segment_size 0
		.amdhsa_uses_dynamic_stack 0
		.amdhsa_system_sgpr_private_segment_wavefront_offset 0
		.amdhsa_system_sgpr_workgroup_id_x 1
		.amdhsa_system_sgpr_workgroup_id_y 0
		.amdhsa_system_sgpr_workgroup_id_z 0
		.amdhsa_system_sgpr_workgroup_info 0
		.amdhsa_system_vgpr_workitem_id 0
		.amdhsa_next_free_vgpr 1
		.amdhsa_next_free_sgpr 0
		.amdhsa_accum_offset 4
		.amdhsa_reserve_vcc 0
		.amdhsa_reserve_flat_scratch 0
		.amdhsa_float_round_mode_32 0
		.amdhsa_float_round_mode_16_64 0
		.amdhsa_float_denorm_mode_32 3
		.amdhsa_float_denorm_mode_16_64 3
		.amdhsa_dx10_clamp 1
		.amdhsa_ieee_mode 1
		.amdhsa_fp16_overflow 0
		.amdhsa_tg_split 0
		.amdhsa_exception_fp_ieee_invalid_op 0
		.amdhsa_exception_fp_denorm_src 0
		.amdhsa_exception_fp_ieee_div_zero 0
		.amdhsa_exception_fp_ieee_overflow 0
		.amdhsa_exception_fp_ieee_underflow 0
		.amdhsa_exception_fp_ieee_inexact 0
		.amdhsa_exception_int_div_zero 0
	.end_amdhsa_kernel
	.section	.text._ZN7rocprim17ROCPRIM_400000_NS6detail17trampoline_kernelINS0_14default_configENS1_29binary_search_config_selectorIsbEEZNS1_14transform_implILb0ES3_S5_N6thrust23THRUST_200600_302600_NS6detail15normal_iteratorINS8_10device_ptrIsEEEENSA_INSB_IbEEEEZNS1_13binary_searchIS3_S5_SD_SD_SF_NS1_16binary_search_opENS9_16wrapped_functionINS0_4lessIvEEbEEEE10hipError_tPvRmT1_T2_T3_mmT4_T5_P12ihipStream_tbEUlRKsE_EESM_SQ_SR_mSS_SV_bEUlT_E_NS1_11comp_targetILNS1_3genE9ELNS1_11target_archE1100ELNS1_3gpuE3ELNS1_3repE0EEENS1_30default_config_static_selectorELNS0_4arch9wavefront6targetE1EEEvSP_,"axG",@progbits,_ZN7rocprim17ROCPRIM_400000_NS6detail17trampoline_kernelINS0_14default_configENS1_29binary_search_config_selectorIsbEEZNS1_14transform_implILb0ES3_S5_N6thrust23THRUST_200600_302600_NS6detail15normal_iteratorINS8_10device_ptrIsEEEENSA_INSB_IbEEEEZNS1_13binary_searchIS3_S5_SD_SD_SF_NS1_16binary_search_opENS9_16wrapped_functionINS0_4lessIvEEbEEEE10hipError_tPvRmT1_T2_T3_mmT4_T5_P12ihipStream_tbEUlRKsE_EESM_SQ_SR_mSS_SV_bEUlT_E_NS1_11comp_targetILNS1_3genE9ELNS1_11target_archE1100ELNS1_3gpuE3ELNS1_3repE0EEENS1_30default_config_static_selectorELNS0_4arch9wavefront6targetE1EEEvSP_,comdat
.Lfunc_end535:
	.size	_ZN7rocprim17ROCPRIM_400000_NS6detail17trampoline_kernelINS0_14default_configENS1_29binary_search_config_selectorIsbEEZNS1_14transform_implILb0ES3_S5_N6thrust23THRUST_200600_302600_NS6detail15normal_iteratorINS8_10device_ptrIsEEEENSA_INSB_IbEEEEZNS1_13binary_searchIS3_S5_SD_SD_SF_NS1_16binary_search_opENS9_16wrapped_functionINS0_4lessIvEEbEEEE10hipError_tPvRmT1_T2_T3_mmT4_T5_P12ihipStream_tbEUlRKsE_EESM_SQ_SR_mSS_SV_bEUlT_E_NS1_11comp_targetILNS1_3genE9ELNS1_11target_archE1100ELNS1_3gpuE3ELNS1_3repE0EEENS1_30default_config_static_selectorELNS0_4arch9wavefront6targetE1EEEvSP_, .Lfunc_end535-_ZN7rocprim17ROCPRIM_400000_NS6detail17trampoline_kernelINS0_14default_configENS1_29binary_search_config_selectorIsbEEZNS1_14transform_implILb0ES3_S5_N6thrust23THRUST_200600_302600_NS6detail15normal_iteratorINS8_10device_ptrIsEEEENSA_INSB_IbEEEEZNS1_13binary_searchIS3_S5_SD_SD_SF_NS1_16binary_search_opENS9_16wrapped_functionINS0_4lessIvEEbEEEE10hipError_tPvRmT1_T2_T3_mmT4_T5_P12ihipStream_tbEUlRKsE_EESM_SQ_SR_mSS_SV_bEUlT_E_NS1_11comp_targetILNS1_3genE9ELNS1_11target_archE1100ELNS1_3gpuE3ELNS1_3repE0EEENS1_30default_config_static_selectorELNS0_4arch9wavefront6targetE1EEEvSP_
                                        ; -- End function
	.section	.AMDGPU.csdata,"",@progbits
; Kernel info:
; codeLenInByte = 0
; NumSgprs: 4
; NumVgprs: 0
; NumAgprs: 0
; TotalNumVgprs: 0
; ScratchSize: 0
; MemoryBound: 0
; FloatMode: 240
; IeeeMode: 1
; LDSByteSize: 0 bytes/workgroup (compile time only)
; SGPRBlocks: 0
; VGPRBlocks: 0
; NumSGPRsForWavesPerEU: 4
; NumVGPRsForWavesPerEU: 1
; AccumOffset: 4
; Occupancy: 8
; WaveLimiterHint : 0
; COMPUTE_PGM_RSRC2:SCRATCH_EN: 0
; COMPUTE_PGM_RSRC2:USER_SGPR: 6
; COMPUTE_PGM_RSRC2:TRAP_HANDLER: 0
; COMPUTE_PGM_RSRC2:TGID_X_EN: 1
; COMPUTE_PGM_RSRC2:TGID_Y_EN: 0
; COMPUTE_PGM_RSRC2:TGID_Z_EN: 0
; COMPUTE_PGM_RSRC2:TIDIG_COMP_CNT: 0
; COMPUTE_PGM_RSRC3_GFX90A:ACCUM_OFFSET: 0
; COMPUTE_PGM_RSRC3_GFX90A:TG_SPLIT: 0
	.section	.text._ZN7rocprim17ROCPRIM_400000_NS6detail17trampoline_kernelINS0_14default_configENS1_29binary_search_config_selectorIsbEEZNS1_14transform_implILb0ES3_S5_N6thrust23THRUST_200600_302600_NS6detail15normal_iteratorINS8_10device_ptrIsEEEENSA_INSB_IbEEEEZNS1_13binary_searchIS3_S5_SD_SD_SF_NS1_16binary_search_opENS9_16wrapped_functionINS0_4lessIvEEbEEEE10hipError_tPvRmT1_T2_T3_mmT4_T5_P12ihipStream_tbEUlRKsE_EESM_SQ_SR_mSS_SV_bEUlT_E_NS1_11comp_targetILNS1_3genE8ELNS1_11target_archE1030ELNS1_3gpuE2ELNS1_3repE0EEENS1_30default_config_static_selectorELNS0_4arch9wavefront6targetE1EEEvSP_,"axG",@progbits,_ZN7rocprim17ROCPRIM_400000_NS6detail17trampoline_kernelINS0_14default_configENS1_29binary_search_config_selectorIsbEEZNS1_14transform_implILb0ES3_S5_N6thrust23THRUST_200600_302600_NS6detail15normal_iteratorINS8_10device_ptrIsEEEENSA_INSB_IbEEEEZNS1_13binary_searchIS3_S5_SD_SD_SF_NS1_16binary_search_opENS9_16wrapped_functionINS0_4lessIvEEbEEEE10hipError_tPvRmT1_T2_T3_mmT4_T5_P12ihipStream_tbEUlRKsE_EESM_SQ_SR_mSS_SV_bEUlT_E_NS1_11comp_targetILNS1_3genE8ELNS1_11target_archE1030ELNS1_3gpuE2ELNS1_3repE0EEENS1_30default_config_static_selectorELNS0_4arch9wavefront6targetE1EEEvSP_,comdat
	.protected	_ZN7rocprim17ROCPRIM_400000_NS6detail17trampoline_kernelINS0_14default_configENS1_29binary_search_config_selectorIsbEEZNS1_14transform_implILb0ES3_S5_N6thrust23THRUST_200600_302600_NS6detail15normal_iteratorINS8_10device_ptrIsEEEENSA_INSB_IbEEEEZNS1_13binary_searchIS3_S5_SD_SD_SF_NS1_16binary_search_opENS9_16wrapped_functionINS0_4lessIvEEbEEEE10hipError_tPvRmT1_T2_T3_mmT4_T5_P12ihipStream_tbEUlRKsE_EESM_SQ_SR_mSS_SV_bEUlT_E_NS1_11comp_targetILNS1_3genE8ELNS1_11target_archE1030ELNS1_3gpuE2ELNS1_3repE0EEENS1_30default_config_static_selectorELNS0_4arch9wavefront6targetE1EEEvSP_ ; -- Begin function _ZN7rocprim17ROCPRIM_400000_NS6detail17trampoline_kernelINS0_14default_configENS1_29binary_search_config_selectorIsbEEZNS1_14transform_implILb0ES3_S5_N6thrust23THRUST_200600_302600_NS6detail15normal_iteratorINS8_10device_ptrIsEEEENSA_INSB_IbEEEEZNS1_13binary_searchIS3_S5_SD_SD_SF_NS1_16binary_search_opENS9_16wrapped_functionINS0_4lessIvEEbEEEE10hipError_tPvRmT1_T2_T3_mmT4_T5_P12ihipStream_tbEUlRKsE_EESM_SQ_SR_mSS_SV_bEUlT_E_NS1_11comp_targetILNS1_3genE8ELNS1_11target_archE1030ELNS1_3gpuE2ELNS1_3repE0EEENS1_30default_config_static_selectorELNS0_4arch9wavefront6targetE1EEEvSP_
	.globl	_ZN7rocprim17ROCPRIM_400000_NS6detail17trampoline_kernelINS0_14default_configENS1_29binary_search_config_selectorIsbEEZNS1_14transform_implILb0ES3_S5_N6thrust23THRUST_200600_302600_NS6detail15normal_iteratorINS8_10device_ptrIsEEEENSA_INSB_IbEEEEZNS1_13binary_searchIS3_S5_SD_SD_SF_NS1_16binary_search_opENS9_16wrapped_functionINS0_4lessIvEEbEEEE10hipError_tPvRmT1_T2_T3_mmT4_T5_P12ihipStream_tbEUlRKsE_EESM_SQ_SR_mSS_SV_bEUlT_E_NS1_11comp_targetILNS1_3genE8ELNS1_11target_archE1030ELNS1_3gpuE2ELNS1_3repE0EEENS1_30default_config_static_selectorELNS0_4arch9wavefront6targetE1EEEvSP_
	.p2align	8
	.type	_ZN7rocprim17ROCPRIM_400000_NS6detail17trampoline_kernelINS0_14default_configENS1_29binary_search_config_selectorIsbEEZNS1_14transform_implILb0ES3_S5_N6thrust23THRUST_200600_302600_NS6detail15normal_iteratorINS8_10device_ptrIsEEEENSA_INSB_IbEEEEZNS1_13binary_searchIS3_S5_SD_SD_SF_NS1_16binary_search_opENS9_16wrapped_functionINS0_4lessIvEEbEEEE10hipError_tPvRmT1_T2_T3_mmT4_T5_P12ihipStream_tbEUlRKsE_EESM_SQ_SR_mSS_SV_bEUlT_E_NS1_11comp_targetILNS1_3genE8ELNS1_11target_archE1030ELNS1_3gpuE2ELNS1_3repE0EEENS1_30default_config_static_selectorELNS0_4arch9wavefront6targetE1EEEvSP_,@function
_ZN7rocprim17ROCPRIM_400000_NS6detail17trampoline_kernelINS0_14default_configENS1_29binary_search_config_selectorIsbEEZNS1_14transform_implILb0ES3_S5_N6thrust23THRUST_200600_302600_NS6detail15normal_iteratorINS8_10device_ptrIsEEEENSA_INSB_IbEEEEZNS1_13binary_searchIS3_S5_SD_SD_SF_NS1_16binary_search_opENS9_16wrapped_functionINS0_4lessIvEEbEEEE10hipError_tPvRmT1_T2_T3_mmT4_T5_P12ihipStream_tbEUlRKsE_EESM_SQ_SR_mSS_SV_bEUlT_E_NS1_11comp_targetILNS1_3genE8ELNS1_11target_archE1030ELNS1_3gpuE2ELNS1_3repE0EEENS1_30default_config_static_selectorELNS0_4arch9wavefront6targetE1EEEvSP_: ; @_ZN7rocprim17ROCPRIM_400000_NS6detail17trampoline_kernelINS0_14default_configENS1_29binary_search_config_selectorIsbEEZNS1_14transform_implILb0ES3_S5_N6thrust23THRUST_200600_302600_NS6detail15normal_iteratorINS8_10device_ptrIsEEEENSA_INSB_IbEEEEZNS1_13binary_searchIS3_S5_SD_SD_SF_NS1_16binary_search_opENS9_16wrapped_functionINS0_4lessIvEEbEEEE10hipError_tPvRmT1_T2_T3_mmT4_T5_P12ihipStream_tbEUlRKsE_EESM_SQ_SR_mSS_SV_bEUlT_E_NS1_11comp_targetILNS1_3genE8ELNS1_11target_archE1030ELNS1_3gpuE2ELNS1_3repE0EEENS1_30default_config_static_selectorELNS0_4arch9wavefront6targetE1EEEvSP_
; %bb.0:
	.section	.rodata,"a",@progbits
	.p2align	6, 0x0
	.amdhsa_kernel _ZN7rocprim17ROCPRIM_400000_NS6detail17trampoline_kernelINS0_14default_configENS1_29binary_search_config_selectorIsbEEZNS1_14transform_implILb0ES3_S5_N6thrust23THRUST_200600_302600_NS6detail15normal_iteratorINS8_10device_ptrIsEEEENSA_INSB_IbEEEEZNS1_13binary_searchIS3_S5_SD_SD_SF_NS1_16binary_search_opENS9_16wrapped_functionINS0_4lessIvEEbEEEE10hipError_tPvRmT1_T2_T3_mmT4_T5_P12ihipStream_tbEUlRKsE_EESM_SQ_SR_mSS_SV_bEUlT_E_NS1_11comp_targetILNS1_3genE8ELNS1_11target_archE1030ELNS1_3gpuE2ELNS1_3repE0EEENS1_30default_config_static_selectorELNS0_4arch9wavefront6targetE1EEEvSP_
		.amdhsa_group_segment_fixed_size 0
		.amdhsa_private_segment_fixed_size 0
		.amdhsa_kernarg_size 56
		.amdhsa_user_sgpr_count 6
		.amdhsa_user_sgpr_private_segment_buffer 1
		.amdhsa_user_sgpr_dispatch_ptr 0
		.amdhsa_user_sgpr_queue_ptr 0
		.amdhsa_user_sgpr_kernarg_segment_ptr 1
		.amdhsa_user_sgpr_dispatch_id 0
		.amdhsa_user_sgpr_flat_scratch_init 0
		.amdhsa_user_sgpr_kernarg_preload_length 0
		.amdhsa_user_sgpr_kernarg_preload_offset 0
		.amdhsa_user_sgpr_private_segment_size 0
		.amdhsa_uses_dynamic_stack 0
		.amdhsa_system_sgpr_private_segment_wavefront_offset 0
		.amdhsa_system_sgpr_workgroup_id_x 1
		.amdhsa_system_sgpr_workgroup_id_y 0
		.amdhsa_system_sgpr_workgroup_id_z 0
		.amdhsa_system_sgpr_workgroup_info 0
		.amdhsa_system_vgpr_workitem_id 0
		.amdhsa_next_free_vgpr 1
		.amdhsa_next_free_sgpr 0
		.amdhsa_accum_offset 4
		.amdhsa_reserve_vcc 0
		.amdhsa_reserve_flat_scratch 0
		.amdhsa_float_round_mode_32 0
		.amdhsa_float_round_mode_16_64 0
		.amdhsa_float_denorm_mode_32 3
		.amdhsa_float_denorm_mode_16_64 3
		.amdhsa_dx10_clamp 1
		.amdhsa_ieee_mode 1
		.amdhsa_fp16_overflow 0
		.amdhsa_tg_split 0
		.amdhsa_exception_fp_ieee_invalid_op 0
		.amdhsa_exception_fp_denorm_src 0
		.amdhsa_exception_fp_ieee_div_zero 0
		.amdhsa_exception_fp_ieee_overflow 0
		.amdhsa_exception_fp_ieee_underflow 0
		.amdhsa_exception_fp_ieee_inexact 0
		.amdhsa_exception_int_div_zero 0
	.end_amdhsa_kernel
	.section	.text._ZN7rocprim17ROCPRIM_400000_NS6detail17trampoline_kernelINS0_14default_configENS1_29binary_search_config_selectorIsbEEZNS1_14transform_implILb0ES3_S5_N6thrust23THRUST_200600_302600_NS6detail15normal_iteratorINS8_10device_ptrIsEEEENSA_INSB_IbEEEEZNS1_13binary_searchIS3_S5_SD_SD_SF_NS1_16binary_search_opENS9_16wrapped_functionINS0_4lessIvEEbEEEE10hipError_tPvRmT1_T2_T3_mmT4_T5_P12ihipStream_tbEUlRKsE_EESM_SQ_SR_mSS_SV_bEUlT_E_NS1_11comp_targetILNS1_3genE8ELNS1_11target_archE1030ELNS1_3gpuE2ELNS1_3repE0EEENS1_30default_config_static_selectorELNS0_4arch9wavefront6targetE1EEEvSP_,"axG",@progbits,_ZN7rocprim17ROCPRIM_400000_NS6detail17trampoline_kernelINS0_14default_configENS1_29binary_search_config_selectorIsbEEZNS1_14transform_implILb0ES3_S5_N6thrust23THRUST_200600_302600_NS6detail15normal_iteratorINS8_10device_ptrIsEEEENSA_INSB_IbEEEEZNS1_13binary_searchIS3_S5_SD_SD_SF_NS1_16binary_search_opENS9_16wrapped_functionINS0_4lessIvEEbEEEE10hipError_tPvRmT1_T2_T3_mmT4_T5_P12ihipStream_tbEUlRKsE_EESM_SQ_SR_mSS_SV_bEUlT_E_NS1_11comp_targetILNS1_3genE8ELNS1_11target_archE1030ELNS1_3gpuE2ELNS1_3repE0EEENS1_30default_config_static_selectorELNS0_4arch9wavefront6targetE1EEEvSP_,comdat
.Lfunc_end536:
	.size	_ZN7rocprim17ROCPRIM_400000_NS6detail17trampoline_kernelINS0_14default_configENS1_29binary_search_config_selectorIsbEEZNS1_14transform_implILb0ES3_S5_N6thrust23THRUST_200600_302600_NS6detail15normal_iteratorINS8_10device_ptrIsEEEENSA_INSB_IbEEEEZNS1_13binary_searchIS3_S5_SD_SD_SF_NS1_16binary_search_opENS9_16wrapped_functionINS0_4lessIvEEbEEEE10hipError_tPvRmT1_T2_T3_mmT4_T5_P12ihipStream_tbEUlRKsE_EESM_SQ_SR_mSS_SV_bEUlT_E_NS1_11comp_targetILNS1_3genE8ELNS1_11target_archE1030ELNS1_3gpuE2ELNS1_3repE0EEENS1_30default_config_static_selectorELNS0_4arch9wavefront6targetE1EEEvSP_, .Lfunc_end536-_ZN7rocprim17ROCPRIM_400000_NS6detail17trampoline_kernelINS0_14default_configENS1_29binary_search_config_selectorIsbEEZNS1_14transform_implILb0ES3_S5_N6thrust23THRUST_200600_302600_NS6detail15normal_iteratorINS8_10device_ptrIsEEEENSA_INSB_IbEEEEZNS1_13binary_searchIS3_S5_SD_SD_SF_NS1_16binary_search_opENS9_16wrapped_functionINS0_4lessIvEEbEEEE10hipError_tPvRmT1_T2_T3_mmT4_T5_P12ihipStream_tbEUlRKsE_EESM_SQ_SR_mSS_SV_bEUlT_E_NS1_11comp_targetILNS1_3genE8ELNS1_11target_archE1030ELNS1_3gpuE2ELNS1_3repE0EEENS1_30default_config_static_selectorELNS0_4arch9wavefront6targetE1EEEvSP_
                                        ; -- End function
	.section	.AMDGPU.csdata,"",@progbits
; Kernel info:
; codeLenInByte = 0
; NumSgprs: 4
; NumVgprs: 0
; NumAgprs: 0
; TotalNumVgprs: 0
; ScratchSize: 0
; MemoryBound: 0
; FloatMode: 240
; IeeeMode: 1
; LDSByteSize: 0 bytes/workgroup (compile time only)
; SGPRBlocks: 0
; VGPRBlocks: 0
; NumSGPRsForWavesPerEU: 4
; NumVGPRsForWavesPerEU: 1
; AccumOffset: 4
; Occupancy: 8
; WaveLimiterHint : 0
; COMPUTE_PGM_RSRC2:SCRATCH_EN: 0
; COMPUTE_PGM_RSRC2:USER_SGPR: 6
; COMPUTE_PGM_RSRC2:TRAP_HANDLER: 0
; COMPUTE_PGM_RSRC2:TGID_X_EN: 1
; COMPUTE_PGM_RSRC2:TGID_Y_EN: 0
; COMPUTE_PGM_RSRC2:TGID_Z_EN: 0
; COMPUTE_PGM_RSRC2:TIDIG_COMP_CNT: 0
; COMPUTE_PGM_RSRC3_GFX90A:ACCUM_OFFSET: 0
; COMPUTE_PGM_RSRC3_GFX90A:TG_SPLIT: 0
	.section	.text._ZN7rocprim17ROCPRIM_400000_NS6detail17trampoline_kernelINS0_14default_configENS1_29binary_search_config_selectorIsiEEZNS1_14transform_implILb0ES3_S5_N6thrust23THRUST_200600_302600_NS6detail15normal_iteratorINS8_10device_ptrIsEEEENSA_INSB_IiEEEEZNS1_13binary_searchIS3_S5_SD_SD_SF_NS1_16binary_search_opENS9_16wrapped_functionINS0_4lessIvEEbEEEE10hipError_tPvRmT1_T2_T3_mmT4_T5_P12ihipStream_tbEUlRKsE_EESM_SQ_SR_mSS_SV_bEUlT_E_NS1_11comp_targetILNS1_3genE0ELNS1_11target_archE4294967295ELNS1_3gpuE0ELNS1_3repE0EEENS1_30default_config_static_selectorELNS0_4arch9wavefront6targetE1EEEvSP_,"axG",@progbits,_ZN7rocprim17ROCPRIM_400000_NS6detail17trampoline_kernelINS0_14default_configENS1_29binary_search_config_selectorIsiEEZNS1_14transform_implILb0ES3_S5_N6thrust23THRUST_200600_302600_NS6detail15normal_iteratorINS8_10device_ptrIsEEEENSA_INSB_IiEEEEZNS1_13binary_searchIS3_S5_SD_SD_SF_NS1_16binary_search_opENS9_16wrapped_functionINS0_4lessIvEEbEEEE10hipError_tPvRmT1_T2_T3_mmT4_T5_P12ihipStream_tbEUlRKsE_EESM_SQ_SR_mSS_SV_bEUlT_E_NS1_11comp_targetILNS1_3genE0ELNS1_11target_archE4294967295ELNS1_3gpuE0ELNS1_3repE0EEENS1_30default_config_static_selectorELNS0_4arch9wavefront6targetE1EEEvSP_,comdat
	.protected	_ZN7rocprim17ROCPRIM_400000_NS6detail17trampoline_kernelINS0_14default_configENS1_29binary_search_config_selectorIsiEEZNS1_14transform_implILb0ES3_S5_N6thrust23THRUST_200600_302600_NS6detail15normal_iteratorINS8_10device_ptrIsEEEENSA_INSB_IiEEEEZNS1_13binary_searchIS3_S5_SD_SD_SF_NS1_16binary_search_opENS9_16wrapped_functionINS0_4lessIvEEbEEEE10hipError_tPvRmT1_T2_T3_mmT4_T5_P12ihipStream_tbEUlRKsE_EESM_SQ_SR_mSS_SV_bEUlT_E_NS1_11comp_targetILNS1_3genE0ELNS1_11target_archE4294967295ELNS1_3gpuE0ELNS1_3repE0EEENS1_30default_config_static_selectorELNS0_4arch9wavefront6targetE1EEEvSP_ ; -- Begin function _ZN7rocprim17ROCPRIM_400000_NS6detail17trampoline_kernelINS0_14default_configENS1_29binary_search_config_selectorIsiEEZNS1_14transform_implILb0ES3_S5_N6thrust23THRUST_200600_302600_NS6detail15normal_iteratorINS8_10device_ptrIsEEEENSA_INSB_IiEEEEZNS1_13binary_searchIS3_S5_SD_SD_SF_NS1_16binary_search_opENS9_16wrapped_functionINS0_4lessIvEEbEEEE10hipError_tPvRmT1_T2_T3_mmT4_T5_P12ihipStream_tbEUlRKsE_EESM_SQ_SR_mSS_SV_bEUlT_E_NS1_11comp_targetILNS1_3genE0ELNS1_11target_archE4294967295ELNS1_3gpuE0ELNS1_3repE0EEENS1_30default_config_static_selectorELNS0_4arch9wavefront6targetE1EEEvSP_
	.globl	_ZN7rocprim17ROCPRIM_400000_NS6detail17trampoline_kernelINS0_14default_configENS1_29binary_search_config_selectorIsiEEZNS1_14transform_implILb0ES3_S5_N6thrust23THRUST_200600_302600_NS6detail15normal_iteratorINS8_10device_ptrIsEEEENSA_INSB_IiEEEEZNS1_13binary_searchIS3_S5_SD_SD_SF_NS1_16binary_search_opENS9_16wrapped_functionINS0_4lessIvEEbEEEE10hipError_tPvRmT1_T2_T3_mmT4_T5_P12ihipStream_tbEUlRKsE_EESM_SQ_SR_mSS_SV_bEUlT_E_NS1_11comp_targetILNS1_3genE0ELNS1_11target_archE4294967295ELNS1_3gpuE0ELNS1_3repE0EEENS1_30default_config_static_selectorELNS0_4arch9wavefront6targetE1EEEvSP_
	.p2align	8
	.type	_ZN7rocprim17ROCPRIM_400000_NS6detail17trampoline_kernelINS0_14default_configENS1_29binary_search_config_selectorIsiEEZNS1_14transform_implILb0ES3_S5_N6thrust23THRUST_200600_302600_NS6detail15normal_iteratorINS8_10device_ptrIsEEEENSA_INSB_IiEEEEZNS1_13binary_searchIS3_S5_SD_SD_SF_NS1_16binary_search_opENS9_16wrapped_functionINS0_4lessIvEEbEEEE10hipError_tPvRmT1_T2_T3_mmT4_T5_P12ihipStream_tbEUlRKsE_EESM_SQ_SR_mSS_SV_bEUlT_E_NS1_11comp_targetILNS1_3genE0ELNS1_11target_archE4294967295ELNS1_3gpuE0ELNS1_3repE0EEENS1_30default_config_static_selectorELNS0_4arch9wavefront6targetE1EEEvSP_,@function
_ZN7rocprim17ROCPRIM_400000_NS6detail17trampoline_kernelINS0_14default_configENS1_29binary_search_config_selectorIsiEEZNS1_14transform_implILb0ES3_S5_N6thrust23THRUST_200600_302600_NS6detail15normal_iteratorINS8_10device_ptrIsEEEENSA_INSB_IiEEEEZNS1_13binary_searchIS3_S5_SD_SD_SF_NS1_16binary_search_opENS9_16wrapped_functionINS0_4lessIvEEbEEEE10hipError_tPvRmT1_T2_T3_mmT4_T5_P12ihipStream_tbEUlRKsE_EESM_SQ_SR_mSS_SV_bEUlT_E_NS1_11comp_targetILNS1_3genE0ELNS1_11target_archE4294967295ELNS1_3gpuE0ELNS1_3repE0EEENS1_30default_config_static_selectorELNS0_4arch9wavefront6targetE1EEEvSP_: ; @_ZN7rocprim17ROCPRIM_400000_NS6detail17trampoline_kernelINS0_14default_configENS1_29binary_search_config_selectorIsiEEZNS1_14transform_implILb0ES3_S5_N6thrust23THRUST_200600_302600_NS6detail15normal_iteratorINS8_10device_ptrIsEEEENSA_INSB_IiEEEEZNS1_13binary_searchIS3_S5_SD_SD_SF_NS1_16binary_search_opENS9_16wrapped_functionINS0_4lessIvEEbEEEE10hipError_tPvRmT1_T2_T3_mmT4_T5_P12ihipStream_tbEUlRKsE_EESM_SQ_SR_mSS_SV_bEUlT_E_NS1_11comp_targetILNS1_3genE0ELNS1_11target_archE4294967295ELNS1_3gpuE0ELNS1_3repE0EEENS1_30default_config_static_selectorELNS0_4arch9wavefront6targetE1EEEvSP_
; %bb.0:
	.section	.rodata,"a",@progbits
	.p2align	6, 0x0
	.amdhsa_kernel _ZN7rocprim17ROCPRIM_400000_NS6detail17trampoline_kernelINS0_14default_configENS1_29binary_search_config_selectorIsiEEZNS1_14transform_implILb0ES3_S5_N6thrust23THRUST_200600_302600_NS6detail15normal_iteratorINS8_10device_ptrIsEEEENSA_INSB_IiEEEEZNS1_13binary_searchIS3_S5_SD_SD_SF_NS1_16binary_search_opENS9_16wrapped_functionINS0_4lessIvEEbEEEE10hipError_tPvRmT1_T2_T3_mmT4_T5_P12ihipStream_tbEUlRKsE_EESM_SQ_SR_mSS_SV_bEUlT_E_NS1_11comp_targetILNS1_3genE0ELNS1_11target_archE4294967295ELNS1_3gpuE0ELNS1_3repE0EEENS1_30default_config_static_selectorELNS0_4arch9wavefront6targetE1EEEvSP_
		.amdhsa_group_segment_fixed_size 0
		.amdhsa_private_segment_fixed_size 0
		.amdhsa_kernarg_size 56
		.amdhsa_user_sgpr_count 6
		.amdhsa_user_sgpr_private_segment_buffer 1
		.amdhsa_user_sgpr_dispatch_ptr 0
		.amdhsa_user_sgpr_queue_ptr 0
		.amdhsa_user_sgpr_kernarg_segment_ptr 1
		.amdhsa_user_sgpr_dispatch_id 0
		.amdhsa_user_sgpr_flat_scratch_init 0
		.amdhsa_user_sgpr_kernarg_preload_length 0
		.amdhsa_user_sgpr_kernarg_preload_offset 0
		.amdhsa_user_sgpr_private_segment_size 0
		.amdhsa_uses_dynamic_stack 0
		.amdhsa_system_sgpr_private_segment_wavefront_offset 0
		.amdhsa_system_sgpr_workgroup_id_x 1
		.amdhsa_system_sgpr_workgroup_id_y 0
		.amdhsa_system_sgpr_workgroup_id_z 0
		.amdhsa_system_sgpr_workgroup_info 0
		.amdhsa_system_vgpr_workitem_id 0
		.amdhsa_next_free_vgpr 1
		.amdhsa_next_free_sgpr 0
		.amdhsa_accum_offset 4
		.amdhsa_reserve_vcc 0
		.amdhsa_reserve_flat_scratch 0
		.amdhsa_float_round_mode_32 0
		.amdhsa_float_round_mode_16_64 0
		.amdhsa_float_denorm_mode_32 3
		.amdhsa_float_denorm_mode_16_64 3
		.amdhsa_dx10_clamp 1
		.amdhsa_ieee_mode 1
		.amdhsa_fp16_overflow 0
		.amdhsa_tg_split 0
		.amdhsa_exception_fp_ieee_invalid_op 0
		.amdhsa_exception_fp_denorm_src 0
		.amdhsa_exception_fp_ieee_div_zero 0
		.amdhsa_exception_fp_ieee_overflow 0
		.amdhsa_exception_fp_ieee_underflow 0
		.amdhsa_exception_fp_ieee_inexact 0
		.amdhsa_exception_int_div_zero 0
	.end_amdhsa_kernel
	.section	.text._ZN7rocprim17ROCPRIM_400000_NS6detail17trampoline_kernelINS0_14default_configENS1_29binary_search_config_selectorIsiEEZNS1_14transform_implILb0ES3_S5_N6thrust23THRUST_200600_302600_NS6detail15normal_iteratorINS8_10device_ptrIsEEEENSA_INSB_IiEEEEZNS1_13binary_searchIS3_S5_SD_SD_SF_NS1_16binary_search_opENS9_16wrapped_functionINS0_4lessIvEEbEEEE10hipError_tPvRmT1_T2_T3_mmT4_T5_P12ihipStream_tbEUlRKsE_EESM_SQ_SR_mSS_SV_bEUlT_E_NS1_11comp_targetILNS1_3genE0ELNS1_11target_archE4294967295ELNS1_3gpuE0ELNS1_3repE0EEENS1_30default_config_static_selectorELNS0_4arch9wavefront6targetE1EEEvSP_,"axG",@progbits,_ZN7rocprim17ROCPRIM_400000_NS6detail17trampoline_kernelINS0_14default_configENS1_29binary_search_config_selectorIsiEEZNS1_14transform_implILb0ES3_S5_N6thrust23THRUST_200600_302600_NS6detail15normal_iteratorINS8_10device_ptrIsEEEENSA_INSB_IiEEEEZNS1_13binary_searchIS3_S5_SD_SD_SF_NS1_16binary_search_opENS9_16wrapped_functionINS0_4lessIvEEbEEEE10hipError_tPvRmT1_T2_T3_mmT4_T5_P12ihipStream_tbEUlRKsE_EESM_SQ_SR_mSS_SV_bEUlT_E_NS1_11comp_targetILNS1_3genE0ELNS1_11target_archE4294967295ELNS1_3gpuE0ELNS1_3repE0EEENS1_30default_config_static_selectorELNS0_4arch9wavefront6targetE1EEEvSP_,comdat
.Lfunc_end537:
	.size	_ZN7rocprim17ROCPRIM_400000_NS6detail17trampoline_kernelINS0_14default_configENS1_29binary_search_config_selectorIsiEEZNS1_14transform_implILb0ES3_S5_N6thrust23THRUST_200600_302600_NS6detail15normal_iteratorINS8_10device_ptrIsEEEENSA_INSB_IiEEEEZNS1_13binary_searchIS3_S5_SD_SD_SF_NS1_16binary_search_opENS9_16wrapped_functionINS0_4lessIvEEbEEEE10hipError_tPvRmT1_T2_T3_mmT4_T5_P12ihipStream_tbEUlRKsE_EESM_SQ_SR_mSS_SV_bEUlT_E_NS1_11comp_targetILNS1_3genE0ELNS1_11target_archE4294967295ELNS1_3gpuE0ELNS1_3repE0EEENS1_30default_config_static_selectorELNS0_4arch9wavefront6targetE1EEEvSP_, .Lfunc_end537-_ZN7rocprim17ROCPRIM_400000_NS6detail17trampoline_kernelINS0_14default_configENS1_29binary_search_config_selectorIsiEEZNS1_14transform_implILb0ES3_S5_N6thrust23THRUST_200600_302600_NS6detail15normal_iteratorINS8_10device_ptrIsEEEENSA_INSB_IiEEEEZNS1_13binary_searchIS3_S5_SD_SD_SF_NS1_16binary_search_opENS9_16wrapped_functionINS0_4lessIvEEbEEEE10hipError_tPvRmT1_T2_T3_mmT4_T5_P12ihipStream_tbEUlRKsE_EESM_SQ_SR_mSS_SV_bEUlT_E_NS1_11comp_targetILNS1_3genE0ELNS1_11target_archE4294967295ELNS1_3gpuE0ELNS1_3repE0EEENS1_30default_config_static_selectorELNS0_4arch9wavefront6targetE1EEEvSP_
                                        ; -- End function
	.section	.AMDGPU.csdata,"",@progbits
; Kernel info:
; codeLenInByte = 0
; NumSgprs: 4
; NumVgprs: 0
; NumAgprs: 0
; TotalNumVgprs: 0
; ScratchSize: 0
; MemoryBound: 0
; FloatMode: 240
; IeeeMode: 1
; LDSByteSize: 0 bytes/workgroup (compile time only)
; SGPRBlocks: 0
; VGPRBlocks: 0
; NumSGPRsForWavesPerEU: 4
; NumVGPRsForWavesPerEU: 1
; AccumOffset: 4
; Occupancy: 8
; WaveLimiterHint : 0
; COMPUTE_PGM_RSRC2:SCRATCH_EN: 0
; COMPUTE_PGM_RSRC2:USER_SGPR: 6
; COMPUTE_PGM_RSRC2:TRAP_HANDLER: 0
; COMPUTE_PGM_RSRC2:TGID_X_EN: 1
; COMPUTE_PGM_RSRC2:TGID_Y_EN: 0
; COMPUTE_PGM_RSRC2:TGID_Z_EN: 0
; COMPUTE_PGM_RSRC2:TIDIG_COMP_CNT: 0
; COMPUTE_PGM_RSRC3_GFX90A:ACCUM_OFFSET: 0
; COMPUTE_PGM_RSRC3_GFX90A:TG_SPLIT: 0
	.section	.text._ZN7rocprim17ROCPRIM_400000_NS6detail17trampoline_kernelINS0_14default_configENS1_29binary_search_config_selectorIsiEEZNS1_14transform_implILb0ES3_S5_N6thrust23THRUST_200600_302600_NS6detail15normal_iteratorINS8_10device_ptrIsEEEENSA_INSB_IiEEEEZNS1_13binary_searchIS3_S5_SD_SD_SF_NS1_16binary_search_opENS9_16wrapped_functionINS0_4lessIvEEbEEEE10hipError_tPvRmT1_T2_T3_mmT4_T5_P12ihipStream_tbEUlRKsE_EESM_SQ_SR_mSS_SV_bEUlT_E_NS1_11comp_targetILNS1_3genE5ELNS1_11target_archE942ELNS1_3gpuE9ELNS1_3repE0EEENS1_30default_config_static_selectorELNS0_4arch9wavefront6targetE1EEEvSP_,"axG",@progbits,_ZN7rocprim17ROCPRIM_400000_NS6detail17trampoline_kernelINS0_14default_configENS1_29binary_search_config_selectorIsiEEZNS1_14transform_implILb0ES3_S5_N6thrust23THRUST_200600_302600_NS6detail15normal_iteratorINS8_10device_ptrIsEEEENSA_INSB_IiEEEEZNS1_13binary_searchIS3_S5_SD_SD_SF_NS1_16binary_search_opENS9_16wrapped_functionINS0_4lessIvEEbEEEE10hipError_tPvRmT1_T2_T3_mmT4_T5_P12ihipStream_tbEUlRKsE_EESM_SQ_SR_mSS_SV_bEUlT_E_NS1_11comp_targetILNS1_3genE5ELNS1_11target_archE942ELNS1_3gpuE9ELNS1_3repE0EEENS1_30default_config_static_selectorELNS0_4arch9wavefront6targetE1EEEvSP_,comdat
	.protected	_ZN7rocprim17ROCPRIM_400000_NS6detail17trampoline_kernelINS0_14default_configENS1_29binary_search_config_selectorIsiEEZNS1_14transform_implILb0ES3_S5_N6thrust23THRUST_200600_302600_NS6detail15normal_iteratorINS8_10device_ptrIsEEEENSA_INSB_IiEEEEZNS1_13binary_searchIS3_S5_SD_SD_SF_NS1_16binary_search_opENS9_16wrapped_functionINS0_4lessIvEEbEEEE10hipError_tPvRmT1_T2_T3_mmT4_T5_P12ihipStream_tbEUlRKsE_EESM_SQ_SR_mSS_SV_bEUlT_E_NS1_11comp_targetILNS1_3genE5ELNS1_11target_archE942ELNS1_3gpuE9ELNS1_3repE0EEENS1_30default_config_static_selectorELNS0_4arch9wavefront6targetE1EEEvSP_ ; -- Begin function _ZN7rocprim17ROCPRIM_400000_NS6detail17trampoline_kernelINS0_14default_configENS1_29binary_search_config_selectorIsiEEZNS1_14transform_implILb0ES3_S5_N6thrust23THRUST_200600_302600_NS6detail15normal_iteratorINS8_10device_ptrIsEEEENSA_INSB_IiEEEEZNS1_13binary_searchIS3_S5_SD_SD_SF_NS1_16binary_search_opENS9_16wrapped_functionINS0_4lessIvEEbEEEE10hipError_tPvRmT1_T2_T3_mmT4_T5_P12ihipStream_tbEUlRKsE_EESM_SQ_SR_mSS_SV_bEUlT_E_NS1_11comp_targetILNS1_3genE5ELNS1_11target_archE942ELNS1_3gpuE9ELNS1_3repE0EEENS1_30default_config_static_selectorELNS0_4arch9wavefront6targetE1EEEvSP_
	.globl	_ZN7rocprim17ROCPRIM_400000_NS6detail17trampoline_kernelINS0_14default_configENS1_29binary_search_config_selectorIsiEEZNS1_14transform_implILb0ES3_S5_N6thrust23THRUST_200600_302600_NS6detail15normal_iteratorINS8_10device_ptrIsEEEENSA_INSB_IiEEEEZNS1_13binary_searchIS3_S5_SD_SD_SF_NS1_16binary_search_opENS9_16wrapped_functionINS0_4lessIvEEbEEEE10hipError_tPvRmT1_T2_T3_mmT4_T5_P12ihipStream_tbEUlRKsE_EESM_SQ_SR_mSS_SV_bEUlT_E_NS1_11comp_targetILNS1_3genE5ELNS1_11target_archE942ELNS1_3gpuE9ELNS1_3repE0EEENS1_30default_config_static_selectorELNS0_4arch9wavefront6targetE1EEEvSP_
	.p2align	8
	.type	_ZN7rocprim17ROCPRIM_400000_NS6detail17trampoline_kernelINS0_14default_configENS1_29binary_search_config_selectorIsiEEZNS1_14transform_implILb0ES3_S5_N6thrust23THRUST_200600_302600_NS6detail15normal_iteratorINS8_10device_ptrIsEEEENSA_INSB_IiEEEEZNS1_13binary_searchIS3_S5_SD_SD_SF_NS1_16binary_search_opENS9_16wrapped_functionINS0_4lessIvEEbEEEE10hipError_tPvRmT1_T2_T3_mmT4_T5_P12ihipStream_tbEUlRKsE_EESM_SQ_SR_mSS_SV_bEUlT_E_NS1_11comp_targetILNS1_3genE5ELNS1_11target_archE942ELNS1_3gpuE9ELNS1_3repE0EEENS1_30default_config_static_selectorELNS0_4arch9wavefront6targetE1EEEvSP_,@function
_ZN7rocprim17ROCPRIM_400000_NS6detail17trampoline_kernelINS0_14default_configENS1_29binary_search_config_selectorIsiEEZNS1_14transform_implILb0ES3_S5_N6thrust23THRUST_200600_302600_NS6detail15normal_iteratorINS8_10device_ptrIsEEEENSA_INSB_IiEEEEZNS1_13binary_searchIS3_S5_SD_SD_SF_NS1_16binary_search_opENS9_16wrapped_functionINS0_4lessIvEEbEEEE10hipError_tPvRmT1_T2_T3_mmT4_T5_P12ihipStream_tbEUlRKsE_EESM_SQ_SR_mSS_SV_bEUlT_E_NS1_11comp_targetILNS1_3genE5ELNS1_11target_archE942ELNS1_3gpuE9ELNS1_3repE0EEENS1_30default_config_static_selectorELNS0_4arch9wavefront6targetE1EEEvSP_: ; @_ZN7rocprim17ROCPRIM_400000_NS6detail17trampoline_kernelINS0_14default_configENS1_29binary_search_config_selectorIsiEEZNS1_14transform_implILb0ES3_S5_N6thrust23THRUST_200600_302600_NS6detail15normal_iteratorINS8_10device_ptrIsEEEENSA_INSB_IiEEEEZNS1_13binary_searchIS3_S5_SD_SD_SF_NS1_16binary_search_opENS9_16wrapped_functionINS0_4lessIvEEbEEEE10hipError_tPvRmT1_T2_T3_mmT4_T5_P12ihipStream_tbEUlRKsE_EESM_SQ_SR_mSS_SV_bEUlT_E_NS1_11comp_targetILNS1_3genE5ELNS1_11target_archE942ELNS1_3gpuE9ELNS1_3repE0EEENS1_30default_config_static_selectorELNS0_4arch9wavefront6targetE1EEEvSP_
; %bb.0:
	.section	.rodata,"a",@progbits
	.p2align	6, 0x0
	.amdhsa_kernel _ZN7rocprim17ROCPRIM_400000_NS6detail17trampoline_kernelINS0_14default_configENS1_29binary_search_config_selectorIsiEEZNS1_14transform_implILb0ES3_S5_N6thrust23THRUST_200600_302600_NS6detail15normal_iteratorINS8_10device_ptrIsEEEENSA_INSB_IiEEEEZNS1_13binary_searchIS3_S5_SD_SD_SF_NS1_16binary_search_opENS9_16wrapped_functionINS0_4lessIvEEbEEEE10hipError_tPvRmT1_T2_T3_mmT4_T5_P12ihipStream_tbEUlRKsE_EESM_SQ_SR_mSS_SV_bEUlT_E_NS1_11comp_targetILNS1_3genE5ELNS1_11target_archE942ELNS1_3gpuE9ELNS1_3repE0EEENS1_30default_config_static_selectorELNS0_4arch9wavefront6targetE1EEEvSP_
		.amdhsa_group_segment_fixed_size 0
		.amdhsa_private_segment_fixed_size 0
		.amdhsa_kernarg_size 56
		.amdhsa_user_sgpr_count 6
		.amdhsa_user_sgpr_private_segment_buffer 1
		.amdhsa_user_sgpr_dispatch_ptr 0
		.amdhsa_user_sgpr_queue_ptr 0
		.amdhsa_user_sgpr_kernarg_segment_ptr 1
		.amdhsa_user_sgpr_dispatch_id 0
		.amdhsa_user_sgpr_flat_scratch_init 0
		.amdhsa_user_sgpr_kernarg_preload_length 0
		.amdhsa_user_sgpr_kernarg_preload_offset 0
		.amdhsa_user_sgpr_private_segment_size 0
		.amdhsa_uses_dynamic_stack 0
		.amdhsa_system_sgpr_private_segment_wavefront_offset 0
		.amdhsa_system_sgpr_workgroup_id_x 1
		.amdhsa_system_sgpr_workgroup_id_y 0
		.amdhsa_system_sgpr_workgroup_id_z 0
		.amdhsa_system_sgpr_workgroup_info 0
		.amdhsa_system_vgpr_workitem_id 0
		.amdhsa_next_free_vgpr 1
		.amdhsa_next_free_sgpr 0
		.amdhsa_accum_offset 4
		.amdhsa_reserve_vcc 0
		.amdhsa_reserve_flat_scratch 0
		.amdhsa_float_round_mode_32 0
		.amdhsa_float_round_mode_16_64 0
		.amdhsa_float_denorm_mode_32 3
		.amdhsa_float_denorm_mode_16_64 3
		.amdhsa_dx10_clamp 1
		.amdhsa_ieee_mode 1
		.amdhsa_fp16_overflow 0
		.amdhsa_tg_split 0
		.amdhsa_exception_fp_ieee_invalid_op 0
		.amdhsa_exception_fp_denorm_src 0
		.amdhsa_exception_fp_ieee_div_zero 0
		.amdhsa_exception_fp_ieee_overflow 0
		.amdhsa_exception_fp_ieee_underflow 0
		.amdhsa_exception_fp_ieee_inexact 0
		.amdhsa_exception_int_div_zero 0
	.end_amdhsa_kernel
	.section	.text._ZN7rocprim17ROCPRIM_400000_NS6detail17trampoline_kernelINS0_14default_configENS1_29binary_search_config_selectorIsiEEZNS1_14transform_implILb0ES3_S5_N6thrust23THRUST_200600_302600_NS6detail15normal_iteratorINS8_10device_ptrIsEEEENSA_INSB_IiEEEEZNS1_13binary_searchIS3_S5_SD_SD_SF_NS1_16binary_search_opENS9_16wrapped_functionINS0_4lessIvEEbEEEE10hipError_tPvRmT1_T2_T3_mmT4_T5_P12ihipStream_tbEUlRKsE_EESM_SQ_SR_mSS_SV_bEUlT_E_NS1_11comp_targetILNS1_3genE5ELNS1_11target_archE942ELNS1_3gpuE9ELNS1_3repE0EEENS1_30default_config_static_selectorELNS0_4arch9wavefront6targetE1EEEvSP_,"axG",@progbits,_ZN7rocprim17ROCPRIM_400000_NS6detail17trampoline_kernelINS0_14default_configENS1_29binary_search_config_selectorIsiEEZNS1_14transform_implILb0ES3_S5_N6thrust23THRUST_200600_302600_NS6detail15normal_iteratorINS8_10device_ptrIsEEEENSA_INSB_IiEEEEZNS1_13binary_searchIS3_S5_SD_SD_SF_NS1_16binary_search_opENS9_16wrapped_functionINS0_4lessIvEEbEEEE10hipError_tPvRmT1_T2_T3_mmT4_T5_P12ihipStream_tbEUlRKsE_EESM_SQ_SR_mSS_SV_bEUlT_E_NS1_11comp_targetILNS1_3genE5ELNS1_11target_archE942ELNS1_3gpuE9ELNS1_3repE0EEENS1_30default_config_static_selectorELNS0_4arch9wavefront6targetE1EEEvSP_,comdat
.Lfunc_end538:
	.size	_ZN7rocprim17ROCPRIM_400000_NS6detail17trampoline_kernelINS0_14default_configENS1_29binary_search_config_selectorIsiEEZNS1_14transform_implILb0ES3_S5_N6thrust23THRUST_200600_302600_NS6detail15normal_iteratorINS8_10device_ptrIsEEEENSA_INSB_IiEEEEZNS1_13binary_searchIS3_S5_SD_SD_SF_NS1_16binary_search_opENS9_16wrapped_functionINS0_4lessIvEEbEEEE10hipError_tPvRmT1_T2_T3_mmT4_T5_P12ihipStream_tbEUlRKsE_EESM_SQ_SR_mSS_SV_bEUlT_E_NS1_11comp_targetILNS1_3genE5ELNS1_11target_archE942ELNS1_3gpuE9ELNS1_3repE0EEENS1_30default_config_static_selectorELNS0_4arch9wavefront6targetE1EEEvSP_, .Lfunc_end538-_ZN7rocprim17ROCPRIM_400000_NS6detail17trampoline_kernelINS0_14default_configENS1_29binary_search_config_selectorIsiEEZNS1_14transform_implILb0ES3_S5_N6thrust23THRUST_200600_302600_NS6detail15normal_iteratorINS8_10device_ptrIsEEEENSA_INSB_IiEEEEZNS1_13binary_searchIS3_S5_SD_SD_SF_NS1_16binary_search_opENS9_16wrapped_functionINS0_4lessIvEEbEEEE10hipError_tPvRmT1_T2_T3_mmT4_T5_P12ihipStream_tbEUlRKsE_EESM_SQ_SR_mSS_SV_bEUlT_E_NS1_11comp_targetILNS1_3genE5ELNS1_11target_archE942ELNS1_3gpuE9ELNS1_3repE0EEENS1_30default_config_static_selectorELNS0_4arch9wavefront6targetE1EEEvSP_
                                        ; -- End function
	.section	.AMDGPU.csdata,"",@progbits
; Kernel info:
; codeLenInByte = 0
; NumSgprs: 4
; NumVgprs: 0
; NumAgprs: 0
; TotalNumVgprs: 0
; ScratchSize: 0
; MemoryBound: 0
; FloatMode: 240
; IeeeMode: 1
; LDSByteSize: 0 bytes/workgroup (compile time only)
; SGPRBlocks: 0
; VGPRBlocks: 0
; NumSGPRsForWavesPerEU: 4
; NumVGPRsForWavesPerEU: 1
; AccumOffset: 4
; Occupancy: 8
; WaveLimiterHint : 0
; COMPUTE_PGM_RSRC2:SCRATCH_EN: 0
; COMPUTE_PGM_RSRC2:USER_SGPR: 6
; COMPUTE_PGM_RSRC2:TRAP_HANDLER: 0
; COMPUTE_PGM_RSRC2:TGID_X_EN: 1
; COMPUTE_PGM_RSRC2:TGID_Y_EN: 0
; COMPUTE_PGM_RSRC2:TGID_Z_EN: 0
; COMPUTE_PGM_RSRC2:TIDIG_COMP_CNT: 0
; COMPUTE_PGM_RSRC3_GFX90A:ACCUM_OFFSET: 0
; COMPUTE_PGM_RSRC3_GFX90A:TG_SPLIT: 0
	.section	.text._ZN7rocprim17ROCPRIM_400000_NS6detail17trampoline_kernelINS0_14default_configENS1_29binary_search_config_selectorIsiEEZNS1_14transform_implILb0ES3_S5_N6thrust23THRUST_200600_302600_NS6detail15normal_iteratorINS8_10device_ptrIsEEEENSA_INSB_IiEEEEZNS1_13binary_searchIS3_S5_SD_SD_SF_NS1_16binary_search_opENS9_16wrapped_functionINS0_4lessIvEEbEEEE10hipError_tPvRmT1_T2_T3_mmT4_T5_P12ihipStream_tbEUlRKsE_EESM_SQ_SR_mSS_SV_bEUlT_E_NS1_11comp_targetILNS1_3genE4ELNS1_11target_archE910ELNS1_3gpuE8ELNS1_3repE0EEENS1_30default_config_static_selectorELNS0_4arch9wavefront6targetE1EEEvSP_,"axG",@progbits,_ZN7rocprim17ROCPRIM_400000_NS6detail17trampoline_kernelINS0_14default_configENS1_29binary_search_config_selectorIsiEEZNS1_14transform_implILb0ES3_S5_N6thrust23THRUST_200600_302600_NS6detail15normal_iteratorINS8_10device_ptrIsEEEENSA_INSB_IiEEEEZNS1_13binary_searchIS3_S5_SD_SD_SF_NS1_16binary_search_opENS9_16wrapped_functionINS0_4lessIvEEbEEEE10hipError_tPvRmT1_T2_T3_mmT4_T5_P12ihipStream_tbEUlRKsE_EESM_SQ_SR_mSS_SV_bEUlT_E_NS1_11comp_targetILNS1_3genE4ELNS1_11target_archE910ELNS1_3gpuE8ELNS1_3repE0EEENS1_30default_config_static_selectorELNS0_4arch9wavefront6targetE1EEEvSP_,comdat
	.protected	_ZN7rocprim17ROCPRIM_400000_NS6detail17trampoline_kernelINS0_14default_configENS1_29binary_search_config_selectorIsiEEZNS1_14transform_implILb0ES3_S5_N6thrust23THRUST_200600_302600_NS6detail15normal_iteratorINS8_10device_ptrIsEEEENSA_INSB_IiEEEEZNS1_13binary_searchIS3_S5_SD_SD_SF_NS1_16binary_search_opENS9_16wrapped_functionINS0_4lessIvEEbEEEE10hipError_tPvRmT1_T2_T3_mmT4_T5_P12ihipStream_tbEUlRKsE_EESM_SQ_SR_mSS_SV_bEUlT_E_NS1_11comp_targetILNS1_3genE4ELNS1_11target_archE910ELNS1_3gpuE8ELNS1_3repE0EEENS1_30default_config_static_selectorELNS0_4arch9wavefront6targetE1EEEvSP_ ; -- Begin function _ZN7rocprim17ROCPRIM_400000_NS6detail17trampoline_kernelINS0_14default_configENS1_29binary_search_config_selectorIsiEEZNS1_14transform_implILb0ES3_S5_N6thrust23THRUST_200600_302600_NS6detail15normal_iteratorINS8_10device_ptrIsEEEENSA_INSB_IiEEEEZNS1_13binary_searchIS3_S5_SD_SD_SF_NS1_16binary_search_opENS9_16wrapped_functionINS0_4lessIvEEbEEEE10hipError_tPvRmT1_T2_T3_mmT4_T5_P12ihipStream_tbEUlRKsE_EESM_SQ_SR_mSS_SV_bEUlT_E_NS1_11comp_targetILNS1_3genE4ELNS1_11target_archE910ELNS1_3gpuE8ELNS1_3repE0EEENS1_30default_config_static_selectorELNS0_4arch9wavefront6targetE1EEEvSP_
	.globl	_ZN7rocprim17ROCPRIM_400000_NS6detail17trampoline_kernelINS0_14default_configENS1_29binary_search_config_selectorIsiEEZNS1_14transform_implILb0ES3_S5_N6thrust23THRUST_200600_302600_NS6detail15normal_iteratorINS8_10device_ptrIsEEEENSA_INSB_IiEEEEZNS1_13binary_searchIS3_S5_SD_SD_SF_NS1_16binary_search_opENS9_16wrapped_functionINS0_4lessIvEEbEEEE10hipError_tPvRmT1_T2_T3_mmT4_T5_P12ihipStream_tbEUlRKsE_EESM_SQ_SR_mSS_SV_bEUlT_E_NS1_11comp_targetILNS1_3genE4ELNS1_11target_archE910ELNS1_3gpuE8ELNS1_3repE0EEENS1_30default_config_static_selectorELNS0_4arch9wavefront6targetE1EEEvSP_
	.p2align	8
	.type	_ZN7rocprim17ROCPRIM_400000_NS6detail17trampoline_kernelINS0_14default_configENS1_29binary_search_config_selectorIsiEEZNS1_14transform_implILb0ES3_S5_N6thrust23THRUST_200600_302600_NS6detail15normal_iteratorINS8_10device_ptrIsEEEENSA_INSB_IiEEEEZNS1_13binary_searchIS3_S5_SD_SD_SF_NS1_16binary_search_opENS9_16wrapped_functionINS0_4lessIvEEbEEEE10hipError_tPvRmT1_T2_T3_mmT4_T5_P12ihipStream_tbEUlRKsE_EESM_SQ_SR_mSS_SV_bEUlT_E_NS1_11comp_targetILNS1_3genE4ELNS1_11target_archE910ELNS1_3gpuE8ELNS1_3repE0EEENS1_30default_config_static_selectorELNS0_4arch9wavefront6targetE1EEEvSP_,@function
_ZN7rocprim17ROCPRIM_400000_NS6detail17trampoline_kernelINS0_14default_configENS1_29binary_search_config_selectorIsiEEZNS1_14transform_implILb0ES3_S5_N6thrust23THRUST_200600_302600_NS6detail15normal_iteratorINS8_10device_ptrIsEEEENSA_INSB_IiEEEEZNS1_13binary_searchIS3_S5_SD_SD_SF_NS1_16binary_search_opENS9_16wrapped_functionINS0_4lessIvEEbEEEE10hipError_tPvRmT1_T2_T3_mmT4_T5_P12ihipStream_tbEUlRKsE_EESM_SQ_SR_mSS_SV_bEUlT_E_NS1_11comp_targetILNS1_3genE4ELNS1_11target_archE910ELNS1_3gpuE8ELNS1_3repE0EEENS1_30default_config_static_selectorELNS0_4arch9wavefront6targetE1EEEvSP_: ; @_ZN7rocprim17ROCPRIM_400000_NS6detail17trampoline_kernelINS0_14default_configENS1_29binary_search_config_selectorIsiEEZNS1_14transform_implILb0ES3_S5_N6thrust23THRUST_200600_302600_NS6detail15normal_iteratorINS8_10device_ptrIsEEEENSA_INSB_IiEEEEZNS1_13binary_searchIS3_S5_SD_SD_SF_NS1_16binary_search_opENS9_16wrapped_functionINS0_4lessIvEEbEEEE10hipError_tPvRmT1_T2_T3_mmT4_T5_P12ihipStream_tbEUlRKsE_EESM_SQ_SR_mSS_SV_bEUlT_E_NS1_11comp_targetILNS1_3genE4ELNS1_11target_archE910ELNS1_3gpuE8ELNS1_3repE0EEENS1_30default_config_static_selectorELNS0_4arch9wavefront6targetE1EEEvSP_
; %bb.0:
	s_load_dwordx4 s[16:19], s[4:5], 0x0
	s_load_dwordx4 s[0:3], s[4:5], 0x18
	s_load_dwordx2 s[10:11], s[4:5], 0x28
	s_load_dword s15, s[4:5], 0x38
	s_waitcnt lgkmcnt(0)
	s_lshl_b64 s[8:9], s[18:19], 1
	s_add_u32 s7, s16, s8
	s_addc_u32 s14, s17, s9
	s_lshl_b64 s[8:9], s[18:19], 2
	s_add_u32 s12, s0, s8
	s_addc_u32 s13, s1, s9
	s_lshl_b32 s8, s6, 8
	s_add_i32 s15, s15, -1
	s_mov_b32 s9, 0
	s_cmp_lg_u32 s6, s15
	s_mov_b64 s[0:1], -1
	s_cbranch_scc0 .LBB539_8
; %bb.1:
	s_lshl_b64 s[0:1], s[8:9], 1
	s_add_u32 s0, s7, s0
	s_addc_u32 s1, s14, s1
	v_lshlrev_b32_e32 v1, 1, v0
	v_mov_b32_e32 v3, s1
	v_add_co_u32_e32 v2, vcc, s0, v1
	v_addc_co_u32_e32 v3, vcc, 0, v3, vcc
	flat_load_ushort v1, v[2:3]
	s_mov_b64 s[0:1], 0
	s_cmp_eq_u64 s[10:11], 0
	v_pk_mov_b32 v[2:3], 0, 0
	s_cbranch_scc1 .LBB539_5
; %bb.2:
	v_pk_mov_b32 v[2:3], 0, 0
	v_pk_mov_b32 v[4:5], s[10:11], s[10:11] op_sel:[0,1]
	v_mov_b32_e32 v6, s3
.LBB539_3:                              ; =>This Inner Loop Header: Depth=1
	v_sub_co_u32_e32 v8, vcc, v4, v2
	v_subb_co_u32_e32 v9, vcc, v5, v3, vcc
	v_lshrrev_b64 v[10:11], 1, v[8:9]
	v_add_co_u32_e32 v7, vcc, v10, v2
	v_lshrrev_b64 v[8:9], 6, v[8:9]
	v_addc_co_u32_e32 v10, vcc, v11, v3, vcc
	v_add_co_u32_e32 v8, vcc, v7, v8
	v_addc_co_u32_e32 v9, vcc, v10, v9, vcc
	v_lshlrev_b64 v[10:11], 1, v[8:9]
	v_add_co_u32_e32 v10, vcc, s2, v10
	v_addc_co_u32_e32 v11, vcc, v6, v11, vcc
	global_load_ushort v7, v[10:11], off
	v_add_co_u32_e32 v10, vcc, 1, v8
	v_addc_co_u32_e32 v11, vcc, 0, v9, vcc
	s_waitcnt vmcnt(0) lgkmcnt(0)
	v_cmp_lt_i16_e32 vcc, v7, v1
	v_cndmask_b32_e32 v5, v9, v5, vcc
	v_cndmask_b32_e32 v4, v8, v4, vcc
	;; [unrolled: 1-line block ×4, first 2 shown]
	v_cmp_ge_u64_e32 vcc, v[2:3], v[4:5]
	s_or_b64 s[0:1], vcc, s[0:1]
	s_andn2_b64 exec, exec, s[0:1]
	s_cbranch_execnz .LBB539_3
; %bb.4:
	s_or_b64 exec, exec, s[0:1]
.LBB539_5:
	v_cmp_ne_u64_e32 vcc, s[10:11], v[2:3]
	v_mov_b32_e32 v4, 0
	s_and_saveexec_b64 s[0:1], vcc
	s_cbranch_execz .LBB539_7
; %bb.6:
	v_lshlrev_b64 v[2:3], 1, v[2:3]
	v_mov_b32_e32 v4, s3
	v_add_co_u32_e32 v2, vcc, s2, v2
	v_addc_co_u32_e32 v3, vcc, v4, v3, vcc
	global_load_ushort v2, v[2:3], off
	s_waitcnt vmcnt(0) lgkmcnt(0)
	v_cmp_le_i16_e32 vcc, v2, v1
	v_cndmask_b32_e64 v4, 0, 1, vcc
.LBB539_7:
	s_or_b64 exec, exec, s[0:1]
	s_lshl_b64 s[0:1], s[8:9], 2
	s_add_u32 s0, s12, s0
	s_addc_u32 s1, s13, s1
	s_waitcnt vmcnt(0) lgkmcnt(0)
	v_lshlrev_b32_e32 v1, 2, v0
	v_mov_b32_e32 v3, s1
	v_add_co_u32_e32 v2, vcc, s0, v1
	v_addc_co_u32_e32 v3, vcc, 0, v3, vcc
	s_mov_b64 s[0:1], 0
	flat_store_dword v[2:3], v4
.LBB539_8:
	s_and_b64 vcc, exec, s[0:1]
	s_cbranch_vccz .LBB539_13
; %bb.9:
	s_load_dword s0, s[4:5], 0x10
                                        ; implicit-def: $vgpr1
	s_waitcnt lgkmcnt(0)
	s_sub_i32 s0, s0, s8
	v_cmp_gt_u32_e32 vcc, s0, v0
	s_and_saveexec_b64 s[4:5], vcc
	s_cbranch_execnz .LBB539_14
; %bb.10:
	s_or_b64 exec, exec, s[4:5]
                                        ; implicit-def: $vgpr4
	s_and_saveexec_b64 s[4:5], vcc
	s_cbranch_execnz .LBB539_15
.LBB539_11:
	s_or_b64 exec, exec, s[4:5]
	s_and_saveexec_b64 s[0:1], vcc
	s_cbranch_execz .LBB539_13
.LBB539_12:
	s_lshl_b64 s[0:1], s[8:9], 2
	s_add_u32 s0, s12, s0
	s_addc_u32 s1, s13, s1
	v_lshlrev_b32_e32 v0, 2, v0
	s_waitcnt vmcnt(0) lgkmcnt(0)
	v_mov_b32_e32 v1, s1
	v_add_co_u32_e32 v0, vcc, s0, v0
	v_addc_co_u32_e32 v1, vcc, 0, v1, vcc
	flat_store_dword v[0:1], v4
.LBB539_13:
	s_endpgm
.LBB539_14:
	s_lshl_b64 s[0:1], s[8:9], 1
	s_add_u32 s0, s7, s0
	s_addc_u32 s1, s14, s1
	v_lshlrev_b32_e32 v1, 1, v0
	v_mov_b32_e32 v3, s1
	v_add_co_u32_e64 v2, s[0:1], s0, v1
	v_addc_co_u32_e64 v3, s[0:1], 0, v3, s[0:1]
	flat_load_ushort v1, v[2:3]
	s_or_b64 exec, exec, s[4:5]
                                        ; implicit-def: $vgpr4
	s_and_saveexec_b64 s[4:5], vcc
	s_cbranch_execz .LBB539_11
.LBB539_15:
	s_mov_b64 s[6:7], 0
	s_cmp_eq_u64 s[10:11], 0
	v_pk_mov_b32 v[2:3], 0, 0
	s_cbranch_scc1 .LBB539_19
; %bb.16:
	v_pk_mov_b32 v[2:3], 0, 0
	v_pk_mov_b32 v[4:5], s[10:11], s[10:11] op_sel:[0,1]
	v_mov_b32_e32 v6, s3
.LBB539_17:                             ; =>This Inner Loop Header: Depth=1
	v_sub_co_u32_e64 v8, s[0:1], v4, v2
	v_subb_co_u32_e64 v9, s[0:1], v5, v3, s[0:1]
	v_lshrrev_b64 v[10:11], 1, v[8:9]
	v_add_co_u32_e64 v7, s[0:1], v10, v2
	v_lshrrev_b64 v[8:9], 6, v[8:9]
	v_addc_co_u32_e64 v10, s[0:1], v11, v3, s[0:1]
	v_add_co_u32_e64 v8, s[0:1], v7, v8
	v_addc_co_u32_e64 v9, s[0:1], v10, v9, s[0:1]
	v_lshlrev_b64 v[10:11], 1, v[8:9]
	v_add_co_u32_e64 v10, s[0:1], s2, v10
	v_addc_co_u32_e64 v11, s[0:1], v6, v11, s[0:1]
	global_load_ushort v7, v[10:11], off
	v_add_co_u32_e64 v10, s[0:1], 1, v8
	v_addc_co_u32_e64 v11, s[0:1], 0, v9, s[0:1]
	s_waitcnt vmcnt(0) lgkmcnt(0)
	v_cmp_lt_i16_e64 s[0:1], v7, v1
	v_cndmask_b32_e64 v5, v9, v5, s[0:1]
	v_cndmask_b32_e64 v4, v8, v4, s[0:1]
	;; [unrolled: 1-line block ×4, first 2 shown]
	v_cmp_ge_u64_e64 s[0:1], v[2:3], v[4:5]
	s_or_b64 s[6:7], s[0:1], s[6:7]
	s_andn2_b64 exec, exec, s[6:7]
	s_cbranch_execnz .LBB539_17
; %bb.18:
	s_or_b64 exec, exec, s[6:7]
.LBB539_19:
	v_cmp_ne_u64_e64 s[0:1], s[10:11], v[2:3]
	v_mov_b32_e32 v4, 0
	s_and_saveexec_b64 s[6:7], s[0:1]
	s_cbranch_execz .LBB539_21
; %bb.20:
	v_lshlrev_b64 v[2:3], 1, v[2:3]
	v_mov_b32_e32 v4, s3
	v_add_co_u32_e64 v2, s[0:1], s2, v2
	v_addc_co_u32_e64 v3, s[0:1], v4, v3, s[0:1]
	global_load_ushort v2, v[2:3], off
	s_waitcnt vmcnt(0) lgkmcnt(0)
	v_cmp_le_i16_e64 s[0:1], v2, v1
	v_cndmask_b32_e64 v4, 0, 1, s[0:1]
.LBB539_21:
	s_or_b64 exec, exec, s[6:7]
	s_or_b64 exec, exec, s[4:5]
	s_and_saveexec_b64 s[0:1], vcc
	s_cbranch_execnz .LBB539_12
	s_branch .LBB539_13
	.section	.rodata,"a",@progbits
	.p2align	6, 0x0
	.amdhsa_kernel _ZN7rocprim17ROCPRIM_400000_NS6detail17trampoline_kernelINS0_14default_configENS1_29binary_search_config_selectorIsiEEZNS1_14transform_implILb0ES3_S5_N6thrust23THRUST_200600_302600_NS6detail15normal_iteratorINS8_10device_ptrIsEEEENSA_INSB_IiEEEEZNS1_13binary_searchIS3_S5_SD_SD_SF_NS1_16binary_search_opENS9_16wrapped_functionINS0_4lessIvEEbEEEE10hipError_tPvRmT1_T2_T3_mmT4_T5_P12ihipStream_tbEUlRKsE_EESM_SQ_SR_mSS_SV_bEUlT_E_NS1_11comp_targetILNS1_3genE4ELNS1_11target_archE910ELNS1_3gpuE8ELNS1_3repE0EEENS1_30default_config_static_selectorELNS0_4arch9wavefront6targetE1EEEvSP_
		.amdhsa_group_segment_fixed_size 0
		.amdhsa_private_segment_fixed_size 0
		.amdhsa_kernarg_size 312
		.amdhsa_user_sgpr_count 6
		.amdhsa_user_sgpr_private_segment_buffer 1
		.amdhsa_user_sgpr_dispatch_ptr 0
		.amdhsa_user_sgpr_queue_ptr 0
		.amdhsa_user_sgpr_kernarg_segment_ptr 1
		.amdhsa_user_sgpr_dispatch_id 0
		.amdhsa_user_sgpr_flat_scratch_init 0
		.amdhsa_user_sgpr_kernarg_preload_length 0
		.amdhsa_user_sgpr_kernarg_preload_offset 0
		.amdhsa_user_sgpr_private_segment_size 0
		.amdhsa_uses_dynamic_stack 0
		.amdhsa_system_sgpr_private_segment_wavefront_offset 0
		.amdhsa_system_sgpr_workgroup_id_x 1
		.amdhsa_system_sgpr_workgroup_id_y 0
		.amdhsa_system_sgpr_workgroup_id_z 0
		.amdhsa_system_sgpr_workgroup_info 0
		.amdhsa_system_vgpr_workitem_id 0
		.amdhsa_next_free_vgpr 12
		.amdhsa_next_free_sgpr 20
		.amdhsa_accum_offset 12
		.amdhsa_reserve_vcc 1
		.amdhsa_reserve_flat_scratch 0
		.amdhsa_float_round_mode_32 0
		.amdhsa_float_round_mode_16_64 0
		.amdhsa_float_denorm_mode_32 3
		.amdhsa_float_denorm_mode_16_64 3
		.amdhsa_dx10_clamp 1
		.amdhsa_ieee_mode 1
		.amdhsa_fp16_overflow 0
		.amdhsa_tg_split 0
		.amdhsa_exception_fp_ieee_invalid_op 0
		.amdhsa_exception_fp_denorm_src 0
		.amdhsa_exception_fp_ieee_div_zero 0
		.amdhsa_exception_fp_ieee_overflow 0
		.amdhsa_exception_fp_ieee_underflow 0
		.amdhsa_exception_fp_ieee_inexact 0
		.amdhsa_exception_int_div_zero 0
	.end_amdhsa_kernel
	.section	.text._ZN7rocprim17ROCPRIM_400000_NS6detail17trampoline_kernelINS0_14default_configENS1_29binary_search_config_selectorIsiEEZNS1_14transform_implILb0ES3_S5_N6thrust23THRUST_200600_302600_NS6detail15normal_iteratorINS8_10device_ptrIsEEEENSA_INSB_IiEEEEZNS1_13binary_searchIS3_S5_SD_SD_SF_NS1_16binary_search_opENS9_16wrapped_functionINS0_4lessIvEEbEEEE10hipError_tPvRmT1_T2_T3_mmT4_T5_P12ihipStream_tbEUlRKsE_EESM_SQ_SR_mSS_SV_bEUlT_E_NS1_11comp_targetILNS1_3genE4ELNS1_11target_archE910ELNS1_3gpuE8ELNS1_3repE0EEENS1_30default_config_static_selectorELNS0_4arch9wavefront6targetE1EEEvSP_,"axG",@progbits,_ZN7rocprim17ROCPRIM_400000_NS6detail17trampoline_kernelINS0_14default_configENS1_29binary_search_config_selectorIsiEEZNS1_14transform_implILb0ES3_S5_N6thrust23THRUST_200600_302600_NS6detail15normal_iteratorINS8_10device_ptrIsEEEENSA_INSB_IiEEEEZNS1_13binary_searchIS3_S5_SD_SD_SF_NS1_16binary_search_opENS9_16wrapped_functionINS0_4lessIvEEbEEEE10hipError_tPvRmT1_T2_T3_mmT4_T5_P12ihipStream_tbEUlRKsE_EESM_SQ_SR_mSS_SV_bEUlT_E_NS1_11comp_targetILNS1_3genE4ELNS1_11target_archE910ELNS1_3gpuE8ELNS1_3repE0EEENS1_30default_config_static_selectorELNS0_4arch9wavefront6targetE1EEEvSP_,comdat
.Lfunc_end539:
	.size	_ZN7rocprim17ROCPRIM_400000_NS6detail17trampoline_kernelINS0_14default_configENS1_29binary_search_config_selectorIsiEEZNS1_14transform_implILb0ES3_S5_N6thrust23THRUST_200600_302600_NS6detail15normal_iteratorINS8_10device_ptrIsEEEENSA_INSB_IiEEEEZNS1_13binary_searchIS3_S5_SD_SD_SF_NS1_16binary_search_opENS9_16wrapped_functionINS0_4lessIvEEbEEEE10hipError_tPvRmT1_T2_T3_mmT4_T5_P12ihipStream_tbEUlRKsE_EESM_SQ_SR_mSS_SV_bEUlT_E_NS1_11comp_targetILNS1_3genE4ELNS1_11target_archE910ELNS1_3gpuE8ELNS1_3repE0EEENS1_30default_config_static_selectorELNS0_4arch9wavefront6targetE1EEEvSP_, .Lfunc_end539-_ZN7rocprim17ROCPRIM_400000_NS6detail17trampoline_kernelINS0_14default_configENS1_29binary_search_config_selectorIsiEEZNS1_14transform_implILb0ES3_S5_N6thrust23THRUST_200600_302600_NS6detail15normal_iteratorINS8_10device_ptrIsEEEENSA_INSB_IiEEEEZNS1_13binary_searchIS3_S5_SD_SD_SF_NS1_16binary_search_opENS9_16wrapped_functionINS0_4lessIvEEbEEEE10hipError_tPvRmT1_T2_T3_mmT4_T5_P12ihipStream_tbEUlRKsE_EESM_SQ_SR_mSS_SV_bEUlT_E_NS1_11comp_targetILNS1_3genE4ELNS1_11target_archE910ELNS1_3gpuE8ELNS1_3repE0EEENS1_30default_config_static_selectorELNS0_4arch9wavefront6targetE1EEEvSP_
                                        ; -- End function
	.section	.AMDGPU.csdata,"",@progbits
; Kernel info:
; codeLenInByte = 860
; NumSgprs: 24
; NumVgprs: 12
; NumAgprs: 0
; TotalNumVgprs: 12
; ScratchSize: 0
; MemoryBound: 0
; FloatMode: 240
; IeeeMode: 1
; LDSByteSize: 0 bytes/workgroup (compile time only)
; SGPRBlocks: 2
; VGPRBlocks: 1
; NumSGPRsForWavesPerEU: 24
; NumVGPRsForWavesPerEU: 12
; AccumOffset: 12
; Occupancy: 8
; WaveLimiterHint : 0
; COMPUTE_PGM_RSRC2:SCRATCH_EN: 0
; COMPUTE_PGM_RSRC2:USER_SGPR: 6
; COMPUTE_PGM_RSRC2:TRAP_HANDLER: 0
; COMPUTE_PGM_RSRC2:TGID_X_EN: 1
; COMPUTE_PGM_RSRC2:TGID_Y_EN: 0
; COMPUTE_PGM_RSRC2:TGID_Z_EN: 0
; COMPUTE_PGM_RSRC2:TIDIG_COMP_CNT: 0
; COMPUTE_PGM_RSRC3_GFX90A:ACCUM_OFFSET: 2
; COMPUTE_PGM_RSRC3_GFX90A:TG_SPLIT: 0
	.section	.text._ZN7rocprim17ROCPRIM_400000_NS6detail17trampoline_kernelINS0_14default_configENS1_29binary_search_config_selectorIsiEEZNS1_14transform_implILb0ES3_S5_N6thrust23THRUST_200600_302600_NS6detail15normal_iteratorINS8_10device_ptrIsEEEENSA_INSB_IiEEEEZNS1_13binary_searchIS3_S5_SD_SD_SF_NS1_16binary_search_opENS9_16wrapped_functionINS0_4lessIvEEbEEEE10hipError_tPvRmT1_T2_T3_mmT4_T5_P12ihipStream_tbEUlRKsE_EESM_SQ_SR_mSS_SV_bEUlT_E_NS1_11comp_targetILNS1_3genE3ELNS1_11target_archE908ELNS1_3gpuE7ELNS1_3repE0EEENS1_30default_config_static_selectorELNS0_4arch9wavefront6targetE1EEEvSP_,"axG",@progbits,_ZN7rocprim17ROCPRIM_400000_NS6detail17trampoline_kernelINS0_14default_configENS1_29binary_search_config_selectorIsiEEZNS1_14transform_implILb0ES3_S5_N6thrust23THRUST_200600_302600_NS6detail15normal_iteratorINS8_10device_ptrIsEEEENSA_INSB_IiEEEEZNS1_13binary_searchIS3_S5_SD_SD_SF_NS1_16binary_search_opENS9_16wrapped_functionINS0_4lessIvEEbEEEE10hipError_tPvRmT1_T2_T3_mmT4_T5_P12ihipStream_tbEUlRKsE_EESM_SQ_SR_mSS_SV_bEUlT_E_NS1_11comp_targetILNS1_3genE3ELNS1_11target_archE908ELNS1_3gpuE7ELNS1_3repE0EEENS1_30default_config_static_selectorELNS0_4arch9wavefront6targetE1EEEvSP_,comdat
	.protected	_ZN7rocprim17ROCPRIM_400000_NS6detail17trampoline_kernelINS0_14default_configENS1_29binary_search_config_selectorIsiEEZNS1_14transform_implILb0ES3_S5_N6thrust23THRUST_200600_302600_NS6detail15normal_iteratorINS8_10device_ptrIsEEEENSA_INSB_IiEEEEZNS1_13binary_searchIS3_S5_SD_SD_SF_NS1_16binary_search_opENS9_16wrapped_functionINS0_4lessIvEEbEEEE10hipError_tPvRmT1_T2_T3_mmT4_T5_P12ihipStream_tbEUlRKsE_EESM_SQ_SR_mSS_SV_bEUlT_E_NS1_11comp_targetILNS1_3genE3ELNS1_11target_archE908ELNS1_3gpuE7ELNS1_3repE0EEENS1_30default_config_static_selectorELNS0_4arch9wavefront6targetE1EEEvSP_ ; -- Begin function _ZN7rocprim17ROCPRIM_400000_NS6detail17trampoline_kernelINS0_14default_configENS1_29binary_search_config_selectorIsiEEZNS1_14transform_implILb0ES3_S5_N6thrust23THRUST_200600_302600_NS6detail15normal_iteratorINS8_10device_ptrIsEEEENSA_INSB_IiEEEEZNS1_13binary_searchIS3_S5_SD_SD_SF_NS1_16binary_search_opENS9_16wrapped_functionINS0_4lessIvEEbEEEE10hipError_tPvRmT1_T2_T3_mmT4_T5_P12ihipStream_tbEUlRKsE_EESM_SQ_SR_mSS_SV_bEUlT_E_NS1_11comp_targetILNS1_3genE3ELNS1_11target_archE908ELNS1_3gpuE7ELNS1_3repE0EEENS1_30default_config_static_selectorELNS0_4arch9wavefront6targetE1EEEvSP_
	.globl	_ZN7rocprim17ROCPRIM_400000_NS6detail17trampoline_kernelINS0_14default_configENS1_29binary_search_config_selectorIsiEEZNS1_14transform_implILb0ES3_S5_N6thrust23THRUST_200600_302600_NS6detail15normal_iteratorINS8_10device_ptrIsEEEENSA_INSB_IiEEEEZNS1_13binary_searchIS3_S5_SD_SD_SF_NS1_16binary_search_opENS9_16wrapped_functionINS0_4lessIvEEbEEEE10hipError_tPvRmT1_T2_T3_mmT4_T5_P12ihipStream_tbEUlRKsE_EESM_SQ_SR_mSS_SV_bEUlT_E_NS1_11comp_targetILNS1_3genE3ELNS1_11target_archE908ELNS1_3gpuE7ELNS1_3repE0EEENS1_30default_config_static_selectorELNS0_4arch9wavefront6targetE1EEEvSP_
	.p2align	8
	.type	_ZN7rocprim17ROCPRIM_400000_NS6detail17trampoline_kernelINS0_14default_configENS1_29binary_search_config_selectorIsiEEZNS1_14transform_implILb0ES3_S5_N6thrust23THRUST_200600_302600_NS6detail15normal_iteratorINS8_10device_ptrIsEEEENSA_INSB_IiEEEEZNS1_13binary_searchIS3_S5_SD_SD_SF_NS1_16binary_search_opENS9_16wrapped_functionINS0_4lessIvEEbEEEE10hipError_tPvRmT1_T2_T3_mmT4_T5_P12ihipStream_tbEUlRKsE_EESM_SQ_SR_mSS_SV_bEUlT_E_NS1_11comp_targetILNS1_3genE3ELNS1_11target_archE908ELNS1_3gpuE7ELNS1_3repE0EEENS1_30default_config_static_selectorELNS0_4arch9wavefront6targetE1EEEvSP_,@function
_ZN7rocprim17ROCPRIM_400000_NS6detail17trampoline_kernelINS0_14default_configENS1_29binary_search_config_selectorIsiEEZNS1_14transform_implILb0ES3_S5_N6thrust23THRUST_200600_302600_NS6detail15normal_iteratorINS8_10device_ptrIsEEEENSA_INSB_IiEEEEZNS1_13binary_searchIS3_S5_SD_SD_SF_NS1_16binary_search_opENS9_16wrapped_functionINS0_4lessIvEEbEEEE10hipError_tPvRmT1_T2_T3_mmT4_T5_P12ihipStream_tbEUlRKsE_EESM_SQ_SR_mSS_SV_bEUlT_E_NS1_11comp_targetILNS1_3genE3ELNS1_11target_archE908ELNS1_3gpuE7ELNS1_3repE0EEENS1_30default_config_static_selectorELNS0_4arch9wavefront6targetE1EEEvSP_: ; @_ZN7rocprim17ROCPRIM_400000_NS6detail17trampoline_kernelINS0_14default_configENS1_29binary_search_config_selectorIsiEEZNS1_14transform_implILb0ES3_S5_N6thrust23THRUST_200600_302600_NS6detail15normal_iteratorINS8_10device_ptrIsEEEENSA_INSB_IiEEEEZNS1_13binary_searchIS3_S5_SD_SD_SF_NS1_16binary_search_opENS9_16wrapped_functionINS0_4lessIvEEbEEEE10hipError_tPvRmT1_T2_T3_mmT4_T5_P12ihipStream_tbEUlRKsE_EESM_SQ_SR_mSS_SV_bEUlT_E_NS1_11comp_targetILNS1_3genE3ELNS1_11target_archE908ELNS1_3gpuE7ELNS1_3repE0EEENS1_30default_config_static_selectorELNS0_4arch9wavefront6targetE1EEEvSP_
; %bb.0:
	.section	.rodata,"a",@progbits
	.p2align	6, 0x0
	.amdhsa_kernel _ZN7rocprim17ROCPRIM_400000_NS6detail17trampoline_kernelINS0_14default_configENS1_29binary_search_config_selectorIsiEEZNS1_14transform_implILb0ES3_S5_N6thrust23THRUST_200600_302600_NS6detail15normal_iteratorINS8_10device_ptrIsEEEENSA_INSB_IiEEEEZNS1_13binary_searchIS3_S5_SD_SD_SF_NS1_16binary_search_opENS9_16wrapped_functionINS0_4lessIvEEbEEEE10hipError_tPvRmT1_T2_T3_mmT4_T5_P12ihipStream_tbEUlRKsE_EESM_SQ_SR_mSS_SV_bEUlT_E_NS1_11comp_targetILNS1_3genE3ELNS1_11target_archE908ELNS1_3gpuE7ELNS1_3repE0EEENS1_30default_config_static_selectorELNS0_4arch9wavefront6targetE1EEEvSP_
		.amdhsa_group_segment_fixed_size 0
		.amdhsa_private_segment_fixed_size 0
		.amdhsa_kernarg_size 56
		.amdhsa_user_sgpr_count 6
		.amdhsa_user_sgpr_private_segment_buffer 1
		.amdhsa_user_sgpr_dispatch_ptr 0
		.amdhsa_user_sgpr_queue_ptr 0
		.amdhsa_user_sgpr_kernarg_segment_ptr 1
		.amdhsa_user_sgpr_dispatch_id 0
		.amdhsa_user_sgpr_flat_scratch_init 0
		.amdhsa_user_sgpr_kernarg_preload_length 0
		.amdhsa_user_sgpr_kernarg_preload_offset 0
		.amdhsa_user_sgpr_private_segment_size 0
		.amdhsa_uses_dynamic_stack 0
		.amdhsa_system_sgpr_private_segment_wavefront_offset 0
		.amdhsa_system_sgpr_workgroup_id_x 1
		.amdhsa_system_sgpr_workgroup_id_y 0
		.amdhsa_system_sgpr_workgroup_id_z 0
		.amdhsa_system_sgpr_workgroup_info 0
		.amdhsa_system_vgpr_workitem_id 0
		.amdhsa_next_free_vgpr 1
		.amdhsa_next_free_sgpr 0
		.amdhsa_accum_offset 4
		.amdhsa_reserve_vcc 0
		.amdhsa_reserve_flat_scratch 0
		.amdhsa_float_round_mode_32 0
		.amdhsa_float_round_mode_16_64 0
		.amdhsa_float_denorm_mode_32 3
		.amdhsa_float_denorm_mode_16_64 3
		.amdhsa_dx10_clamp 1
		.amdhsa_ieee_mode 1
		.amdhsa_fp16_overflow 0
		.amdhsa_tg_split 0
		.amdhsa_exception_fp_ieee_invalid_op 0
		.amdhsa_exception_fp_denorm_src 0
		.amdhsa_exception_fp_ieee_div_zero 0
		.amdhsa_exception_fp_ieee_overflow 0
		.amdhsa_exception_fp_ieee_underflow 0
		.amdhsa_exception_fp_ieee_inexact 0
		.amdhsa_exception_int_div_zero 0
	.end_amdhsa_kernel
	.section	.text._ZN7rocprim17ROCPRIM_400000_NS6detail17trampoline_kernelINS0_14default_configENS1_29binary_search_config_selectorIsiEEZNS1_14transform_implILb0ES3_S5_N6thrust23THRUST_200600_302600_NS6detail15normal_iteratorINS8_10device_ptrIsEEEENSA_INSB_IiEEEEZNS1_13binary_searchIS3_S5_SD_SD_SF_NS1_16binary_search_opENS9_16wrapped_functionINS0_4lessIvEEbEEEE10hipError_tPvRmT1_T2_T3_mmT4_T5_P12ihipStream_tbEUlRKsE_EESM_SQ_SR_mSS_SV_bEUlT_E_NS1_11comp_targetILNS1_3genE3ELNS1_11target_archE908ELNS1_3gpuE7ELNS1_3repE0EEENS1_30default_config_static_selectorELNS0_4arch9wavefront6targetE1EEEvSP_,"axG",@progbits,_ZN7rocprim17ROCPRIM_400000_NS6detail17trampoline_kernelINS0_14default_configENS1_29binary_search_config_selectorIsiEEZNS1_14transform_implILb0ES3_S5_N6thrust23THRUST_200600_302600_NS6detail15normal_iteratorINS8_10device_ptrIsEEEENSA_INSB_IiEEEEZNS1_13binary_searchIS3_S5_SD_SD_SF_NS1_16binary_search_opENS9_16wrapped_functionINS0_4lessIvEEbEEEE10hipError_tPvRmT1_T2_T3_mmT4_T5_P12ihipStream_tbEUlRKsE_EESM_SQ_SR_mSS_SV_bEUlT_E_NS1_11comp_targetILNS1_3genE3ELNS1_11target_archE908ELNS1_3gpuE7ELNS1_3repE0EEENS1_30default_config_static_selectorELNS0_4arch9wavefront6targetE1EEEvSP_,comdat
.Lfunc_end540:
	.size	_ZN7rocprim17ROCPRIM_400000_NS6detail17trampoline_kernelINS0_14default_configENS1_29binary_search_config_selectorIsiEEZNS1_14transform_implILb0ES3_S5_N6thrust23THRUST_200600_302600_NS6detail15normal_iteratorINS8_10device_ptrIsEEEENSA_INSB_IiEEEEZNS1_13binary_searchIS3_S5_SD_SD_SF_NS1_16binary_search_opENS9_16wrapped_functionINS0_4lessIvEEbEEEE10hipError_tPvRmT1_T2_T3_mmT4_T5_P12ihipStream_tbEUlRKsE_EESM_SQ_SR_mSS_SV_bEUlT_E_NS1_11comp_targetILNS1_3genE3ELNS1_11target_archE908ELNS1_3gpuE7ELNS1_3repE0EEENS1_30default_config_static_selectorELNS0_4arch9wavefront6targetE1EEEvSP_, .Lfunc_end540-_ZN7rocprim17ROCPRIM_400000_NS6detail17trampoline_kernelINS0_14default_configENS1_29binary_search_config_selectorIsiEEZNS1_14transform_implILb0ES3_S5_N6thrust23THRUST_200600_302600_NS6detail15normal_iteratorINS8_10device_ptrIsEEEENSA_INSB_IiEEEEZNS1_13binary_searchIS3_S5_SD_SD_SF_NS1_16binary_search_opENS9_16wrapped_functionINS0_4lessIvEEbEEEE10hipError_tPvRmT1_T2_T3_mmT4_T5_P12ihipStream_tbEUlRKsE_EESM_SQ_SR_mSS_SV_bEUlT_E_NS1_11comp_targetILNS1_3genE3ELNS1_11target_archE908ELNS1_3gpuE7ELNS1_3repE0EEENS1_30default_config_static_selectorELNS0_4arch9wavefront6targetE1EEEvSP_
                                        ; -- End function
	.section	.AMDGPU.csdata,"",@progbits
; Kernel info:
; codeLenInByte = 0
; NumSgprs: 4
; NumVgprs: 0
; NumAgprs: 0
; TotalNumVgprs: 0
; ScratchSize: 0
; MemoryBound: 0
; FloatMode: 240
; IeeeMode: 1
; LDSByteSize: 0 bytes/workgroup (compile time only)
; SGPRBlocks: 0
; VGPRBlocks: 0
; NumSGPRsForWavesPerEU: 4
; NumVGPRsForWavesPerEU: 1
; AccumOffset: 4
; Occupancy: 8
; WaveLimiterHint : 0
; COMPUTE_PGM_RSRC2:SCRATCH_EN: 0
; COMPUTE_PGM_RSRC2:USER_SGPR: 6
; COMPUTE_PGM_RSRC2:TRAP_HANDLER: 0
; COMPUTE_PGM_RSRC2:TGID_X_EN: 1
; COMPUTE_PGM_RSRC2:TGID_Y_EN: 0
; COMPUTE_PGM_RSRC2:TGID_Z_EN: 0
; COMPUTE_PGM_RSRC2:TIDIG_COMP_CNT: 0
; COMPUTE_PGM_RSRC3_GFX90A:ACCUM_OFFSET: 0
; COMPUTE_PGM_RSRC3_GFX90A:TG_SPLIT: 0
	.section	.text._ZN7rocprim17ROCPRIM_400000_NS6detail17trampoline_kernelINS0_14default_configENS1_29binary_search_config_selectorIsiEEZNS1_14transform_implILb0ES3_S5_N6thrust23THRUST_200600_302600_NS6detail15normal_iteratorINS8_10device_ptrIsEEEENSA_INSB_IiEEEEZNS1_13binary_searchIS3_S5_SD_SD_SF_NS1_16binary_search_opENS9_16wrapped_functionINS0_4lessIvEEbEEEE10hipError_tPvRmT1_T2_T3_mmT4_T5_P12ihipStream_tbEUlRKsE_EESM_SQ_SR_mSS_SV_bEUlT_E_NS1_11comp_targetILNS1_3genE2ELNS1_11target_archE906ELNS1_3gpuE6ELNS1_3repE0EEENS1_30default_config_static_selectorELNS0_4arch9wavefront6targetE1EEEvSP_,"axG",@progbits,_ZN7rocprim17ROCPRIM_400000_NS6detail17trampoline_kernelINS0_14default_configENS1_29binary_search_config_selectorIsiEEZNS1_14transform_implILb0ES3_S5_N6thrust23THRUST_200600_302600_NS6detail15normal_iteratorINS8_10device_ptrIsEEEENSA_INSB_IiEEEEZNS1_13binary_searchIS3_S5_SD_SD_SF_NS1_16binary_search_opENS9_16wrapped_functionINS0_4lessIvEEbEEEE10hipError_tPvRmT1_T2_T3_mmT4_T5_P12ihipStream_tbEUlRKsE_EESM_SQ_SR_mSS_SV_bEUlT_E_NS1_11comp_targetILNS1_3genE2ELNS1_11target_archE906ELNS1_3gpuE6ELNS1_3repE0EEENS1_30default_config_static_selectorELNS0_4arch9wavefront6targetE1EEEvSP_,comdat
	.protected	_ZN7rocprim17ROCPRIM_400000_NS6detail17trampoline_kernelINS0_14default_configENS1_29binary_search_config_selectorIsiEEZNS1_14transform_implILb0ES3_S5_N6thrust23THRUST_200600_302600_NS6detail15normal_iteratorINS8_10device_ptrIsEEEENSA_INSB_IiEEEEZNS1_13binary_searchIS3_S5_SD_SD_SF_NS1_16binary_search_opENS9_16wrapped_functionINS0_4lessIvEEbEEEE10hipError_tPvRmT1_T2_T3_mmT4_T5_P12ihipStream_tbEUlRKsE_EESM_SQ_SR_mSS_SV_bEUlT_E_NS1_11comp_targetILNS1_3genE2ELNS1_11target_archE906ELNS1_3gpuE6ELNS1_3repE0EEENS1_30default_config_static_selectorELNS0_4arch9wavefront6targetE1EEEvSP_ ; -- Begin function _ZN7rocprim17ROCPRIM_400000_NS6detail17trampoline_kernelINS0_14default_configENS1_29binary_search_config_selectorIsiEEZNS1_14transform_implILb0ES3_S5_N6thrust23THRUST_200600_302600_NS6detail15normal_iteratorINS8_10device_ptrIsEEEENSA_INSB_IiEEEEZNS1_13binary_searchIS3_S5_SD_SD_SF_NS1_16binary_search_opENS9_16wrapped_functionINS0_4lessIvEEbEEEE10hipError_tPvRmT1_T2_T3_mmT4_T5_P12ihipStream_tbEUlRKsE_EESM_SQ_SR_mSS_SV_bEUlT_E_NS1_11comp_targetILNS1_3genE2ELNS1_11target_archE906ELNS1_3gpuE6ELNS1_3repE0EEENS1_30default_config_static_selectorELNS0_4arch9wavefront6targetE1EEEvSP_
	.globl	_ZN7rocprim17ROCPRIM_400000_NS6detail17trampoline_kernelINS0_14default_configENS1_29binary_search_config_selectorIsiEEZNS1_14transform_implILb0ES3_S5_N6thrust23THRUST_200600_302600_NS6detail15normal_iteratorINS8_10device_ptrIsEEEENSA_INSB_IiEEEEZNS1_13binary_searchIS3_S5_SD_SD_SF_NS1_16binary_search_opENS9_16wrapped_functionINS0_4lessIvEEbEEEE10hipError_tPvRmT1_T2_T3_mmT4_T5_P12ihipStream_tbEUlRKsE_EESM_SQ_SR_mSS_SV_bEUlT_E_NS1_11comp_targetILNS1_3genE2ELNS1_11target_archE906ELNS1_3gpuE6ELNS1_3repE0EEENS1_30default_config_static_selectorELNS0_4arch9wavefront6targetE1EEEvSP_
	.p2align	8
	.type	_ZN7rocprim17ROCPRIM_400000_NS6detail17trampoline_kernelINS0_14default_configENS1_29binary_search_config_selectorIsiEEZNS1_14transform_implILb0ES3_S5_N6thrust23THRUST_200600_302600_NS6detail15normal_iteratorINS8_10device_ptrIsEEEENSA_INSB_IiEEEEZNS1_13binary_searchIS3_S5_SD_SD_SF_NS1_16binary_search_opENS9_16wrapped_functionINS0_4lessIvEEbEEEE10hipError_tPvRmT1_T2_T3_mmT4_T5_P12ihipStream_tbEUlRKsE_EESM_SQ_SR_mSS_SV_bEUlT_E_NS1_11comp_targetILNS1_3genE2ELNS1_11target_archE906ELNS1_3gpuE6ELNS1_3repE0EEENS1_30default_config_static_selectorELNS0_4arch9wavefront6targetE1EEEvSP_,@function
_ZN7rocprim17ROCPRIM_400000_NS6detail17trampoline_kernelINS0_14default_configENS1_29binary_search_config_selectorIsiEEZNS1_14transform_implILb0ES3_S5_N6thrust23THRUST_200600_302600_NS6detail15normal_iteratorINS8_10device_ptrIsEEEENSA_INSB_IiEEEEZNS1_13binary_searchIS3_S5_SD_SD_SF_NS1_16binary_search_opENS9_16wrapped_functionINS0_4lessIvEEbEEEE10hipError_tPvRmT1_T2_T3_mmT4_T5_P12ihipStream_tbEUlRKsE_EESM_SQ_SR_mSS_SV_bEUlT_E_NS1_11comp_targetILNS1_3genE2ELNS1_11target_archE906ELNS1_3gpuE6ELNS1_3repE0EEENS1_30default_config_static_selectorELNS0_4arch9wavefront6targetE1EEEvSP_: ; @_ZN7rocprim17ROCPRIM_400000_NS6detail17trampoline_kernelINS0_14default_configENS1_29binary_search_config_selectorIsiEEZNS1_14transform_implILb0ES3_S5_N6thrust23THRUST_200600_302600_NS6detail15normal_iteratorINS8_10device_ptrIsEEEENSA_INSB_IiEEEEZNS1_13binary_searchIS3_S5_SD_SD_SF_NS1_16binary_search_opENS9_16wrapped_functionINS0_4lessIvEEbEEEE10hipError_tPvRmT1_T2_T3_mmT4_T5_P12ihipStream_tbEUlRKsE_EESM_SQ_SR_mSS_SV_bEUlT_E_NS1_11comp_targetILNS1_3genE2ELNS1_11target_archE906ELNS1_3gpuE6ELNS1_3repE0EEENS1_30default_config_static_selectorELNS0_4arch9wavefront6targetE1EEEvSP_
; %bb.0:
	.section	.rodata,"a",@progbits
	.p2align	6, 0x0
	.amdhsa_kernel _ZN7rocprim17ROCPRIM_400000_NS6detail17trampoline_kernelINS0_14default_configENS1_29binary_search_config_selectorIsiEEZNS1_14transform_implILb0ES3_S5_N6thrust23THRUST_200600_302600_NS6detail15normal_iteratorINS8_10device_ptrIsEEEENSA_INSB_IiEEEEZNS1_13binary_searchIS3_S5_SD_SD_SF_NS1_16binary_search_opENS9_16wrapped_functionINS0_4lessIvEEbEEEE10hipError_tPvRmT1_T2_T3_mmT4_T5_P12ihipStream_tbEUlRKsE_EESM_SQ_SR_mSS_SV_bEUlT_E_NS1_11comp_targetILNS1_3genE2ELNS1_11target_archE906ELNS1_3gpuE6ELNS1_3repE0EEENS1_30default_config_static_selectorELNS0_4arch9wavefront6targetE1EEEvSP_
		.amdhsa_group_segment_fixed_size 0
		.amdhsa_private_segment_fixed_size 0
		.amdhsa_kernarg_size 56
		.amdhsa_user_sgpr_count 6
		.amdhsa_user_sgpr_private_segment_buffer 1
		.amdhsa_user_sgpr_dispatch_ptr 0
		.amdhsa_user_sgpr_queue_ptr 0
		.amdhsa_user_sgpr_kernarg_segment_ptr 1
		.amdhsa_user_sgpr_dispatch_id 0
		.amdhsa_user_sgpr_flat_scratch_init 0
		.amdhsa_user_sgpr_kernarg_preload_length 0
		.amdhsa_user_sgpr_kernarg_preload_offset 0
		.amdhsa_user_sgpr_private_segment_size 0
		.amdhsa_uses_dynamic_stack 0
		.amdhsa_system_sgpr_private_segment_wavefront_offset 0
		.amdhsa_system_sgpr_workgroup_id_x 1
		.amdhsa_system_sgpr_workgroup_id_y 0
		.amdhsa_system_sgpr_workgroup_id_z 0
		.amdhsa_system_sgpr_workgroup_info 0
		.amdhsa_system_vgpr_workitem_id 0
		.amdhsa_next_free_vgpr 1
		.amdhsa_next_free_sgpr 0
		.amdhsa_accum_offset 4
		.amdhsa_reserve_vcc 0
		.amdhsa_reserve_flat_scratch 0
		.amdhsa_float_round_mode_32 0
		.amdhsa_float_round_mode_16_64 0
		.amdhsa_float_denorm_mode_32 3
		.amdhsa_float_denorm_mode_16_64 3
		.amdhsa_dx10_clamp 1
		.amdhsa_ieee_mode 1
		.amdhsa_fp16_overflow 0
		.amdhsa_tg_split 0
		.amdhsa_exception_fp_ieee_invalid_op 0
		.amdhsa_exception_fp_denorm_src 0
		.amdhsa_exception_fp_ieee_div_zero 0
		.amdhsa_exception_fp_ieee_overflow 0
		.amdhsa_exception_fp_ieee_underflow 0
		.amdhsa_exception_fp_ieee_inexact 0
		.amdhsa_exception_int_div_zero 0
	.end_amdhsa_kernel
	.section	.text._ZN7rocprim17ROCPRIM_400000_NS6detail17trampoline_kernelINS0_14default_configENS1_29binary_search_config_selectorIsiEEZNS1_14transform_implILb0ES3_S5_N6thrust23THRUST_200600_302600_NS6detail15normal_iteratorINS8_10device_ptrIsEEEENSA_INSB_IiEEEEZNS1_13binary_searchIS3_S5_SD_SD_SF_NS1_16binary_search_opENS9_16wrapped_functionINS0_4lessIvEEbEEEE10hipError_tPvRmT1_T2_T3_mmT4_T5_P12ihipStream_tbEUlRKsE_EESM_SQ_SR_mSS_SV_bEUlT_E_NS1_11comp_targetILNS1_3genE2ELNS1_11target_archE906ELNS1_3gpuE6ELNS1_3repE0EEENS1_30default_config_static_selectorELNS0_4arch9wavefront6targetE1EEEvSP_,"axG",@progbits,_ZN7rocprim17ROCPRIM_400000_NS6detail17trampoline_kernelINS0_14default_configENS1_29binary_search_config_selectorIsiEEZNS1_14transform_implILb0ES3_S5_N6thrust23THRUST_200600_302600_NS6detail15normal_iteratorINS8_10device_ptrIsEEEENSA_INSB_IiEEEEZNS1_13binary_searchIS3_S5_SD_SD_SF_NS1_16binary_search_opENS9_16wrapped_functionINS0_4lessIvEEbEEEE10hipError_tPvRmT1_T2_T3_mmT4_T5_P12ihipStream_tbEUlRKsE_EESM_SQ_SR_mSS_SV_bEUlT_E_NS1_11comp_targetILNS1_3genE2ELNS1_11target_archE906ELNS1_3gpuE6ELNS1_3repE0EEENS1_30default_config_static_selectorELNS0_4arch9wavefront6targetE1EEEvSP_,comdat
.Lfunc_end541:
	.size	_ZN7rocprim17ROCPRIM_400000_NS6detail17trampoline_kernelINS0_14default_configENS1_29binary_search_config_selectorIsiEEZNS1_14transform_implILb0ES3_S5_N6thrust23THRUST_200600_302600_NS6detail15normal_iteratorINS8_10device_ptrIsEEEENSA_INSB_IiEEEEZNS1_13binary_searchIS3_S5_SD_SD_SF_NS1_16binary_search_opENS9_16wrapped_functionINS0_4lessIvEEbEEEE10hipError_tPvRmT1_T2_T3_mmT4_T5_P12ihipStream_tbEUlRKsE_EESM_SQ_SR_mSS_SV_bEUlT_E_NS1_11comp_targetILNS1_3genE2ELNS1_11target_archE906ELNS1_3gpuE6ELNS1_3repE0EEENS1_30default_config_static_selectorELNS0_4arch9wavefront6targetE1EEEvSP_, .Lfunc_end541-_ZN7rocprim17ROCPRIM_400000_NS6detail17trampoline_kernelINS0_14default_configENS1_29binary_search_config_selectorIsiEEZNS1_14transform_implILb0ES3_S5_N6thrust23THRUST_200600_302600_NS6detail15normal_iteratorINS8_10device_ptrIsEEEENSA_INSB_IiEEEEZNS1_13binary_searchIS3_S5_SD_SD_SF_NS1_16binary_search_opENS9_16wrapped_functionINS0_4lessIvEEbEEEE10hipError_tPvRmT1_T2_T3_mmT4_T5_P12ihipStream_tbEUlRKsE_EESM_SQ_SR_mSS_SV_bEUlT_E_NS1_11comp_targetILNS1_3genE2ELNS1_11target_archE906ELNS1_3gpuE6ELNS1_3repE0EEENS1_30default_config_static_selectorELNS0_4arch9wavefront6targetE1EEEvSP_
                                        ; -- End function
	.section	.AMDGPU.csdata,"",@progbits
; Kernel info:
; codeLenInByte = 0
; NumSgprs: 4
; NumVgprs: 0
; NumAgprs: 0
; TotalNumVgprs: 0
; ScratchSize: 0
; MemoryBound: 0
; FloatMode: 240
; IeeeMode: 1
; LDSByteSize: 0 bytes/workgroup (compile time only)
; SGPRBlocks: 0
; VGPRBlocks: 0
; NumSGPRsForWavesPerEU: 4
; NumVGPRsForWavesPerEU: 1
; AccumOffset: 4
; Occupancy: 8
; WaveLimiterHint : 0
; COMPUTE_PGM_RSRC2:SCRATCH_EN: 0
; COMPUTE_PGM_RSRC2:USER_SGPR: 6
; COMPUTE_PGM_RSRC2:TRAP_HANDLER: 0
; COMPUTE_PGM_RSRC2:TGID_X_EN: 1
; COMPUTE_PGM_RSRC2:TGID_Y_EN: 0
; COMPUTE_PGM_RSRC2:TGID_Z_EN: 0
; COMPUTE_PGM_RSRC2:TIDIG_COMP_CNT: 0
; COMPUTE_PGM_RSRC3_GFX90A:ACCUM_OFFSET: 0
; COMPUTE_PGM_RSRC3_GFX90A:TG_SPLIT: 0
	.section	.text._ZN7rocprim17ROCPRIM_400000_NS6detail17trampoline_kernelINS0_14default_configENS1_29binary_search_config_selectorIsiEEZNS1_14transform_implILb0ES3_S5_N6thrust23THRUST_200600_302600_NS6detail15normal_iteratorINS8_10device_ptrIsEEEENSA_INSB_IiEEEEZNS1_13binary_searchIS3_S5_SD_SD_SF_NS1_16binary_search_opENS9_16wrapped_functionINS0_4lessIvEEbEEEE10hipError_tPvRmT1_T2_T3_mmT4_T5_P12ihipStream_tbEUlRKsE_EESM_SQ_SR_mSS_SV_bEUlT_E_NS1_11comp_targetILNS1_3genE10ELNS1_11target_archE1201ELNS1_3gpuE5ELNS1_3repE0EEENS1_30default_config_static_selectorELNS0_4arch9wavefront6targetE1EEEvSP_,"axG",@progbits,_ZN7rocprim17ROCPRIM_400000_NS6detail17trampoline_kernelINS0_14default_configENS1_29binary_search_config_selectorIsiEEZNS1_14transform_implILb0ES3_S5_N6thrust23THRUST_200600_302600_NS6detail15normal_iteratorINS8_10device_ptrIsEEEENSA_INSB_IiEEEEZNS1_13binary_searchIS3_S5_SD_SD_SF_NS1_16binary_search_opENS9_16wrapped_functionINS0_4lessIvEEbEEEE10hipError_tPvRmT1_T2_T3_mmT4_T5_P12ihipStream_tbEUlRKsE_EESM_SQ_SR_mSS_SV_bEUlT_E_NS1_11comp_targetILNS1_3genE10ELNS1_11target_archE1201ELNS1_3gpuE5ELNS1_3repE0EEENS1_30default_config_static_selectorELNS0_4arch9wavefront6targetE1EEEvSP_,comdat
	.protected	_ZN7rocprim17ROCPRIM_400000_NS6detail17trampoline_kernelINS0_14default_configENS1_29binary_search_config_selectorIsiEEZNS1_14transform_implILb0ES3_S5_N6thrust23THRUST_200600_302600_NS6detail15normal_iteratorINS8_10device_ptrIsEEEENSA_INSB_IiEEEEZNS1_13binary_searchIS3_S5_SD_SD_SF_NS1_16binary_search_opENS9_16wrapped_functionINS0_4lessIvEEbEEEE10hipError_tPvRmT1_T2_T3_mmT4_T5_P12ihipStream_tbEUlRKsE_EESM_SQ_SR_mSS_SV_bEUlT_E_NS1_11comp_targetILNS1_3genE10ELNS1_11target_archE1201ELNS1_3gpuE5ELNS1_3repE0EEENS1_30default_config_static_selectorELNS0_4arch9wavefront6targetE1EEEvSP_ ; -- Begin function _ZN7rocprim17ROCPRIM_400000_NS6detail17trampoline_kernelINS0_14default_configENS1_29binary_search_config_selectorIsiEEZNS1_14transform_implILb0ES3_S5_N6thrust23THRUST_200600_302600_NS6detail15normal_iteratorINS8_10device_ptrIsEEEENSA_INSB_IiEEEEZNS1_13binary_searchIS3_S5_SD_SD_SF_NS1_16binary_search_opENS9_16wrapped_functionINS0_4lessIvEEbEEEE10hipError_tPvRmT1_T2_T3_mmT4_T5_P12ihipStream_tbEUlRKsE_EESM_SQ_SR_mSS_SV_bEUlT_E_NS1_11comp_targetILNS1_3genE10ELNS1_11target_archE1201ELNS1_3gpuE5ELNS1_3repE0EEENS1_30default_config_static_selectorELNS0_4arch9wavefront6targetE1EEEvSP_
	.globl	_ZN7rocprim17ROCPRIM_400000_NS6detail17trampoline_kernelINS0_14default_configENS1_29binary_search_config_selectorIsiEEZNS1_14transform_implILb0ES3_S5_N6thrust23THRUST_200600_302600_NS6detail15normal_iteratorINS8_10device_ptrIsEEEENSA_INSB_IiEEEEZNS1_13binary_searchIS3_S5_SD_SD_SF_NS1_16binary_search_opENS9_16wrapped_functionINS0_4lessIvEEbEEEE10hipError_tPvRmT1_T2_T3_mmT4_T5_P12ihipStream_tbEUlRKsE_EESM_SQ_SR_mSS_SV_bEUlT_E_NS1_11comp_targetILNS1_3genE10ELNS1_11target_archE1201ELNS1_3gpuE5ELNS1_3repE0EEENS1_30default_config_static_selectorELNS0_4arch9wavefront6targetE1EEEvSP_
	.p2align	8
	.type	_ZN7rocprim17ROCPRIM_400000_NS6detail17trampoline_kernelINS0_14default_configENS1_29binary_search_config_selectorIsiEEZNS1_14transform_implILb0ES3_S5_N6thrust23THRUST_200600_302600_NS6detail15normal_iteratorINS8_10device_ptrIsEEEENSA_INSB_IiEEEEZNS1_13binary_searchIS3_S5_SD_SD_SF_NS1_16binary_search_opENS9_16wrapped_functionINS0_4lessIvEEbEEEE10hipError_tPvRmT1_T2_T3_mmT4_T5_P12ihipStream_tbEUlRKsE_EESM_SQ_SR_mSS_SV_bEUlT_E_NS1_11comp_targetILNS1_3genE10ELNS1_11target_archE1201ELNS1_3gpuE5ELNS1_3repE0EEENS1_30default_config_static_selectorELNS0_4arch9wavefront6targetE1EEEvSP_,@function
_ZN7rocprim17ROCPRIM_400000_NS6detail17trampoline_kernelINS0_14default_configENS1_29binary_search_config_selectorIsiEEZNS1_14transform_implILb0ES3_S5_N6thrust23THRUST_200600_302600_NS6detail15normal_iteratorINS8_10device_ptrIsEEEENSA_INSB_IiEEEEZNS1_13binary_searchIS3_S5_SD_SD_SF_NS1_16binary_search_opENS9_16wrapped_functionINS0_4lessIvEEbEEEE10hipError_tPvRmT1_T2_T3_mmT4_T5_P12ihipStream_tbEUlRKsE_EESM_SQ_SR_mSS_SV_bEUlT_E_NS1_11comp_targetILNS1_3genE10ELNS1_11target_archE1201ELNS1_3gpuE5ELNS1_3repE0EEENS1_30default_config_static_selectorELNS0_4arch9wavefront6targetE1EEEvSP_: ; @_ZN7rocprim17ROCPRIM_400000_NS6detail17trampoline_kernelINS0_14default_configENS1_29binary_search_config_selectorIsiEEZNS1_14transform_implILb0ES3_S5_N6thrust23THRUST_200600_302600_NS6detail15normal_iteratorINS8_10device_ptrIsEEEENSA_INSB_IiEEEEZNS1_13binary_searchIS3_S5_SD_SD_SF_NS1_16binary_search_opENS9_16wrapped_functionINS0_4lessIvEEbEEEE10hipError_tPvRmT1_T2_T3_mmT4_T5_P12ihipStream_tbEUlRKsE_EESM_SQ_SR_mSS_SV_bEUlT_E_NS1_11comp_targetILNS1_3genE10ELNS1_11target_archE1201ELNS1_3gpuE5ELNS1_3repE0EEENS1_30default_config_static_selectorELNS0_4arch9wavefront6targetE1EEEvSP_
; %bb.0:
	.section	.rodata,"a",@progbits
	.p2align	6, 0x0
	.amdhsa_kernel _ZN7rocprim17ROCPRIM_400000_NS6detail17trampoline_kernelINS0_14default_configENS1_29binary_search_config_selectorIsiEEZNS1_14transform_implILb0ES3_S5_N6thrust23THRUST_200600_302600_NS6detail15normal_iteratorINS8_10device_ptrIsEEEENSA_INSB_IiEEEEZNS1_13binary_searchIS3_S5_SD_SD_SF_NS1_16binary_search_opENS9_16wrapped_functionINS0_4lessIvEEbEEEE10hipError_tPvRmT1_T2_T3_mmT4_T5_P12ihipStream_tbEUlRKsE_EESM_SQ_SR_mSS_SV_bEUlT_E_NS1_11comp_targetILNS1_3genE10ELNS1_11target_archE1201ELNS1_3gpuE5ELNS1_3repE0EEENS1_30default_config_static_selectorELNS0_4arch9wavefront6targetE1EEEvSP_
		.amdhsa_group_segment_fixed_size 0
		.amdhsa_private_segment_fixed_size 0
		.amdhsa_kernarg_size 56
		.amdhsa_user_sgpr_count 6
		.amdhsa_user_sgpr_private_segment_buffer 1
		.amdhsa_user_sgpr_dispatch_ptr 0
		.amdhsa_user_sgpr_queue_ptr 0
		.amdhsa_user_sgpr_kernarg_segment_ptr 1
		.amdhsa_user_sgpr_dispatch_id 0
		.amdhsa_user_sgpr_flat_scratch_init 0
		.amdhsa_user_sgpr_kernarg_preload_length 0
		.amdhsa_user_sgpr_kernarg_preload_offset 0
		.amdhsa_user_sgpr_private_segment_size 0
		.amdhsa_uses_dynamic_stack 0
		.amdhsa_system_sgpr_private_segment_wavefront_offset 0
		.amdhsa_system_sgpr_workgroup_id_x 1
		.amdhsa_system_sgpr_workgroup_id_y 0
		.amdhsa_system_sgpr_workgroup_id_z 0
		.amdhsa_system_sgpr_workgroup_info 0
		.amdhsa_system_vgpr_workitem_id 0
		.amdhsa_next_free_vgpr 1
		.amdhsa_next_free_sgpr 0
		.amdhsa_accum_offset 4
		.amdhsa_reserve_vcc 0
		.amdhsa_reserve_flat_scratch 0
		.amdhsa_float_round_mode_32 0
		.amdhsa_float_round_mode_16_64 0
		.amdhsa_float_denorm_mode_32 3
		.amdhsa_float_denorm_mode_16_64 3
		.amdhsa_dx10_clamp 1
		.amdhsa_ieee_mode 1
		.amdhsa_fp16_overflow 0
		.amdhsa_tg_split 0
		.amdhsa_exception_fp_ieee_invalid_op 0
		.amdhsa_exception_fp_denorm_src 0
		.amdhsa_exception_fp_ieee_div_zero 0
		.amdhsa_exception_fp_ieee_overflow 0
		.amdhsa_exception_fp_ieee_underflow 0
		.amdhsa_exception_fp_ieee_inexact 0
		.amdhsa_exception_int_div_zero 0
	.end_amdhsa_kernel
	.section	.text._ZN7rocprim17ROCPRIM_400000_NS6detail17trampoline_kernelINS0_14default_configENS1_29binary_search_config_selectorIsiEEZNS1_14transform_implILb0ES3_S5_N6thrust23THRUST_200600_302600_NS6detail15normal_iteratorINS8_10device_ptrIsEEEENSA_INSB_IiEEEEZNS1_13binary_searchIS3_S5_SD_SD_SF_NS1_16binary_search_opENS9_16wrapped_functionINS0_4lessIvEEbEEEE10hipError_tPvRmT1_T2_T3_mmT4_T5_P12ihipStream_tbEUlRKsE_EESM_SQ_SR_mSS_SV_bEUlT_E_NS1_11comp_targetILNS1_3genE10ELNS1_11target_archE1201ELNS1_3gpuE5ELNS1_3repE0EEENS1_30default_config_static_selectorELNS0_4arch9wavefront6targetE1EEEvSP_,"axG",@progbits,_ZN7rocprim17ROCPRIM_400000_NS6detail17trampoline_kernelINS0_14default_configENS1_29binary_search_config_selectorIsiEEZNS1_14transform_implILb0ES3_S5_N6thrust23THRUST_200600_302600_NS6detail15normal_iteratorINS8_10device_ptrIsEEEENSA_INSB_IiEEEEZNS1_13binary_searchIS3_S5_SD_SD_SF_NS1_16binary_search_opENS9_16wrapped_functionINS0_4lessIvEEbEEEE10hipError_tPvRmT1_T2_T3_mmT4_T5_P12ihipStream_tbEUlRKsE_EESM_SQ_SR_mSS_SV_bEUlT_E_NS1_11comp_targetILNS1_3genE10ELNS1_11target_archE1201ELNS1_3gpuE5ELNS1_3repE0EEENS1_30default_config_static_selectorELNS0_4arch9wavefront6targetE1EEEvSP_,comdat
.Lfunc_end542:
	.size	_ZN7rocprim17ROCPRIM_400000_NS6detail17trampoline_kernelINS0_14default_configENS1_29binary_search_config_selectorIsiEEZNS1_14transform_implILb0ES3_S5_N6thrust23THRUST_200600_302600_NS6detail15normal_iteratorINS8_10device_ptrIsEEEENSA_INSB_IiEEEEZNS1_13binary_searchIS3_S5_SD_SD_SF_NS1_16binary_search_opENS9_16wrapped_functionINS0_4lessIvEEbEEEE10hipError_tPvRmT1_T2_T3_mmT4_T5_P12ihipStream_tbEUlRKsE_EESM_SQ_SR_mSS_SV_bEUlT_E_NS1_11comp_targetILNS1_3genE10ELNS1_11target_archE1201ELNS1_3gpuE5ELNS1_3repE0EEENS1_30default_config_static_selectorELNS0_4arch9wavefront6targetE1EEEvSP_, .Lfunc_end542-_ZN7rocprim17ROCPRIM_400000_NS6detail17trampoline_kernelINS0_14default_configENS1_29binary_search_config_selectorIsiEEZNS1_14transform_implILb0ES3_S5_N6thrust23THRUST_200600_302600_NS6detail15normal_iteratorINS8_10device_ptrIsEEEENSA_INSB_IiEEEEZNS1_13binary_searchIS3_S5_SD_SD_SF_NS1_16binary_search_opENS9_16wrapped_functionINS0_4lessIvEEbEEEE10hipError_tPvRmT1_T2_T3_mmT4_T5_P12ihipStream_tbEUlRKsE_EESM_SQ_SR_mSS_SV_bEUlT_E_NS1_11comp_targetILNS1_3genE10ELNS1_11target_archE1201ELNS1_3gpuE5ELNS1_3repE0EEENS1_30default_config_static_selectorELNS0_4arch9wavefront6targetE1EEEvSP_
                                        ; -- End function
	.section	.AMDGPU.csdata,"",@progbits
; Kernel info:
; codeLenInByte = 0
; NumSgprs: 4
; NumVgprs: 0
; NumAgprs: 0
; TotalNumVgprs: 0
; ScratchSize: 0
; MemoryBound: 0
; FloatMode: 240
; IeeeMode: 1
; LDSByteSize: 0 bytes/workgroup (compile time only)
; SGPRBlocks: 0
; VGPRBlocks: 0
; NumSGPRsForWavesPerEU: 4
; NumVGPRsForWavesPerEU: 1
; AccumOffset: 4
; Occupancy: 8
; WaveLimiterHint : 0
; COMPUTE_PGM_RSRC2:SCRATCH_EN: 0
; COMPUTE_PGM_RSRC2:USER_SGPR: 6
; COMPUTE_PGM_RSRC2:TRAP_HANDLER: 0
; COMPUTE_PGM_RSRC2:TGID_X_EN: 1
; COMPUTE_PGM_RSRC2:TGID_Y_EN: 0
; COMPUTE_PGM_RSRC2:TGID_Z_EN: 0
; COMPUTE_PGM_RSRC2:TIDIG_COMP_CNT: 0
; COMPUTE_PGM_RSRC3_GFX90A:ACCUM_OFFSET: 0
; COMPUTE_PGM_RSRC3_GFX90A:TG_SPLIT: 0
	.section	.text._ZN7rocprim17ROCPRIM_400000_NS6detail17trampoline_kernelINS0_14default_configENS1_29binary_search_config_selectorIsiEEZNS1_14transform_implILb0ES3_S5_N6thrust23THRUST_200600_302600_NS6detail15normal_iteratorINS8_10device_ptrIsEEEENSA_INSB_IiEEEEZNS1_13binary_searchIS3_S5_SD_SD_SF_NS1_16binary_search_opENS9_16wrapped_functionINS0_4lessIvEEbEEEE10hipError_tPvRmT1_T2_T3_mmT4_T5_P12ihipStream_tbEUlRKsE_EESM_SQ_SR_mSS_SV_bEUlT_E_NS1_11comp_targetILNS1_3genE10ELNS1_11target_archE1200ELNS1_3gpuE4ELNS1_3repE0EEENS1_30default_config_static_selectorELNS0_4arch9wavefront6targetE1EEEvSP_,"axG",@progbits,_ZN7rocprim17ROCPRIM_400000_NS6detail17trampoline_kernelINS0_14default_configENS1_29binary_search_config_selectorIsiEEZNS1_14transform_implILb0ES3_S5_N6thrust23THRUST_200600_302600_NS6detail15normal_iteratorINS8_10device_ptrIsEEEENSA_INSB_IiEEEEZNS1_13binary_searchIS3_S5_SD_SD_SF_NS1_16binary_search_opENS9_16wrapped_functionINS0_4lessIvEEbEEEE10hipError_tPvRmT1_T2_T3_mmT4_T5_P12ihipStream_tbEUlRKsE_EESM_SQ_SR_mSS_SV_bEUlT_E_NS1_11comp_targetILNS1_3genE10ELNS1_11target_archE1200ELNS1_3gpuE4ELNS1_3repE0EEENS1_30default_config_static_selectorELNS0_4arch9wavefront6targetE1EEEvSP_,comdat
	.protected	_ZN7rocprim17ROCPRIM_400000_NS6detail17trampoline_kernelINS0_14default_configENS1_29binary_search_config_selectorIsiEEZNS1_14transform_implILb0ES3_S5_N6thrust23THRUST_200600_302600_NS6detail15normal_iteratorINS8_10device_ptrIsEEEENSA_INSB_IiEEEEZNS1_13binary_searchIS3_S5_SD_SD_SF_NS1_16binary_search_opENS9_16wrapped_functionINS0_4lessIvEEbEEEE10hipError_tPvRmT1_T2_T3_mmT4_T5_P12ihipStream_tbEUlRKsE_EESM_SQ_SR_mSS_SV_bEUlT_E_NS1_11comp_targetILNS1_3genE10ELNS1_11target_archE1200ELNS1_3gpuE4ELNS1_3repE0EEENS1_30default_config_static_selectorELNS0_4arch9wavefront6targetE1EEEvSP_ ; -- Begin function _ZN7rocprim17ROCPRIM_400000_NS6detail17trampoline_kernelINS0_14default_configENS1_29binary_search_config_selectorIsiEEZNS1_14transform_implILb0ES3_S5_N6thrust23THRUST_200600_302600_NS6detail15normal_iteratorINS8_10device_ptrIsEEEENSA_INSB_IiEEEEZNS1_13binary_searchIS3_S5_SD_SD_SF_NS1_16binary_search_opENS9_16wrapped_functionINS0_4lessIvEEbEEEE10hipError_tPvRmT1_T2_T3_mmT4_T5_P12ihipStream_tbEUlRKsE_EESM_SQ_SR_mSS_SV_bEUlT_E_NS1_11comp_targetILNS1_3genE10ELNS1_11target_archE1200ELNS1_3gpuE4ELNS1_3repE0EEENS1_30default_config_static_selectorELNS0_4arch9wavefront6targetE1EEEvSP_
	.globl	_ZN7rocprim17ROCPRIM_400000_NS6detail17trampoline_kernelINS0_14default_configENS1_29binary_search_config_selectorIsiEEZNS1_14transform_implILb0ES3_S5_N6thrust23THRUST_200600_302600_NS6detail15normal_iteratorINS8_10device_ptrIsEEEENSA_INSB_IiEEEEZNS1_13binary_searchIS3_S5_SD_SD_SF_NS1_16binary_search_opENS9_16wrapped_functionINS0_4lessIvEEbEEEE10hipError_tPvRmT1_T2_T3_mmT4_T5_P12ihipStream_tbEUlRKsE_EESM_SQ_SR_mSS_SV_bEUlT_E_NS1_11comp_targetILNS1_3genE10ELNS1_11target_archE1200ELNS1_3gpuE4ELNS1_3repE0EEENS1_30default_config_static_selectorELNS0_4arch9wavefront6targetE1EEEvSP_
	.p2align	8
	.type	_ZN7rocprim17ROCPRIM_400000_NS6detail17trampoline_kernelINS0_14default_configENS1_29binary_search_config_selectorIsiEEZNS1_14transform_implILb0ES3_S5_N6thrust23THRUST_200600_302600_NS6detail15normal_iteratorINS8_10device_ptrIsEEEENSA_INSB_IiEEEEZNS1_13binary_searchIS3_S5_SD_SD_SF_NS1_16binary_search_opENS9_16wrapped_functionINS0_4lessIvEEbEEEE10hipError_tPvRmT1_T2_T3_mmT4_T5_P12ihipStream_tbEUlRKsE_EESM_SQ_SR_mSS_SV_bEUlT_E_NS1_11comp_targetILNS1_3genE10ELNS1_11target_archE1200ELNS1_3gpuE4ELNS1_3repE0EEENS1_30default_config_static_selectorELNS0_4arch9wavefront6targetE1EEEvSP_,@function
_ZN7rocprim17ROCPRIM_400000_NS6detail17trampoline_kernelINS0_14default_configENS1_29binary_search_config_selectorIsiEEZNS1_14transform_implILb0ES3_S5_N6thrust23THRUST_200600_302600_NS6detail15normal_iteratorINS8_10device_ptrIsEEEENSA_INSB_IiEEEEZNS1_13binary_searchIS3_S5_SD_SD_SF_NS1_16binary_search_opENS9_16wrapped_functionINS0_4lessIvEEbEEEE10hipError_tPvRmT1_T2_T3_mmT4_T5_P12ihipStream_tbEUlRKsE_EESM_SQ_SR_mSS_SV_bEUlT_E_NS1_11comp_targetILNS1_3genE10ELNS1_11target_archE1200ELNS1_3gpuE4ELNS1_3repE0EEENS1_30default_config_static_selectorELNS0_4arch9wavefront6targetE1EEEvSP_: ; @_ZN7rocprim17ROCPRIM_400000_NS6detail17trampoline_kernelINS0_14default_configENS1_29binary_search_config_selectorIsiEEZNS1_14transform_implILb0ES3_S5_N6thrust23THRUST_200600_302600_NS6detail15normal_iteratorINS8_10device_ptrIsEEEENSA_INSB_IiEEEEZNS1_13binary_searchIS3_S5_SD_SD_SF_NS1_16binary_search_opENS9_16wrapped_functionINS0_4lessIvEEbEEEE10hipError_tPvRmT1_T2_T3_mmT4_T5_P12ihipStream_tbEUlRKsE_EESM_SQ_SR_mSS_SV_bEUlT_E_NS1_11comp_targetILNS1_3genE10ELNS1_11target_archE1200ELNS1_3gpuE4ELNS1_3repE0EEENS1_30default_config_static_selectorELNS0_4arch9wavefront6targetE1EEEvSP_
; %bb.0:
	.section	.rodata,"a",@progbits
	.p2align	6, 0x0
	.amdhsa_kernel _ZN7rocprim17ROCPRIM_400000_NS6detail17trampoline_kernelINS0_14default_configENS1_29binary_search_config_selectorIsiEEZNS1_14transform_implILb0ES3_S5_N6thrust23THRUST_200600_302600_NS6detail15normal_iteratorINS8_10device_ptrIsEEEENSA_INSB_IiEEEEZNS1_13binary_searchIS3_S5_SD_SD_SF_NS1_16binary_search_opENS9_16wrapped_functionINS0_4lessIvEEbEEEE10hipError_tPvRmT1_T2_T3_mmT4_T5_P12ihipStream_tbEUlRKsE_EESM_SQ_SR_mSS_SV_bEUlT_E_NS1_11comp_targetILNS1_3genE10ELNS1_11target_archE1200ELNS1_3gpuE4ELNS1_3repE0EEENS1_30default_config_static_selectorELNS0_4arch9wavefront6targetE1EEEvSP_
		.amdhsa_group_segment_fixed_size 0
		.amdhsa_private_segment_fixed_size 0
		.amdhsa_kernarg_size 56
		.amdhsa_user_sgpr_count 6
		.amdhsa_user_sgpr_private_segment_buffer 1
		.amdhsa_user_sgpr_dispatch_ptr 0
		.amdhsa_user_sgpr_queue_ptr 0
		.amdhsa_user_sgpr_kernarg_segment_ptr 1
		.amdhsa_user_sgpr_dispatch_id 0
		.amdhsa_user_sgpr_flat_scratch_init 0
		.amdhsa_user_sgpr_kernarg_preload_length 0
		.amdhsa_user_sgpr_kernarg_preload_offset 0
		.amdhsa_user_sgpr_private_segment_size 0
		.amdhsa_uses_dynamic_stack 0
		.amdhsa_system_sgpr_private_segment_wavefront_offset 0
		.amdhsa_system_sgpr_workgroup_id_x 1
		.amdhsa_system_sgpr_workgroup_id_y 0
		.amdhsa_system_sgpr_workgroup_id_z 0
		.amdhsa_system_sgpr_workgroup_info 0
		.amdhsa_system_vgpr_workitem_id 0
		.amdhsa_next_free_vgpr 1
		.amdhsa_next_free_sgpr 0
		.amdhsa_accum_offset 4
		.amdhsa_reserve_vcc 0
		.amdhsa_reserve_flat_scratch 0
		.amdhsa_float_round_mode_32 0
		.amdhsa_float_round_mode_16_64 0
		.amdhsa_float_denorm_mode_32 3
		.amdhsa_float_denorm_mode_16_64 3
		.amdhsa_dx10_clamp 1
		.amdhsa_ieee_mode 1
		.amdhsa_fp16_overflow 0
		.amdhsa_tg_split 0
		.amdhsa_exception_fp_ieee_invalid_op 0
		.amdhsa_exception_fp_denorm_src 0
		.amdhsa_exception_fp_ieee_div_zero 0
		.amdhsa_exception_fp_ieee_overflow 0
		.amdhsa_exception_fp_ieee_underflow 0
		.amdhsa_exception_fp_ieee_inexact 0
		.amdhsa_exception_int_div_zero 0
	.end_amdhsa_kernel
	.section	.text._ZN7rocprim17ROCPRIM_400000_NS6detail17trampoline_kernelINS0_14default_configENS1_29binary_search_config_selectorIsiEEZNS1_14transform_implILb0ES3_S5_N6thrust23THRUST_200600_302600_NS6detail15normal_iteratorINS8_10device_ptrIsEEEENSA_INSB_IiEEEEZNS1_13binary_searchIS3_S5_SD_SD_SF_NS1_16binary_search_opENS9_16wrapped_functionINS0_4lessIvEEbEEEE10hipError_tPvRmT1_T2_T3_mmT4_T5_P12ihipStream_tbEUlRKsE_EESM_SQ_SR_mSS_SV_bEUlT_E_NS1_11comp_targetILNS1_3genE10ELNS1_11target_archE1200ELNS1_3gpuE4ELNS1_3repE0EEENS1_30default_config_static_selectorELNS0_4arch9wavefront6targetE1EEEvSP_,"axG",@progbits,_ZN7rocprim17ROCPRIM_400000_NS6detail17trampoline_kernelINS0_14default_configENS1_29binary_search_config_selectorIsiEEZNS1_14transform_implILb0ES3_S5_N6thrust23THRUST_200600_302600_NS6detail15normal_iteratorINS8_10device_ptrIsEEEENSA_INSB_IiEEEEZNS1_13binary_searchIS3_S5_SD_SD_SF_NS1_16binary_search_opENS9_16wrapped_functionINS0_4lessIvEEbEEEE10hipError_tPvRmT1_T2_T3_mmT4_T5_P12ihipStream_tbEUlRKsE_EESM_SQ_SR_mSS_SV_bEUlT_E_NS1_11comp_targetILNS1_3genE10ELNS1_11target_archE1200ELNS1_3gpuE4ELNS1_3repE0EEENS1_30default_config_static_selectorELNS0_4arch9wavefront6targetE1EEEvSP_,comdat
.Lfunc_end543:
	.size	_ZN7rocprim17ROCPRIM_400000_NS6detail17trampoline_kernelINS0_14default_configENS1_29binary_search_config_selectorIsiEEZNS1_14transform_implILb0ES3_S5_N6thrust23THRUST_200600_302600_NS6detail15normal_iteratorINS8_10device_ptrIsEEEENSA_INSB_IiEEEEZNS1_13binary_searchIS3_S5_SD_SD_SF_NS1_16binary_search_opENS9_16wrapped_functionINS0_4lessIvEEbEEEE10hipError_tPvRmT1_T2_T3_mmT4_T5_P12ihipStream_tbEUlRKsE_EESM_SQ_SR_mSS_SV_bEUlT_E_NS1_11comp_targetILNS1_3genE10ELNS1_11target_archE1200ELNS1_3gpuE4ELNS1_3repE0EEENS1_30default_config_static_selectorELNS0_4arch9wavefront6targetE1EEEvSP_, .Lfunc_end543-_ZN7rocprim17ROCPRIM_400000_NS6detail17trampoline_kernelINS0_14default_configENS1_29binary_search_config_selectorIsiEEZNS1_14transform_implILb0ES3_S5_N6thrust23THRUST_200600_302600_NS6detail15normal_iteratorINS8_10device_ptrIsEEEENSA_INSB_IiEEEEZNS1_13binary_searchIS3_S5_SD_SD_SF_NS1_16binary_search_opENS9_16wrapped_functionINS0_4lessIvEEbEEEE10hipError_tPvRmT1_T2_T3_mmT4_T5_P12ihipStream_tbEUlRKsE_EESM_SQ_SR_mSS_SV_bEUlT_E_NS1_11comp_targetILNS1_3genE10ELNS1_11target_archE1200ELNS1_3gpuE4ELNS1_3repE0EEENS1_30default_config_static_selectorELNS0_4arch9wavefront6targetE1EEEvSP_
                                        ; -- End function
	.section	.AMDGPU.csdata,"",@progbits
; Kernel info:
; codeLenInByte = 0
; NumSgprs: 4
; NumVgprs: 0
; NumAgprs: 0
; TotalNumVgprs: 0
; ScratchSize: 0
; MemoryBound: 0
; FloatMode: 240
; IeeeMode: 1
; LDSByteSize: 0 bytes/workgroup (compile time only)
; SGPRBlocks: 0
; VGPRBlocks: 0
; NumSGPRsForWavesPerEU: 4
; NumVGPRsForWavesPerEU: 1
; AccumOffset: 4
; Occupancy: 8
; WaveLimiterHint : 0
; COMPUTE_PGM_RSRC2:SCRATCH_EN: 0
; COMPUTE_PGM_RSRC2:USER_SGPR: 6
; COMPUTE_PGM_RSRC2:TRAP_HANDLER: 0
; COMPUTE_PGM_RSRC2:TGID_X_EN: 1
; COMPUTE_PGM_RSRC2:TGID_Y_EN: 0
; COMPUTE_PGM_RSRC2:TGID_Z_EN: 0
; COMPUTE_PGM_RSRC2:TIDIG_COMP_CNT: 0
; COMPUTE_PGM_RSRC3_GFX90A:ACCUM_OFFSET: 0
; COMPUTE_PGM_RSRC3_GFX90A:TG_SPLIT: 0
	.section	.text._ZN7rocprim17ROCPRIM_400000_NS6detail17trampoline_kernelINS0_14default_configENS1_29binary_search_config_selectorIsiEEZNS1_14transform_implILb0ES3_S5_N6thrust23THRUST_200600_302600_NS6detail15normal_iteratorINS8_10device_ptrIsEEEENSA_INSB_IiEEEEZNS1_13binary_searchIS3_S5_SD_SD_SF_NS1_16binary_search_opENS9_16wrapped_functionINS0_4lessIvEEbEEEE10hipError_tPvRmT1_T2_T3_mmT4_T5_P12ihipStream_tbEUlRKsE_EESM_SQ_SR_mSS_SV_bEUlT_E_NS1_11comp_targetILNS1_3genE9ELNS1_11target_archE1100ELNS1_3gpuE3ELNS1_3repE0EEENS1_30default_config_static_selectorELNS0_4arch9wavefront6targetE1EEEvSP_,"axG",@progbits,_ZN7rocprim17ROCPRIM_400000_NS6detail17trampoline_kernelINS0_14default_configENS1_29binary_search_config_selectorIsiEEZNS1_14transform_implILb0ES3_S5_N6thrust23THRUST_200600_302600_NS6detail15normal_iteratorINS8_10device_ptrIsEEEENSA_INSB_IiEEEEZNS1_13binary_searchIS3_S5_SD_SD_SF_NS1_16binary_search_opENS9_16wrapped_functionINS0_4lessIvEEbEEEE10hipError_tPvRmT1_T2_T3_mmT4_T5_P12ihipStream_tbEUlRKsE_EESM_SQ_SR_mSS_SV_bEUlT_E_NS1_11comp_targetILNS1_3genE9ELNS1_11target_archE1100ELNS1_3gpuE3ELNS1_3repE0EEENS1_30default_config_static_selectorELNS0_4arch9wavefront6targetE1EEEvSP_,comdat
	.protected	_ZN7rocprim17ROCPRIM_400000_NS6detail17trampoline_kernelINS0_14default_configENS1_29binary_search_config_selectorIsiEEZNS1_14transform_implILb0ES3_S5_N6thrust23THRUST_200600_302600_NS6detail15normal_iteratorINS8_10device_ptrIsEEEENSA_INSB_IiEEEEZNS1_13binary_searchIS3_S5_SD_SD_SF_NS1_16binary_search_opENS9_16wrapped_functionINS0_4lessIvEEbEEEE10hipError_tPvRmT1_T2_T3_mmT4_T5_P12ihipStream_tbEUlRKsE_EESM_SQ_SR_mSS_SV_bEUlT_E_NS1_11comp_targetILNS1_3genE9ELNS1_11target_archE1100ELNS1_3gpuE3ELNS1_3repE0EEENS1_30default_config_static_selectorELNS0_4arch9wavefront6targetE1EEEvSP_ ; -- Begin function _ZN7rocprim17ROCPRIM_400000_NS6detail17trampoline_kernelINS0_14default_configENS1_29binary_search_config_selectorIsiEEZNS1_14transform_implILb0ES3_S5_N6thrust23THRUST_200600_302600_NS6detail15normal_iteratorINS8_10device_ptrIsEEEENSA_INSB_IiEEEEZNS1_13binary_searchIS3_S5_SD_SD_SF_NS1_16binary_search_opENS9_16wrapped_functionINS0_4lessIvEEbEEEE10hipError_tPvRmT1_T2_T3_mmT4_T5_P12ihipStream_tbEUlRKsE_EESM_SQ_SR_mSS_SV_bEUlT_E_NS1_11comp_targetILNS1_3genE9ELNS1_11target_archE1100ELNS1_3gpuE3ELNS1_3repE0EEENS1_30default_config_static_selectorELNS0_4arch9wavefront6targetE1EEEvSP_
	.globl	_ZN7rocprim17ROCPRIM_400000_NS6detail17trampoline_kernelINS0_14default_configENS1_29binary_search_config_selectorIsiEEZNS1_14transform_implILb0ES3_S5_N6thrust23THRUST_200600_302600_NS6detail15normal_iteratorINS8_10device_ptrIsEEEENSA_INSB_IiEEEEZNS1_13binary_searchIS3_S5_SD_SD_SF_NS1_16binary_search_opENS9_16wrapped_functionINS0_4lessIvEEbEEEE10hipError_tPvRmT1_T2_T3_mmT4_T5_P12ihipStream_tbEUlRKsE_EESM_SQ_SR_mSS_SV_bEUlT_E_NS1_11comp_targetILNS1_3genE9ELNS1_11target_archE1100ELNS1_3gpuE3ELNS1_3repE0EEENS1_30default_config_static_selectorELNS0_4arch9wavefront6targetE1EEEvSP_
	.p2align	8
	.type	_ZN7rocprim17ROCPRIM_400000_NS6detail17trampoline_kernelINS0_14default_configENS1_29binary_search_config_selectorIsiEEZNS1_14transform_implILb0ES3_S5_N6thrust23THRUST_200600_302600_NS6detail15normal_iteratorINS8_10device_ptrIsEEEENSA_INSB_IiEEEEZNS1_13binary_searchIS3_S5_SD_SD_SF_NS1_16binary_search_opENS9_16wrapped_functionINS0_4lessIvEEbEEEE10hipError_tPvRmT1_T2_T3_mmT4_T5_P12ihipStream_tbEUlRKsE_EESM_SQ_SR_mSS_SV_bEUlT_E_NS1_11comp_targetILNS1_3genE9ELNS1_11target_archE1100ELNS1_3gpuE3ELNS1_3repE0EEENS1_30default_config_static_selectorELNS0_4arch9wavefront6targetE1EEEvSP_,@function
_ZN7rocprim17ROCPRIM_400000_NS6detail17trampoline_kernelINS0_14default_configENS1_29binary_search_config_selectorIsiEEZNS1_14transform_implILb0ES3_S5_N6thrust23THRUST_200600_302600_NS6detail15normal_iteratorINS8_10device_ptrIsEEEENSA_INSB_IiEEEEZNS1_13binary_searchIS3_S5_SD_SD_SF_NS1_16binary_search_opENS9_16wrapped_functionINS0_4lessIvEEbEEEE10hipError_tPvRmT1_T2_T3_mmT4_T5_P12ihipStream_tbEUlRKsE_EESM_SQ_SR_mSS_SV_bEUlT_E_NS1_11comp_targetILNS1_3genE9ELNS1_11target_archE1100ELNS1_3gpuE3ELNS1_3repE0EEENS1_30default_config_static_selectorELNS0_4arch9wavefront6targetE1EEEvSP_: ; @_ZN7rocprim17ROCPRIM_400000_NS6detail17trampoline_kernelINS0_14default_configENS1_29binary_search_config_selectorIsiEEZNS1_14transform_implILb0ES3_S5_N6thrust23THRUST_200600_302600_NS6detail15normal_iteratorINS8_10device_ptrIsEEEENSA_INSB_IiEEEEZNS1_13binary_searchIS3_S5_SD_SD_SF_NS1_16binary_search_opENS9_16wrapped_functionINS0_4lessIvEEbEEEE10hipError_tPvRmT1_T2_T3_mmT4_T5_P12ihipStream_tbEUlRKsE_EESM_SQ_SR_mSS_SV_bEUlT_E_NS1_11comp_targetILNS1_3genE9ELNS1_11target_archE1100ELNS1_3gpuE3ELNS1_3repE0EEENS1_30default_config_static_selectorELNS0_4arch9wavefront6targetE1EEEvSP_
; %bb.0:
	.section	.rodata,"a",@progbits
	.p2align	6, 0x0
	.amdhsa_kernel _ZN7rocprim17ROCPRIM_400000_NS6detail17trampoline_kernelINS0_14default_configENS1_29binary_search_config_selectorIsiEEZNS1_14transform_implILb0ES3_S5_N6thrust23THRUST_200600_302600_NS6detail15normal_iteratorINS8_10device_ptrIsEEEENSA_INSB_IiEEEEZNS1_13binary_searchIS3_S5_SD_SD_SF_NS1_16binary_search_opENS9_16wrapped_functionINS0_4lessIvEEbEEEE10hipError_tPvRmT1_T2_T3_mmT4_T5_P12ihipStream_tbEUlRKsE_EESM_SQ_SR_mSS_SV_bEUlT_E_NS1_11comp_targetILNS1_3genE9ELNS1_11target_archE1100ELNS1_3gpuE3ELNS1_3repE0EEENS1_30default_config_static_selectorELNS0_4arch9wavefront6targetE1EEEvSP_
		.amdhsa_group_segment_fixed_size 0
		.amdhsa_private_segment_fixed_size 0
		.amdhsa_kernarg_size 56
		.amdhsa_user_sgpr_count 6
		.amdhsa_user_sgpr_private_segment_buffer 1
		.amdhsa_user_sgpr_dispatch_ptr 0
		.amdhsa_user_sgpr_queue_ptr 0
		.amdhsa_user_sgpr_kernarg_segment_ptr 1
		.amdhsa_user_sgpr_dispatch_id 0
		.amdhsa_user_sgpr_flat_scratch_init 0
		.amdhsa_user_sgpr_kernarg_preload_length 0
		.amdhsa_user_sgpr_kernarg_preload_offset 0
		.amdhsa_user_sgpr_private_segment_size 0
		.amdhsa_uses_dynamic_stack 0
		.amdhsa_system_sgpr_private_segment_wavefront_offset 0
		.amdhsa_system_sgpr_workgroup_id_x 1
		.amdhsa_system_sgpr_workgroup_id_y 0
		.amdhsa_system_sgpr_workgroup_id_z 0
		.amdhsa_system_sgpr_workgroup_info 0
		.amdhsa_system_vgpr_workitem_id 0
		.amdhsa_next_free_vgpr 1
		.amdhsa_next_free_sgpr 0
		.amdhsa_accum_offset 4
		.amdhsa_reserve_vcc 0
		.amdhsa_reserve_flat_scratch 0
		.amdhsa_float_round_mode_32 0
		.amdhsa_float_round_mode_16_64 0
		.amdhsa_float_denorm_mode_32 3
		.amdhsa_float_denorm_mode_16_64 3
		.amdhsa_dx10_clamp 1
		.amdhsa_ieee_mode 1
		.amdhsa_fp16_overflow 0
		.amdhsa_tg_split 0
		.amdhsa_exception_fp_ieee_invalid_op 0
		.amdhsa_exception_fp_denorm_src 0
		.amdhsa_exception_fp_ieee_div_zero 0
		.amdhsa_exception_fp_ieee_overflow 0
		.amdhsa_exception_fp_ieee_underflow 0
		.amdhsa_exception_fp_ieee_inexact 0
		.amdhsa_exception_int_div_zero 0
	.end_amdhsa_kernel
	.section	.text._ZN7rocprim17ROCPRIM_400000_NS6detail17trampoline_kernelINS0_14default_configENS1_29binary_search_config_selectorIsiEEZNS1_14transform_implILb0ES3_S5_N6thrust23THRUST_200600_302600_NS6detail15normal_iteratorINS8_10device_ptrIsEEEENSA_INSB_IiEEEEZNS1_13binary_searchIS3_S5_SD_SD_SF_NS1_16binary_search_opENS9_16wrapped_functionINS0_4lessIvEEbEEEE10hipError_tPvRmT1_T2_T3_mmT4_T5_P12ihipStream_tbEUlRKsE_EESM_SQ_SR_mSS_SV_bEUlT_E_NS1_11comp_targetILNS1_3genE9ELNS1_11target_archE1100ELNS1_3gpuE3ELNS1_3repE0EEENS1_30default_config_static_selectorELNS0_4arch9wavefront6targetE1EEEvSP_,"axG",@progbits,_ZN7rocprim17ROCPRIM_400000_NS6detail17trampoline_kernelINS0_14default_configENS1_29binary_search_config_selectorIsiEEZNS1_14transform_implILb0ES3_S5_N6thrust23THRUST_200600_302600_NS6detail15normal_iteratorINS8_10device_ptrIsEEEENSA_INSB_IiEEEEZNS1_13binary_searchIS3_S5_SD_SD_SF_NS1_16binary_search_opENS9_16wrapped_functionINS0_4lessIvEEbEEEE10hipError_tPvRmT1_T2_T3_mmT4_T5_P12ihipStream_tbEUlRKsE_EESM_SQ_SR_mSS_SV_bEUlT_E_NS1_11comp_targetILNS1_3genE9ELNS1_11target_archE1100ELNS1_3gpuE3ELNS1_3repE0EEENS1_30default_config_static_selectorELNS0_4arch9wavefront6targetE1EEEvSP_,comdat
.Lfunc_end544:
	.size	_ZN7rocprim17ROCPRIM_400000_NS6detail17trampoline_kernelINS0_14default_configENS1_29binary_search_config_selectorIsiEEZNS1_14transform_implILb0ES3_S5_N6thrust23THRUST_200600_302600_NS6detail15normal_iteratorINS8_10device_ptrIsEEEENSA_INSB_IiEEEEZNS1_13binary_searchIS3_S5_SD_SD_SF_NS1_16binary_search_opENS9_16wrapped_functionINS0_4lessIvEEbEEEE10hipError_tPvRmT1_T2_T3_mmT4_T5_P12ihipStream_tbEUlRKsE_EESM_SQ_SR_mSS_SV_bEUlT_E_NS1_11comp_targetILNS1_3genE9ELNS1_11target_archE1100ELNS1_3gpuE3ELNS1_3repE0EEENS1_30default_config_static_selectorELNS0_4arch9wavefront6targetE1EEEvSP_, .Lfunc_end544-_ZN7rocprim17ROCPRIM_400000_NS6detail17trampoline_kernelINS0_14default_configENS1_29binary_search_config_selectorIsiEEZNS1_14transform_implILb0ES3_S5_N6thrust23THRUST_200600_302600_NS6detail15normal_iteratorINS8_10device_ptrIsEEEENSA_INSB_IiEEEEZNS1_13binary_searchIS3_S5_SD_SD_SF_NS1_16binary_search_opENS9_16wrapped_functionINS0_4lessIvEEbEEEE10hipError_tPvRmT1_T2_T3_mmT4_T5_P12ihipStream_tbEUlRKsE_EESM_SQ_SR_mSS_SV_bEUlT_E_NS1_11comp_targetILNS1_3genE9ELNS1_11target_archE1100ELNS1_3gpuE3ELNS1_3repE0EEENS1_30default_config_static_selectorELNS0_4arch9wavefront6targetE1EEEvSP_
                                        ; -- End function
	.section	.AMDGPU.csdata,"",@progbits
; Kernel info:
; codeLenInByte = 0
; NumSgprs: 4
; NumVgprs: 0
; NumAgprs: 0
; TotalNumVgprs: 0
; ScratchSize: 0
; MemoryBound: 0
; FloatMode: 240
; IeeeMode: 1
; LDSByteSize: 0 bytes/workgroup (compile time only)
; SGPRBlocks: 0
; VGPRBlocks: 0
; NumSGPRsForWavesPerEU: 4
; NumVGPRsForWavesPerEU: 1
; AccumOffset: 4
; Occupancy: 8
; WaveLimiterHint : 0
; COMPUTE_PGM_RSRC2:SCRATCH_EN: 0
; COMPUTE_PGM_RSRC2:USER_SGPR: 6
; COMPUTE_PGM_RSRC2:TRAP_HANDLER: 0
; COMPUTE_PGM_RSRC2:TGID_X_EN: 1
; COMPUTE_PGM_RSRC2:TGID_Y_EN: 0
; COMPUTE_PGM_RSRC2:TGID_Z_EN: 0
; COMPUTE_PGM_RSRC2:TIDIG_COMP_CNT: 0
; COMPUTE_PGM_RSRC3_GFX90A:ACCUM_OFFSET: 0
; COMPUTE_PGM_RSRC3_GFX90A:TG_SPLIT: 0
	.section	.text._ZN7rocprim17ROCPRIM_400000_NS6detail17trampoline_kernelINS0_14default_configENS1_29binary_search_config_selectorIsiEEZNS1_14transform_implILb0ES3_S5_N6thrust23THRUST_200600_302600_NS6detail15normal_iteratorINS8_10device_ptrIsEEEENSA_INSB_IiEEEEZNS1_13binary_searchIS3_S5_SD_SD_SF_NS1_16binary_search_opENS9_16wrapped_functionINS0_4lessIvEEbEEEE10hipError_tPvRmT1_T2_T3_mmT4_T5_P12ihipStream_tbEUlRKsE_EESM_SQ_SR_mSS_SV_bEUlT_E_NS1_11comp_targetILNS1_3genE8ELNS1_11target_archE1030ELNS1_3gpuE2ELNS1_3repE0EEENS1_30default_config_static_selectorELNS0_4arch9wavefront6targetE1EEEvSP_,"axG",@progbits,_ZN7rocprim17ROCPRIM_400000_NS6detail17trampoline_kernelINS0_14default_configENS1_29binary_search_config_selectorIsiEEZNS1_14transform_implILb0ES3_S5_N6thrust23THRUST_200600_302600_NS6detail15normal_iteratorINS8_10device_ptrIsEEEENSA_INSB_IiEEEEZNS1_13binary_searchIS3_S5_SD_SD_SF_NS1_16binary_search_opENS9_16wrapped_functionINS0_4lessIvEEbEEEE10hipError_tPvRmT1_T2_T3_mmT4_T5_P12ihipStream_tbEUlRKsE_EESM_SQ_SR_mSS_SV_bEUlT_E_NS1_11comp_targetILNS1_3genE8ELNS1_11target_archE1030ELNS1_3gpuE2ELNS1_3repE0EEENS1_30default_config_static_selectorELNS0_4arch9wavefront6targetE1EEEvSP_,comdat
	.protected	_ZN7rocprim17ROCPRIM_400000_NS6detail17trampoline_kernelINS0_14default_configENS1_29binary_search_config_selectorIsiEEZNS1_14transform_implILb0ES3_S5_N6thrust23THRUST_200600_302600_NS6detail15normal_iteratorINS8_10device_ptrIsEEEENSA_INSB_IiEEEEZNS1_13binary_searchIS3_S5_SD_SD_SF_NS1_16binary_search_opENS9_16wrapped_functionINS0_4lessIvEEbEEEE10hipError_tPvRmT1_T2_T3_mmT4_T5_P12ihipStream_tbEUlRKsE_EESM_SQ_SR_mSS_SV_bEUlT_E_NS1_11comp_targetILNS1_3genE8ELNS1_11target_archE1030ELNS1_3gpuE2ELNS1_3repE0EEENS1_30default_config_static_selectorELNS0_4arch9wavefront6targetE1EEEvSP_ ; -- Begin function _ZN7rocprim17ROCPRIM_400000_NS6detail17trampoline_kernelINS0_14default_configENS1_29binary_search_config_selectorIsiEEZNS1_14transform_implILb0ES3_S5_N6thrust23THRUST_200600_302600_NS6detail15normal_iteratorINS8_10device_ptrIsEEEENSA_INSB_IiEEEEZNS1_13binary_searchIS3_S5_SD_SD_SF_NS1_16binary_search_opENS9_16wrapped_functionINS0_4lessIvEEbEEEE10hipError_tPvRmT1_T2_T3_mmT4_T5_P12ihipStream_tbEUlRKsE_EESM_SQ_SR_mSS_SV_bEUlT_E_NS1_11comp_targetILNS1_3genE8ELNS1_11target_archE1030ELNS1_3gpuE2ELNS1_3repE0EEENS1_30default_config_static_selectorELNS0_4arch9wavefront6targetE1EEEvSP_
	.globl	_ZN7rocprim17ROCPRIM_400000_NS6detail17trampoline_kernelINS0_14default_configENS1_29binary_search_config_selectorIsiEEZNS1_14transform_implILb0ES3_S5_N6thrust23THRUST_200600_302600_NS6detail15normal_iteratorINS8_10device_ptrIsEEEENSA_INSB_IiEEEEZNS1_13binary_searchIS3_S5_SD_SD_SF_NS1_16binary_search_opENS9_16wrapped_functionINS0_4lessIvEEbEEEE10hipError_tPvRmT1_T2_T3_mmT4_T5_P12ihipStream_tbEUlRKsE_EESM_SQ_SR_mSS_SV_bEUlT_E_NS1_11comp_targetILNS1_3genE8ELNS1_11target_archE1030ELNS1_3gpuE2ELNS1_3repE0EEENS1_30default_config_static_selectorELNS0_4arch9wavefront6targetE1EEEvSP_
	.p2align	8
	.type	_ZN7rocprim17ROCPRIM_400000_NS6detail17trampoline_kernelINS0_14default_configENS1_29binary_search_config_selectorIsiEEZNS1_14transform_implILb0ES3_S5_N6thrust23THRUST_200600_302600_NS6detail15normal_iteratorINS8_10device_ptrIsEEEENSA_INSB_IiEEEEZNS1_13binary_searchIS3_S5_SD_SD_SF_NS1_16binary_search_opENS9_16wrapped_functionINS0_4lessIvEEbEEEE10hipError_tPvRmT1_T2_T3_mmT4_T5_P12ihipStream_tbEUlRKsE_EESM_SQ_SR_mSS_SV_bEUlT_E_NS1_11comp_targetILNS1_3genE8ELNS1_11target_archE1030ELNS1_3gpuE2ELNS1_3repE0EEENS1_30default_config_static_selectorELNS0_4arch9wavefront6targetE1EEEvSP_,@function
_ZN7rocprim17ROCPRIM_400000_NS6detail17trampoline_kernelINS0_14default_configENS1_29binary_search_config_selectorIsiEEZNS1_14transform_implILb0ES3_S5_N6thrust23THRUST_200600_302600_NS6detail15normal_iteratorINS8_10device_ptrIsEEEENSA_INSB_IiEEEEZNS1_13binary_searchIS3_S5_SD_SD_SF_NS1_16binary_search_opENS9_16wrapped_functionINS0_4lessIvEEbEEEE10hipError_tPvRmT1_T2_T3_mmT4_T5_P12ihipStream_tbEUlRKsE_EESM_SQ_SR_mSS_SV_bEUlT_E_NS1_11comp_targetILNS1_3genE8ELNS1_11target_archE1030ELNS1_3gpuE2ELNS1_3repE0EEENS1_30default_config_static_selectorELNS0_4arch9wavefront6targetE1EEEvSP_: ; @_ZN7rocprim17ROCPRIM_400000_NS6detail17trampoline_kernelINS0_14default_configENS1_29binary_search_config_selectorIsiEEZNS1_14transform_implILb0ES3_S5_N6thrust23THRUST_200600_302600_NS6detail15normal_iteratorINS8_10device_ptrIsEEEENSA_INSB_IiEEEEZNS1_13binary_searchIS3_S5_SD_SD_SF_NS1_16binary_search_opENS9_16wrapped_functionINS0_4lessIvEEbEEEE10hipError_tPvRmT1_T2_T3_mmT4_T5_P12ihipStream_tbEUlRKsE_EESM_SQ_SR_mSS_SV_bEUlT_E_NS1_11comp_targetILNS1_3genE8ELNS1_11target_archE1030ELNS1_3gpuE2ELNS1_3repE0EEENS1_30default_config_static_selectorELNS0_4arch9wavefront6targetE1EEEvSP_
; %bb.0:
	.section	.rodata,"a",@progbits
	.p2align	6, 0x0
	.amdhsa_kernel _ZN7rocprim17ROCPRIM_400000_NS6detail17trampoline_kernelINS0_14default_configENS1_29binary_search_config_selectorIsiEEZNS1_14transform_implILb0ES3_S5_N6thrust23THRUST_200600_302600_NS6detail15normal_iteratorINS8_10device_ptrIsEEEENSA_INSB_IiEEEEZNS1_13binary_searchIS3_S5_SD_SD_SF_NS1_16binary_search_opENS9_16wrapped_functionINS0_4lessIvEEbEEEE10hipError_tPvRmT1_T2_T3_mmT4_T5_P12ihipStream_tbEUlRKsE_EESM_SQ_SR_mSS_SV_bEUlT_E_NS1_11comp_targetILNS1_3genE8ELNS1_11target_archE1030ELNS1_3gpuE2ELNS1_3repE0EEENS1_30default_config_static_selectorELNS0_4arch9wavefront6targetE1EEEvSP_
		.amdhsa_group_segment_fixed_size 0
		.amdhsa_private_segment_fixed_size 0
		.amdhsa_kernarg_size 56
		.amdhsa_user_sgpr_count 6
		.amdhsa_user_sgpr_private_segment_buffer 1
		.amdhsa_user_sgpr_dispatch_ptr 0
		.amdhsa_user_sgpr_queue_ptr 0
		.amdhsa_user_sgpr_kernarg_segment_ptr 1
		.amdhsa_user_sgpr_dispatch_id 0
		.amdhsa_user_sgpr_flat_scratch_init 0
		.amdhsa_user_sgpr_kernarg_preload_length 0
		.amdhsa_user_sgpr_kernarg_preload_offset 0
		.amdhsa_user_sgpr_private_segment_size 0
		.amdhsa_uses_dynamic_stack 0
		.amdhsa_system_sgpr_private_segment_wavefront_offset 0
		.amdhsa_system_sgpr_workgroup_id_x 1
		.amdhsa_system_sgpr_workgroup_id_y 0
		.amdhsa_system_sgpr_workgroup_id_z 0
		.amdhsa_system_sgpr_workgroup_info 0
		.amdhsa_system_vgpr_workitem_id 0
		.amdhsa_next_free_vgpr 1
		.amdhsa_next_free_sgpr 0
		.amdhsa_accum_offset 4
		.amdhsa_reserve_vcc 0
		.amdhsa_reserve_flat_scratch 0
		.amdhsa_float_round_mode_32 0
		.amdhsa_float_round_mode_16_64 0
		.amdhsa_float_denorm_mode_32 3
		.amdhsa_float_denorm_mode_16_64 3
		.amdhsa_dx10_clamp 1
		.amdhsa_ieee_mode 1
		.amdhsa_fp16_overflow 0
		.amdhsa_tg_split 0
		.amdhsa_exception_fp_ieee_invalid_op 0
		.amdhsa_exception_fp_denorm_src 0
		.amdhsa_exception_fp_ieee_div_zero 0
		.amdhsa_exception_fp_ieee_overflow 0
		.amdhsa_exception_fp_ieee_underflow 0
		.amdhsa_exception_fp_ieee_inexact 0
		.amdhsa_exception_int_div_zero 0
	.end_amdhsa_kernel
	.section	.text._ZN7rocprim17ROCPRIM_400000_NS6detail17trampoline_kernelINS0_14default_configENS1_29binary_search_config_selectorIsiEEZNS1_14transform_implILb0ES3_S5_N6thrust23THRUST_200600_302600_NS6detail15normal_iteratorINS8_10device_ptrIsEEEENSA_INSB_IiEEEEZNS1_13binary_searchIS3_S5_SD_SD_SF_NS1_16binary_search_opENS9_16wrapped_functionINS0_4lessIvEEbEEEE10hipError_tPvRmT1_T2_T3_mmT4_T5_P12ihipStream_tbEUlRKsE_EESM_SQ_SR_mSS_SV_bEUlT_E_NS1_11comp_targetILNS1_3genE8ELNS1_11target_archE1030ELNS1_3gpuE2ELNS1_3repE0EEENS1_30default_config_static_selectorELNS0_4arch9wavefront6targetE1EEEvSP_,"axG",@progbits,_ZN7rocprim17ROCPRIM_400000_NS6detail17trampoline_kernelINS0_14default_configENS1_29binary_search_config_selectorIsiEEZNS1_14transform_implILb0ES3_S5_N6thrust23THRUST_200600_302600_NS6detail15normal_iteratorINS8_10device_ptrIsEEEENSA_INSB_IiEEEEZNS1_13binary_searchIS3_S5_SD_SD_SF_NS1_16binary_search_opENS9_16wrapped_functionINS0_4lessIvEEbEEEE10hipError_tPvRmT1_T2_T3_mmT4_T5_P12ihipStream_tbEUlRKsE_EESM_SQ_SR_mSS_SV_bEUlT_E_NS1_11comp_targetILNS1_3genE8ELNS1_11target_archE1030ELNS1_3gpuE2ELNS1_3repE0EEENS1_30default_config_static_selectorELNS0_4arch9wavefront6targetE1EEEvSP_,comdat
.Lfunc_end545:
	.size	_ZN7rocprim17ROCPRIM_400000_NS6detail17trampoline_kernelINS0_14default_configENS1_29binary_search_config_selectorIsiEEZNS1_14transform_implILb0ES3_S5_N6thrust23THRUST_200600_302600_NS6detail15normal_iteratorINS8_10device_ptrIsEEEENSA_INSB_IiEEEEZNS1_13binary_searchIS3_S5_SD_SD_SF_NS1_16binary_search_opENS9_16wrapped_functionINS0_4lessIvEEbEEEE10hipError_tPvRmT1_T2_T3_mmT4_T5_P12ihipStream_tbEUlRKsE_EESM_SQ_SR_mSS_SV_bEUlT_E_NS1_11comp_targetILNS1_3genE8ELNS1_11target_archE1030ELNS1_3gpuE2ELNS1_3repE0EEENS1_30default_config_static_selectorELNS0_4arch9wavefront6targetE1EEEvSP_, .Lfunc_end545-_ZN7rocprim17ROCPRIM_400000_NS6detail17trampoline_kernelINS0_14default_configENS1_29binary_search_config_selectorIsiEEZNS1_14transform_implILb0ES3_S5_N6thrust23THRUST_200600_302600_NS6detail15normal_iteratorINS8_10device_ptrIsEEEENSA_INSB_IiEEEEZNS1_13binary_searchIS3_S5_SD_SD_SF_NS1_16binary_search_opENS9_16wrapped_functionINS0_4lessIvEEbEEEE10hipError_tPvRmT1_T2_T3_mmT4_T5_P12ihipStream_tbEUlRKsE_EESM_SQ_SR_mSS_SV_bEUlT_E_NS1_11comp_targetILNS1_3genE8ELNS1_11target_archE1030ELNS1_3gpuE2ELNS1_3repE0EEENS1_30default_config_static_selectorELNS0_4arch9wavefront6targetE1EEEvSP_
                                        ; -- End function
	.section	.AMDGPU.csdata,"",@progbits
; Kernel info:
; codeLenInByte = 0
; NumSgprs: 4
; NumVgprs: 0
; NumAgprs: 0
; TotalNumVgprs: 0
; ScratchSize: 0
; MemoryBound: 0
; FloatMode: 240
; IeeeMode: 1
; LDSByteSize: 0 bytes/workgroup (compile time only)
; SGPRBlocks: 0
; VGPRBlocks: 0
; NumSGPRsForWavesPerEU: 4
; NumVGPRsForWavesPerEU: 1
; AccumOffset: 4
; Occupancy: 8
; WaveLimiterHint : 0
; COMPUTE_PGM_RSRC2:SCRATCH_EN: 0
; COMPUTE_PGM_RSRC2:USER_SGPR: 6
; COMPUTE_PGM_RSRC2:TRAP_HANDLER: 0
; COMPUTE_PGM_RSRC2:TGID_X_EN: 1
; COMPUTE_PGM_RSRC2:TGID_Y_EN: 0
; COMPUTE_PGM_RSRC2:TGID_Z_EN: 0
; COMPUTE_PGM_RSRC2:TIDIG_COMP_CNT: 0
; COMPUTE_PGM_RSRC3_GFX90A:ACCUM_OFFSET: 0
; COMPUTE_PGM_RSRC3_GFX90A:TG_SPLIT: 0
	.section	.text._ZN7rocprim17ROCPRIM_400000_NS6detail17trampoline_kernelINS0_14default_configENS1_27lower_bound_config_selectorIxN6thrust23THRUST_200600_302600_NS6detail10any_assignEEEZNS1_14transform_implILb0ES3_S9_NS7_15normal_iteratorINS6_10device_ptrIxEEEENS6_16discard_iteratorINS6_11use_defaultEEEZNS1_13binary_searchIS3_S9_SE_SE_SH_NS1_21lower_bound_search_opENS7_16wrapped_functionINS0_4lessIvEEbEEEE10hipError_tPvRmT1_T2_T3_mmT4_T5_P12ihipStream_tbEUlRKxE_EESO_SS_ST_mSU_SX_bEUlT_E_NS1_11comp_targetILNS1_3genE0ELNS1_11target_archE4294967295ELNS1_3gpuE0ELNS1_3repE0EEENS1_30default_config_static_selectorELNS0_4arch9wavefront6targetE1EEEvSR_,"axG",@progbits,_ZN7rocprim17ROCPRIM_400000_NS6detail17trampoline_kernelINS0_14default_configENS1_27lower_bound_config_selectorIxN6thrust23THRUST_200600_302600_NS6detail10any_assignEEEZNS1_14transform_implILb0ES3_S9_NS7_15normal_iteratorINS6_10device_ptrIxEEEENS6_16discard_iteratorINS6_11use_defaultEEEZNS1_13binary_searchIS3_S9_SE_SE_SH_NS1_21lower_bound_search_opENS7_16wrapped_functionINS0_4lessIvEEbEEEE10hipError_tPvRmT1_T2_T3_mmT4_T5_P12ihipStream_tbEUlRKxE_EESO_SS_ST_mSU_SX_bEUlT_E_NS1_11comp_targetILNS1_3genE0ELNS1_11target_archE4294967295ELNS1_3gpuE0ELNS1_3repE0EEENS1_30default_config_static_selectorELNS0_4arch9wavefront6targetE1EEEvSR_,comdat
	.protected	_ZN7rocprim17ROCPRIM_400000_NS6detail17trampoline_kernelINS0_14default_configENS1_27lower_bound_config_selectorIxN6thrust23THRUST_200600_302600_NS6detail10any_assignEEEZNS1_14transform_implILb0ES3_S9_NS7_15normal_iteratorINS6_10device_ptrIxEEEENS6_16discard_iteratorINS6_11use_defaultEEEZNS1_13binary_searchIS3_S9_SE_SE_SH_NS1_21lower_bound_search_opENS7_16wrapped_functionINS0_4lessIvEEbEEEE10hipError_tPvRmT1_T2_T3_mmT4_T5_P12ihipStream_tbEUlRKxE_EESO_SS_ST_mSU_SX_bEUlT_E_NS1_11comp_targetILNS1_3genE0ELNS1_11target_archE4294967295ELNS1_3gpuE0ELNS1_3repE0EEENS1_30default_config_static_selectorELNS0_4arch9wavefront6targetE1EEEvSR_ ; -- Begin function _ZN7rocprim17ROCPRIM_400000_NS6detail17trampoline_kernelINS0_14default_configENS1_27lower_bound_config_selectorIxN6thrust23THRUST_200600_302600_NS6detail10any_assignEEEZNS1_14transform_implILb0ES3_S9_NS7_15normal_iteratorINS6_10device_ptrIxEEEENS6_16discard_iteratorINS6_11use_defaultEEEZNS1_13binary_searchIS3_S9_SE_SE_SH_NS1_21lower_bound_search_opENS7_16wrapped_functionINS0_4lessIvEEbEEEE10hipError_tPvRmT1_T2_T3_mmT4_T5_P12ihipStream_tbEUlRKxE_EESO_SS_ST_mSU_SX_bEUlT_E_NS1_11comp_targetILNS1_3genE0ELNS1_11target_archE4294967295ELNS1_3gpuE0ELNS1_3repE0EEENS1_30default_config_static_selectorELNS0_4arch9wavefront6targetE1EEEvSR_
	.globl	_ZN7rocprim17ROCPRIM_400000_NS6detail17trampoline_kernelINS0_14default_configENS1_27lower_bound_config_selectorIxN6thrust23THRUST_200600_302600_NS6detail10any_assignEEEZNS1_14transform_implILb0ES3_S9_NS7_15normal_iteratorINS6_10device_ptrIxEEEENS6_16discard_iteratorINS6_11use_defaultEEEZNS1_13binary_searchIS3_S9_SE_SE_SH_NS1_21lower_bound_search_opENS7_16wrapped_functionINS0_4lessIvEEbEEEE10hipError_tPvRmT1_T2_T3_mmT4_T5_P12ihipStream_tbEUlRKxE_EESO_SS_ST_mSU_SX_bEUlT_E_NS1_11comp_targetILNS1_3genE0ELNS1_11target_archE4294967295ELNS1_3gpuE0ELNS1_3repE0EEENS1_30default_config_static_selectorELNS0_4arch9wavefront6targetE1EEEvSR_
	.p2align	8
	.type	_ZN7rocprim17ROCPRIM_400000_NS6detail17trampoline_kernelINS0_14default_configENS1_27lower_bound_config_selectorIxN6thrust23THRUST_200600_302600_NS6detail10any_assignEEEZNS1_14transform_implILb0ES3_S9_NS7_15normal_iteratorINS6_10device_ptrIxEEEENS6_16discard_iteratorINS6_11use_defaultEEEZNS1_13binary_searchIS3_S9_SE_SE_SH_NS1_21lower_bound_search_opENS7_16wrapped_functionINS0_4lessIvEEbEEEE10hipError_tPvRmT1_T2_T3_mmT4_T5_P12ihipStream_tbEUlRKxE_EESO_SS_ST_mSU_SX_bEUlT_E_NS1_11comp_targetILNS1_3genE0ELNS1_11target_archE4294967295ELNS1_3gpuE0ELNS1_3repE0EEENS1_30default_config_static_selectorELNS0_4arch9wavefront6targetE1EEEvSR_,@function
_ZN7rocprim17ROCPRIM_400000_NS6detail17trampoline_kernelINS0_14default_configENS1_27lower_bound_config_selectorIxN6thrust23THRUST_200600_302600_NS6detail10any_assignEEEZNS1_14transform_implILb0ES3_S9_NS7_15normal_iteratorINS6_10device_ptrIxEEEENS6_16discard_iteratorINS6_11use_defaultEEEZNS1_13binary_searchIS3_S9_SE_SE_SH_NS1_21lower_bound_search_opENS7_16wrapped_functionINS0_4lessIvEEbEEEE10hipError_tPvRmT1_T2_T3_mmT4_T5_P12ihipStream_tbEUlRKxE_EESO_SS_ST_mSU_SX_bEUlT_E_NS1_11comp_targetILNS1_3genE0ELNS1_11target_archE4294967295ELNS1_3gpuE0ELNS1_3repE0EEENS1_30default_config_static_selectorELNS0_4arch9wavefront6targetE1EEEvSR_: ; @_ZN7rocprim17ROCPRIM_400000_NS6detail17trampoline_kernelINS0_14default_configENS1_27lower_bound_config_selectorIxN6thrust23THRUST_200600_302600_NS6detail10any_assignEEEZNS1_14transform_implILb0ES3_S9_NS7_15normal_iteratorINS6_10device_ptrIxEEEENS6_16discard_iteratorINS6_11use_defaultEEEZNS1_13binary_searchIS3_S9_SE_SE_SH_NS1_21lower_bound_search_opENS7_16wrapped_functionINS0_4lessIvEEbEEEE10hipError_tPvRmT1_T2_T3_mmT4_T5_P12ihipStream_tbEUlRKxE_EESO_SS_ST_mSU_SX_bEUlT_E_NS1_11comp_targetILNS1_3genE0ELNS1_11target_archE4294967295ELNS1_3gpuE0ELNS1_3repE0EEENS1_30default_config_static_selectorELNS0_4arch9wavefront6targetE1EEEvSR_
; %bb.0:
	.section	.rodata,"a",@progbits
	.p2align	6, 0x0
	.amdhsa_kernel _ZN7rocprim17ROCPRIM_400000_NS6detail17trampoline_kernelINS0_14default_configENS1_27lower_bound_config_selectorIxN6thrust23THRUST_200600_302600_NS6detail10any_assignEEEZNS1_14transform_implILb0ES3_S9_NS7_15normal_iteratorINS6_10device_ptrIxEEEENS6_16discard_iteratorINS6_11use_defaultEEEZNS1_13binary_searchIS3_S9_SE_SE_SH_NS1_21lower_bound_search_opENS7_16wrapped_functionINS0_4lessIvEEbEEEE10hipError_tPvRmT1_T2_T3_mmT4_T5_P12ihipStream_tbEUlRKxE_EESO_SS_ST_mSU_SX_bEUlT_E_NS1_11comp_targetILNS1_3genE0ELNS1_11target_archE4294967295ELNS1_3gpuE0ELNS1_3repE0EEENS1_30default_config_static_selectorELNS0_4arch9wavefront6targetE1EEEvSR_
		.amdhsa_group_segment_fixed_size 0
		.amdhsa_private_segment_fixed_size 0
		.amdhsa_kernarg_size 64
		.amdhsa_user_sgpr_count 6
		.amdhsa_user_sgpr_private_segment_buffer 1
		.amdhsa_user_sgpr_dispatch_ptr 0
		.amdhsa_user_sgpr_queue_ptr 0
		.amdhsa_user_sgpr_kernarg_segment_ptr 1
		.amdhsa_user_sgpr_dispatch_id 0
		.amdhsa_user_sgpr_flat_scratch_init 0
		.amdhsa_user_sgpr_kernarg_preload_length 0
		.amdhsa_user_sgpr_kernarg_preload_offset 0
		.amdhsa_user_sgpr_private_segment_size 0
		.amdhsa_uses_dynamic_stack 0
		.amdhsa_system_sgpr_private_segment_wavefront_offset 0
		.amdhsa_system_sgpr_workgroup_id_x 1
		.amdhsa_system_sgpr_workgroup_id_y 0
		.amdhsa_system_sgpr_workgroup_id_z 0
		.amdhsa_system_sgpr_workgroup_info 0
		.amdhsa_system_vgpr_workitem_id 0
		.amdhsa_next_free_vgpr 1
		.amdhsa_next_free_sgpr 0
		.amdhsa_accum_offset 4
		.amdhsa_reserve_vcc 0
		.amdhsa_reserve_flat_scratch 0
		.amdhsa_float_round_mode_32 0
		.amdhsa_float_round_mode_16_64 0
		.amdhsa_float_denorm_mode_32 3
		.amdhsa_float_denorm_mode_16_64 3
		.amdhsa_dx10_clamp 1
		.amdhsa_ieee_mode 1
		.amdhsa_fp16_overflow 0
		.amdhsa_tg_split 0
		.amdhsa_exception_fp_ieee_invalid_op 0
		.amdhsa_exception_fp_denorm_src 0
		.amdhsa_exception_fp_ieee_div_zero 0
		.amdhsa_exception_fp_ieee_overflow 0
		.amdhsa_exception_fp_ieee_underflow 0
		.amdhsa_exception_fp_ieee_inexact 0
		.amdhsa_exception_int_div_zero 0
	.end_amdhsa_kernel
	.section	.text._ZN7rocprim17ROCPRIM_400000_NS6detail17trampoline_kernelINS0_14default_configENS1_27lower_bound_config_selectorIxN6thrust23THRUST_200600_302600_NS6detail10any_assignEEEZNS1_14transform_implILb0ES3_S9_NS7_15normal_iteratorINS6_10device_ptrIxEEEENS6_16discard_iteratorINS6_11use_defaultEEEZNS1_13binary_searchIS3_S9_SE_SE_SH_NS1_21lower_bound_search_opENS7_16wrapped_functionINS0_4lessIvEEbEEEE10hipError_tPvRmT1_T2_T3_mmT4_T5_P12ihipStream_tbEUlRKxE_EESO_SS_ST_mSU_SX_bEUlT_E_NS1_11comp_targetILNS1_3genE0ELNS1_11target_archE4294967295ELNS1_3gpuE0ELNS1_3repE0EEENS1_30default_config_static_selectorELNS0_4arch9wavefront6targetE1EEEvSR_,"axG",@progbits,_ZN7rocprim17ROCPRIM_400000_NS6detail17trampoline_kernelINS0_14default_configENS1_27lower_bound_config_selectorIxN6thrust23THRUST_200600_302600_NS6detail10any_assignEEEZNS1_14transform_implILb0ES3_S9_NS7_15normal_iteratorINS6_10device_ptrIxEEEENS6_16discard_iteratorINS6_11use_defaultEEEZNS1_13binary_searchIS3_S9_SE_SE_SH_NS1_21lower_bound_search_opENS7_16wrapped_functionINS0_4lessIvEEbEEEE10hipError_tPvRmT1_T2_T3_mmT4_T5_P12ihipStream_tbEUlRKxE_EESO_SS_ST_mSU_SX_bEUlT_E_NS1_11comp_targetILNS1_3genE0ELNS1_11target_archE4294967295ELNS1_3gpuE0ELNS1_3repE0EEENS1_30default_config_static_selectorELNS0_4arch9wavefront6targetE1EEEvSR_,comdat
.Lfunc_end546:
	.size	_ZN7rocprim17ROCPRIM_400000_NS6detail17trampoline_kernelINS0_14default_configENS1_27lower_bound_config_selectorIxN6thrust23THRUST_200600_302600_NS6detail10any_assignEEEZNS1_14transform_implILb0ES3_S9_NS7_15normal_iteratorINS6_10device_ptrIxEEEENS6_16discard_iteratorINS6_11use_defaultEEEZNS1_13binary_searchIS3_S9_SE_SE_SH_NS1_21lower_bound_search_opENS7_16wrapped_functionINS0_4lessIvEEbEEEE10hipError_tPvRmT1_T2_T3_mmT4_T5_P12ihipStream_tbEUlRKxE_EESO_SS_ST_mSU_SX_bEUlT_E_NS1_11comp_targetILNS1_3genE0ELNS1_11target_archE4294967295ELNS1_3gpuE0ELNS1_3repE0EEENS1_30default_config_static_selectorELNS0_4arch9wavefront6targetE1EEEvSR_, .Lfunc_end546-_ZN7rocprim17ROCPRIM_400000_NS6detail17trampoline_kernelINS0_14default_configENS1_27lower_bound_config_selectorIxN6thrust23THRUST_200600_302600_NS6detail10any_assignEEEZNS1_14transform_implILb0ES3_S9_NS7_15normal_iteratorINS6_10device_ptrIxEEEENS6_16discard_iteratorINS6_11use_defaultEEEZNS1_13binary_searchIS3_S9_SE_SE_SH_NS1_21lower_bound_search_opENS7_16wrapped_functionINS0_4lessIvEEbEEEE10hipError_tPvRmT1_T2_T3_mmT4_T5_P12ihipStream_tbEUlRKxE_EESO_SS_ST_mSU_SX_bEUlT_E_NS1_11comp_targetILNS1_3genE0ELNS1_11target_archE4294967295ELNS1_3gpuE0ELNS1_3repE0EEENS1_30default_config_static_selectorELNS0_4arch9wavefront6targetE1EEEvSR_
                                        ; -- End function
	.section	.AMDGPU.csdata,"",@progbits
; Kernel info:
; codeLenInByte = 0
; NumSgprs: 4
; NumVgprs: 0
; NumAgprs: 0
; TotalNumVgprs: 0
; ScratchSize: 0
; MemoryBound: 0
; FloatMode: 240
; IeeeMode: 1
; LDSByteSize: 0 bytes/workgroup (compile time only)
; SGPRBlocks: 0
; VGPRBlocks: 0
; NumSGPRsForWavesPerEU: 4
; NumVGPRsForWavesPerEU: 1
; AccumOffset: 4
; Occupancy: 8
; WaveLimiterHint : 0
; COMPUTE_PGM_RSRC2:SCRATCH_EN: 0
; COMPUTE_PGM_RSRC2:USER_SGPR: 6
; COMPUTE_PGM_RSRC2:TRAP_HANDLER: 0
; COMPUTE_PGM_RSRC2:TGID_X_EN: 1
; COMPUTE_PGM_RSRC2:TGID_Y_EN: 0
; COMPUTE_PGM_RSRC2:TGID_Z_EN: 0
; COMPUTE_PGM_RSRC2:TIDIG_COMP_CNT: 0
; COMPUTE_PGM_RSRC3_GFX90A:ACCUM_OFFSET: 0
; COMPUTE_PGM_RSRC3_GFX90A:TG_SPLIT: 0
	.section	.text._ZN7rocprim17ROCPRIM_400000_NS6detail17trampoline_kernelINS0_14default_configENS1_27lower_bound_config_selectorIxN6thrust23THRUST_200600_302600_NS6detail10any_assignEEEZNS1_14transform_implILb0ES3_S9_NS7_15normal_iteratorINS6_10device_ptrIxEEEENS6_16discard_iteratorINS6_11use_defaultEEEZNS1_13binary_searchIS3_S9_SE_SE_SH_NS1_21lower_bound_search_opENS7_16wrapped_functionINS0_4lessIvEEbEEEE10hipError_tPvRmT1_T2_T3_mmT4_T5_P12ihipStream_tbEUlRKxE_EESO_SS_ST_mSU_SX_bEUlT_E_NS1_11comp_targetILNS1_3genE5ELNS1_11target_archE942ELNS1_3gpuE9ELNS1_3repE0EEENS1_30default_config_static_selectorELNS0_4arch9wavefront6targetE1EEEvSR_,"axG",@progbits,_ZN7rocprim17ROCPRIM_400000_NS6detail17trampoline_kernelINS0_14default_configENS1_27lower_bound_config_selectorIxN6thrust23THRUST_200600_302600_NS6detail10any_assignEEEZNS1_14transform_implILb0ES3_S9_NS7_15normal_iteratorINS6_10device_ptrIxEEEENS6_16discard_iteratorINS6_11use_defaultEEEZNS1_13binary_searchIS3_S9_SE_SE_SH_NS1_21lower_bound_search_opENS7_16wrapped_functionINS0_4lessIvEEbEEEE10hipError_tPvRmT1_T2_T3_mmT4_T5_P12ihipStream_tbEUlRKxE_EESO_SS_ST_mSU_SX_bEUlT_E_NS1_11comp_targetILNS1_3genE5ELNS1_11target_archE942ELNS1_3gpuE9ELNS1_3repE0EEENS1_30default_config_static_selectorELNS0_4arch9wavefront6targetE1EEEvSR_,comdat
	.protected	_ZN7rocprim17ROCPRIM_400000_NS6detail17trampoline_kernelINS0_14default_configENS1_27lower_bound_config_selectorIxN6thrust23THRUST_200600_302600_NS6detail10any_assignEEEZNS1_14transform_implILb0ES3_S9_NS7_15normal_iteratorINS6_10device_ptrIxEEEENS6_16discard_iteratorINS6_11use_defaultEEEZNS1_13binary_searchIS3_S9_SE_SE_SH_NS1_21lower_bound_search_opENS7_16wrapped_functionINS0_4lessIvEEbEEEE10hipError_tPvRmT1_T2_T3_mmT4_T5_P12ihipStream_tbEUlRKxE_EESO_SS_ST_mSU_SX_bEUlT_E_NS1_11comp_targetILNS1_3genE5ELNS1_11target_archE942ELNS1_3gpuE9ELNS1_3repE0EEENS1_30default_config_static_selectorELNS0_4arch9wavefront6targetE1EEEvSR_ ; -- Begin function _ZN7rocprim17ROCPRIM_400000_NS6detail17trampoline_kernelINS0_14default_configENS1_27lower_bound_config_selectorIxN6thrust23THRUST_200600_302600_NS6detail10any_assignEEEZNS1_14transform_implILb0ES3_S9_NS7_15normal_iteratorINS6_10device_ptrIxEEEENS6_16discard_iteratorINS6_11use_defaultEEEZNS1_13binary_searchIS3_S9_SE_SE_SH_NS1_21lower_bound_search_opENS7_16wrapped_functionINS0_4lessIvEEbEEEE10hipError_tPvRmT1_T2_T3_mmT4_T5_P12ihipStream_tbEUlRKxE_EESO_SS_ST_mSU_SX_bEUlT_E_NS1_11comp_targetILNS1_3genE5ELNS1_11target_archE942ELNS1_3gpuE9ELNS1_3repE0EEENS1_30default_config_static_selectorELNS0_4arch9wavefront6targetE1EEEvSR_
	.globl	_ZN7rocprim17ROCPRIM_400000_NS6detail17trampoline_kernelINS0_14default_configENS1_27lower_bound_config_selectorIxN6thrust23THRUST_200600_302600_NS6detail10any_assignEEEZNS1_14transform_implILb0ES3_S9_NS7_15normal_iteratorINS6_10device_ptrIxEEEENS6_16discard_iteratorINS6_11use_defaultEEEZNS1_13binary_searchIS3_S9_SE_SE_SH_NS1_21lower_bound_search_opENS7_16wrapped_functionINS0_4lessIvEEbEEEE10hipError_tPvRmT1_T2_T3_mmT4_T5_P12ihipStream_tbEUlRKxE_EESO_SS_ST_mSU_SX_bEUlT_E_NS1_11comp_targetILNS1_3genE5ELNS1_11target_archE942ELNS1_3gpuE9ELNS1_3repE0EEENS1_30default_config_static_selectorELNS0_4arch9wavefront6targetE1EEEvSR_
	.p2align	8
	.type	_ZN7rocprim17ROCPRIM_400000_NS6detail17trampoline_kernelINS0_14default_configENS1_27lower_bound_config_selectorIxN6thrust23THRUST_200600_302600_NS6detail10any_assignEEEZNS1_14transform_implILb0ES3_S9_NS7_15normal_iteratorINS6_10device_ptrIxEEEENS6_16discard_iteratorINS6_11use_defaultEEEZNS1_13binary_searchIS3_S9_SE_SE_SH_NS1_21lower_bound_search_opENS7_16wrapped_functionINS0_4lessIvEEbEEEE10hipError_tPvRmT1_T2_T3_mmT4_T5_P12ihipStream_tbEUlRKxE_EESO_SS_ST_mSU_SX_bEUlT_E_NS1_11comp_targetILNS1_3genE5ELNS1_11target_archE942ELNS1_3gpuE9ELNS1_3repE0EEENS1_30default_config_static_selectorELNS0_4arch9wavefront6targetE1EEEvSR_,@function
_ZN7rocprim17ROCPRIM_400000_NS6detail17trampoline_kernelINS0_14default_configENS1_27lower_bound_config_selectorIxN6thrust23THRUST_200600_302600_NS6detail10any_assignEEEZNS1_14transform_implILb0ES3_S9_NS7_15normal_iteratorINS6_10device_ptrIxEEEENS6_16discard_iteratorINS6_11use_defaultEEEZNS1_13binary_searchIS3_S9_SE_SE_SH_NS1_21lower_bound_search_opENS7_16wrapped_functionINS0_4lessIvEEbEEEE10hipError_tPvRmT1_T2_T3_mmT4_T5_P12ihipStream_tbEUlRKxE_EESO_SS_ST_mSU_SX_bEUlT_E_NS1_11comp_targetILNS1_3genE5ELNS1_11target_archE942ELNS1_3gpuE9ELNS1_3repE0EEENS1_30default_config_static_selectorELNS0_4arch9wavefront6targetE1EEEvSR_: ; @_ZN7rocprim17ROCPRIM_400000_NS6detail17trampoline_kernelINS0_14default_configENS1_27lower_bound_config_selectorIxN6thrust23THRUST_200600_302600_NS6detail10any_assignEEEZNS1_14transform_implILb0ES3_S9_NS7_15normal_iteratorINS6_10device_ptrIxEEEENS6_16discard_iteratorINS6_11use_defaultEEEZNS1_13binary_searchIS3_S9_SE_SE_SH_NS1_21lower_bound_search_opENS7_16wrapped_functionINS0_4lessIvEEbEEEE10hipError_tPvRmT1_T2_T3_mmT4_T5_P12ihipStream_tbEUlRKxE_EESO_SS_ST_mSU_SX_bEUlT_E_NS1_11comp_targetILNS1_3genE5ELNS1_11target_archE942ELNS1_3gpuE9ELNS1_3repE0EEENS1_30default_config_static_selectorELNS0_4arch9wavefront6targetE1EEEvSR_
; %bb.0:
	.section	.rodata,"a",@progbits
	.p2align	6, 0x0
	.amdhsa_kernel _ZN7rocprim17ROCPRIM_400000_NS6detail17trampoline_kernelINS0_14default_configENS1_27lower_bound_config_selectorIxN6thrust23THRUST_200600_302600_NS6detail10any_assignEEEZNS1_14transform_implILb0ES3_S9_NS7_15normal_iteratorINS6_10device_ptrIxEEEENS6_16discard_iteratorINS6_11use_defaultEEEZNS1_13binary_searchIS3_S9_SE_SE_SH_NS1_21lower_bound_search_opENS7_16wrapped_functionINS0_4lessIvEEbEEEE10hipError_tPvRmT1_T2_T3_mmT4_T5_P12ihipStream_tbEUlRKxE_EESO_SS_ST_mSU_SX_bEUlT_E_NS1_11comp_targetILNS1_3genE5ELNS1_11target_archE942ELNS1_3gpuE9ELNS1_3repE0EEENS1_30default_config_static_selectorELNS0_4arch9wavefront6targetE1EEEvSR_
		.amdhsa_group_segment_fixed_size 0
		.amdhsa_private_segment_fixed_size 0
		.amdhsa_kernarg_size 64
		.amdhsa_user_sgpr_count 6
		.amdhsa_user_sgpr_private_segment_buffer 1
		.amdhsa_user_sgpr_dispatch_ptr 0
		.amdhsa_user_sgpr_queue_ptr 0
		.amdhsa_user_sgpr_kernarg_segment_ptr 1
		.amdhsa_user_sgpr_dispatch_id 0
		.amdhsa_user_sgpr_flat_scratch_init 0
		.amdhsa_user_sgpr_kernarg_preload_length 0
		.amdhsa_user_sgpr_kernarg_preload_offset 0
		.amdhsa_user_sgpr_private_segment_size 0
		.amdhsa_uses_dynamic_stack 0
		.amdhsa_system_sgpr_private_segment_wavefront_offset 0
		.amdhsa_system_sgpr_workgroup_id_x 1
		.amdhsa_system_sgpr_workgroup_id_y 0
		.amdhsa_system_sgpr_workgroup_id_z 0
		.amdhsa_system_sgpr_workgroup_info 0
		.amdhsa_system_vgpr_workitem_id 0
		.amdhsa_next_free_vgpr 1
		.amdhsa_next_free_sgpr 0
		.amdhsa_accum_offset 4
		.amdhsa_reserve_vcc 0
		.amdhsa_reserve_flat_scratch 0
		.amdhsa_float_round_mode_32 0
		.amdhsa_float_round_mode_16_64 0
		.amdhsa_float_denorm_mode_32 3
		.amdhsa_float_denorm_mode_16_64 3
		.amdhsa_dx10_clamp 1
		.amdhsa_ieee_mode 1
		.amdhsa_fp16_overflow 0
		.amdhsa_tg_split 0
		.amdhsa_exception_fp_ieee_invalid_op 0
		.amdhsa_exception_fp_denorm_src 0
		.amdhsa_exception_fp_ieee_div_zero 0
		.amdhsa_exception_fp_ieee_overflow 0
		.amdhsa_exception_fp_ieee_underflow 0
		.amdhsa_exception_fp_ieee_inexact 0
		.amdhsa_exception_int_div_zero 0
	.end_amdhsa_kernel
	.section	.text._ZN7rocprim17ROCPRIM_400000_NS6detail17trampoline_kernelINS0_14default_configENS1_27lower_bound_config_selectorIxN6thrust23THRUST_200600_302600_NS6detail10any_assignEEEZNS1_14transform_implILb0ES3_S9_NS7_15normal_iteratorINS6_10device_ptrIxEEEENS6_16discard_iteratorINS6_11use_defaultEEEZNS1_13binary_searchIS3_S9_SE_SE_SH_NS1_21lower_bound_search_opENS7_16wrapped_functionINS0_4lessIvEEbEEEE10hipError_tPvRmT1_T2_T3_mmT4_T5_P12ihipStream_tbEUlRKxE_EESO_SS_ST_mSU_SX_bEUlT_E_NS1_11comp_targetILNS1_3genE5ELNS1_11target_archE942ELNS1_3gpuE9ELNS1_3repE0EEENS1_30default_config_static_selectorELNS0_4arch9wavefront6targetE1EEEvSR_,"axG",@progbits,_ZN7rocprim17ROCPRIM_400000_NS6detail17trampoline_kernelINS0_14default_configENS1_27lower_bound_config_selectorIxN6thrust23THRUST_200600_302600_NS6detail10any_assignEEEZNS1_14transform_implILb0ES3_S9_NS7_15normal_iteratorINS6_10device_ptrIxEEEENS6_16discard_iteratorINS6_11use_defaultEEEZNS1_13binary_searchIS3_S9_SE_SE_SH_NS1_21lower_bound_search_opENS7_16wrapped_functionINS0_4lessIvEEbEEEE10hipError_tPvRmT1_T2_T3_mmT4_T5_P12ihipStream_tbEUlRKxE_EESO_SS_ST_mSU_SX_bEUlT_E_NS1_11comp_targetILNS1_3genE5ELNS1_11target_archE942ELNS1_3gpuE9ELNS1_3repE0EEENS1_30default_config_static_selectorELNS0_4arch9wavefront6targetE1EEEvSR_,comdat
.Lfunc_end547:
	.size	_ZN7rocprim17ROCPRIM_400000_NS6detail17trampoline_kernelINS0_14default_configENS1_27lower_bound_config_selectorIxN6thrust23THRUST_200600_302600_NS6detail10any_assignEEEZNS1_14transform_implILb0ES3_S9_NS7_15normal_iteratorINS6_10device_ptrIxEEEENS6_16discard_iteratorINS6_11use_defaultEEEZNS1_13binary_searchIS3_S9_SE_SE_SH_NS1_21lower_bound_search_opENS7_16wrapped_functionINS0_4lessIvEEbEEEE10hipError_tPvRmT1_T2_T3_mmT4_T5_P12ihipStream_tbEUlRKxE_EESO_SS_ST_mSU_SX_bEUlT_E_NS1_11comp_targetILNS1_3genE5ELNS1_11target_archE942ELNS1_3gpuE9ELNS1_3repE0EEENS1_30default_config_static_selectorELNS0_4arch9wavefront6targetE1EEEvSR_, .Lfunc_end547-_ZN7rocprim17ROCPRIM_400000_NS6detail17trampoline_kernelINS0_14default_configENS1_27lower_bound_config_selectorIxN6thrust23THRUST_200600_302600_NS6detail10any_assignEEEZNS1_14transform_implILb0ES3_S9_NS7_15normal_iteratorINS6_10device_ptrIxEEEENS6_16discard_iteratorINS6_11use_defaultEEEZNS1_13binary_searchIS3_S9_SE_SE_SH_NS1_21lower_bound_search_opENS7_16wrapped_functionINS0_4lessIvEEbEEEE10hipError_tPvRmT1_T2_T3_mmT4_T5_P12ihipStream_tbEUlRKxE_EESO_SS_ST_mSU_SX_bEUlT_E_NS1_11comp_targetILNS1_3genE5ELNS1_11target_archE942ELNS1_3gpuE9ELNS1_3repE0EEENS1_30default_config_static_selectorELNS0_4arch9wavefront6targetE1EEEvSR_
                                        ; -- End function
	.section	.AMDGPU.csdata,"",@progbits
; Kernel info:
; codeLenInByte = 0
; NumSgprs: 4
; NumVgprs: 0
; NumAgprs: 0
; TotalNumVgprs: 0
; ScratchSize: 0
; MemoryBound: 0
; FloatMode: 240
; IeeeMode: 1
; LDSByteSize: 0 bytes/workgroup (compile time only)
; SGPRBlocks: 0
; VGPRBlocks: 0
; NumSGPRsForWavesPerEU: 4
; NumVGPRsForWavesPerEU: 1
; AccumOffset: 4
; Occupancy: 8
; WaveLimiterHint : 0
; COMPUTE_PGM_RSRC2:SCRATCH_EN: 0
; COMPUTE_PGM_RSRC2:USER_SGPR: 6
; COMPUTE_PGM_RSRC2:TRAP_HANDLER: 0
; COMPUTE_PGM_RSRC2:TGID_X_EN: 1
; COMPUTE_PGM_RSRC2:TGID_Y_EN: 0
; COMPUTE_PGM_RSRC2:TGID_Z_EN: 0
; COMPUTE_PGM_RSRC2:TIDIG_COMP_CNT: 0
; COMPUTE_PGM_RSRC3_GFX90A:ACCUM_OFFSET: 0
; COMPUTE_PGM_RSRC3_GFX90A:TG_SPLIT: 0
	.section	.text._ZN7rocprim17ROCPRIM_400000_NS6detail17trampoline_kernelINS0_14default_configENS1_27lower_bound_config_selectorIxN6thrust23THRUST_200600_302600_NS6detail10any_assignEEEZNS1_14transform_implILb0ES3_S9_NS7_15normal_iteratorINS6_10device_ptrIxEEEENS6_16discard_iteratorINS6_11use_defaultEEEZNS1_13binary_searchIS3_S9_SE_SE_SH_NS1_21lower_bound_search_opENS7_16wrapped_functionINS0_4lessIvEEbEEEE10hipError_tPvRmT1_T2_T3_mmT4_T5_P12ihipStream_tbEUlRKxE_EESO_SS_ST_mSU_SX_bEUlT_E_NS1_11comp_targetILNS1_3genE4ELNS1_11target_archE910ELNS1_3gpuE8ELNS1_3repE0EEENS1_30default_config_static_selectorELNS0_4arch9wavefront6targetE1EEEvSR_,"axG",@progbits,_ZN7rocprim17ROCPRIM_400000_NS6detail17trampoline_kernelINS0_14default_configENS1_27lower_bound_config_selectorIxN6thrust23THRUST_200600_302600_NS6detail10any_assignEEEZNS1_14transform_implILb0ES3_S9_NS7_15normal_iteratorINS6_10device_ptrIxEEEENS6_16discard_iteratorINS6_11use_defaultEEEZNS1_13binary_searchIS3_S9_SE_SE_SH_NS1_21lower_bound_search_opENS7_16wrapped_functionINS0_4lessIvEEbEEEE10hipError_tPvRmT1_T2_T3_mmT4_T5_P12ihipStream_tbEUlRKxE_EESO_SS_ST_mSU_SX_bEUlT_E_NS1_11comp_targetILNS1_3genE4ELNS1_11target_archE910ELNS1_3gpuE8ELNS1_3repE0EEENS1_30default_config_static_selectorELNS0_4arch9wavefront6targetE1EEEvSR_,comdat
	.protected	_ZN7rocprim17ROCPRIM_400000_NS6detail17trampoline_kernelINS0_14default_configENS1_27lower_bound_config_selectorIxN6thrust23THRUST_200600_302600_NS6detail10any_assignEEEZNS1_14transform_implILb0ES3_S9_NS7_15normal_iteratorINS6_10device_ptrIxEEEENS6_16discard_iteratorINS6_11use_defaultEEEZNS1_13binary_searchIS3_S9_SE_SE_SH_NS1_21lower_bound_search_opENS7_16wrapped_functionINS0_4lessIvEEbEEEE10hipError_tPvRmT1_T2_T3_mmT4_T5_P12ihipStream_tbEUlRKxE_EESO_SS_ST_mSU_SX_bEUlT_E_NS1_11comp_targetILNS1_3genE4ELNS1_11target_archE910ELNS1_3gpuE8ELNS1_3repE0EEENS1_30default_config_static_selectorELNS0_4arch9wavefront6targetE1EEEvSR_ ; -- Begin function _ZN7rocprim17ROCPRIM_400000_NS6detail17trampoline_kernelINS0_14default_configENS1_27lower_bound_config_selectorIxN6thrust23THRUST_200600_302600_NS6detail10any_assignEEEZNS1_14transform_implILb0ES3_S9_NS7_15normal_iteratorINS6_10device_ptrIxEEEENS6_16discard_iteratorINS6_11use_defaultEEEZNS1_13binary_searchIS3_S9_SE_SE_SH_NS1_21lower_bound_search_opENS7_16wrapped_functionINS0_4lessIvEEbEEEE10hipError_tPvRmT1_T2_T3_mmT4_T5_P12ihipStream_tbEUlRKxE_EESO_SS_ST_mSU_SX_bEUlT_E_NS1_11comp_targetILNS1_3genE4ELNS1_11target_archE910ELNS1_3gpuE8ELNS1_3repE0EEENS1_30default_config_static_selectorELNS0_4arch9wavefront6targetE1EEEvSR_
	.globl	_ZN7rocprim17ROCPRIM_400000_NS6detail17trampoline_kernelINS0_14default_configENS1_27lower_bound_config_selectorIxN6thrust23THRUST_200600_302600_NS6detail10any_assignEEEZNS1_14transform_implILb0ES3_S9_NS7_15normal_iteratorINS6_10device_ptrIxEEEENS6_16discard_iteratorINS6_11use_defaultEEEZNS1_13binary_searchIS3_S9_SE_SE_SH_NS1_21lower_bound_search_opENS7_16wrapped_functionINS0_4lessIvEEbEEEE10hipError_tPvRmT1_T2_T3_mmT4_T5_P12ihipStream_tbEUlRKxE_EESO_SS_ST_mSU_SX_bEUlT_E_NS1_11comp_targetILNS1_3genE4ELNS1_11target_archE910ELNS1_3gpuE8ELNS1_3repE0EEENS1_30default_config_static_selectorELNS0_4arch9wavefront6targetE1EEEvSR_
	.p2align	8
	.type	_ZN7rocprim17ROCPRIM_400000_NS6detail17trampoline_kernelINS0_14default_configENS1_27lower_bound_config_selectorIxN6thrust23THRUST_200600_302600_NS6detail10any_assignEEEZNS1_14transform_implILb0ES3_S9_NS7_15normal_iteratorINS6_10device_ptrIxEEEENS6_16discard_iteratorINS6_11use_defaultEEEZNS1_13binary_searchIS3_S9_SE_SE_SH_NS1_21lower_bound_search_opENS7_16wrapped_functionINS0_4lessIvEEbEEEE10hipError_tPvRmT1_T2_T3_mmT4_T5_P12ihipStream_tbEUlRKxE_EESO_SS_ST_mSU_SX_bEUlT_E_NS1_11comp_targetILNS1_3genE4ELNS1_11target_archE910ELNS1_3gpuE8ELNS1_3repE0EEENS1_30default_config_static_selectorELNS0_4arch9wavefront6targetE1EEEvSR_,@function
_ZN7rocprim17ROCPRIM_400000_NS6detail17trampoline_kernelINS0_14default_configENS1_27lower_bound_config_selectorIxN6thrust23THRUST_200600_302600_NS6detail10any_assignEEEZNS1_14transform_implILb0ES3_S9_NS7_15normal_iteratorINS6_10device_ptrIxEEEENS6_16discard_iteratorINS6_11use_defaultEEEZNS1_13binary_searchIS3_S9_SE_SE_SH_NS1_21lower_bound_search_opENS7_16wrapped_functionINS0_4lessIvEEbEEEE10hipError_tPvRmT1_T2_T3_mmT4_T5_P12ihipStream_tbEUlRKxE_EESO_SS_ST_mSU_SX_bEUlT_E_NS1_11comp_targetILNS1_3genE4ELNS1_11target_archE910ELNS1_3gpuE8ELNS1_3repE0EEENS1_30default_config_static_selectorELNS0_4arch9wavefront6targetE1EEEvSR_: ; @_ZN7rocprim17ROCPRIM_400000_NS6detail17trampoline_kernelINS0_14default_configENS1_27lower_bound_config_selectorIxN6thrust23THRUST_200600_302600_NS6detail10any_assignEEEZNS1_14transform_implILb0ES3_S9_NS7_15normal_iteratorINS6_10device_ptrIxEEEENS6_16discard_iteratorINS6_11use_defaultEEEZNS1_13binary_searchIS3_S9_SE_SE_SH_NS1_21lower_bound_search_opENS7_16wrapped_functionINS0_4lessIvEEbEEEE10hipError_tPvRmT1_T2_T3_mmT4_T5_P12ihipStream_tbEUlRKxE_EESO_SS_ST_mSU_SX_bEUlT_E_NS1_11comp_targetILNS1_3genE4ELNS1_11target_archE910ELNS1_3gpuE8ELNS1_3repE0EEENS1_30default_config_static_selectorELNS0_4arch9wavefront6targetE1EEEvSR_
; %bb.0:
	s_endpgm
	.section	.rodata,"a",@progbits
	.p2align	6, 0x0
	.amdhsa_kernel _ZN7rocprim17ROCPRIM_400000_NS6detail17trampoline_kernelINS0_14default_configENS1_27lower_bound_config_selectorIxN6thrust23THRUST_200600_302600_NS6detail10any_assignEEEZNS1_14transform_implILb0ES3_S9_NS7_15normal_iteratorINS6_10device_ptrIxEEEENS6_16discard_iteratorINS6_11use_defaultEEEZNS1_13binary_searchIS3_S9_SE_SE_SH_NS1_21lower_bound_search_opENS7_16wrapped_functionINS0_4lessIvEEbEEEE10hipError_tPvRmT1_T2_T3_mmT4_T5_P12ihipStream_tbEUlRKxE_EESO_SS_ST_mSU_SX_bEUlT_E_NS1_11comp_targetILNS1_3genE4ELNS1_11target_archE910ELNS1_3gpuE8ELNS1_3repE0EEENS1_30default_config_static_selectorELNS0_4arch9wavefront6targetE1EEEvSR_
		.amdhsa_group_segment_fixed_size 0
		.amdhsa_private_segment_fixed_size 0
		.amdhsa_kernarg_size 64
		.amdhsa_user_sgpr_count 6
		.amdhsa_user_sgpr_private_segment_buffer 1
		.amdhsa_user_sgpr_dispatch_ptr 0
		.amdhsa_user_sgpr_queue_ptr 0
		.amdhsa_user_sgpr_kernarg_segment_ptr 1
		.amdhsa_user_sgpr_dispatch_id 0
		.amdhsa_user_sgpr_flat_scratch_init 0
		.amdhsa_user_sgpr_kernarg_preload_length 0
		.amdhsa_user_sgpr_kernarg_preload_offset 0
		.amdhsa_user_sgpr_private_segment_size 0
		.amdhsa_uses_dynamic_stack 0
		.amdhsa_system_sgpr_private_segment_wavefront_offset 0
		.amdhsa_system_sgpr_workgroup_id_x 1
		.amdhsa_system_sgpr_workgroup_id_y 0
		.amdhsa_system_sgpr_workgroup_id_z 0
		.amdhsa_system_sgpr_workgroup_info 0
		.amdhsa_system_vgpr_workitem_id 0
		.amdhsa_next_free_vgpr 1
		.amdhsa_next_free_sgpr 0
		.amdhsa_accum_offset 4
		.amdhsa_reserve_vcc 0
		.amdhsa_reserve_flat_scratch 0
		.amdhsa_float_round_mode_32 0
		.amdhsa_float_round_mode_16_64 0
		.amdhsa_float_denorm_mode_32 3
		.amdhsa_float_denorm_mode_16_64 3
		.amdhsa_dx10_clamp 1
		.amdhsa_ieee_mode 1
		.amdhsa_fp16_overflow 0
		.amdhsa_tg_split 0
		.amdhsa_exception_fp_ieee_invalid_op 0
		.amdhsa_exception_fp_denorm_src 0
		.amdhsa_exception_fp_ieee_div_zero 0
		.amdhsa_exception_fp_ieee_overflow 0
		.amdhsa_exception_fp_ieee_underflow 0
		.amdhsa_exception_fp_ieee_inexact 0
		.amdhsa_exception_int_div_zero 0
	.end_amdhsa_kernel
	.section	.text._ZN7rocprim17ROCPRIM_400000_NS6detail17trampoline_kernelINS0_14default_configENS1_27lower_bound_config_selectorIxN6thrust23THRUST_200600_302600_NS6detail10any_assignEEEZNS1_14transform_implILb0ES3_S9_NS7_15normal_iteratorINS6_10device_ptrIxEEEENS6_16discard_iteratorINS6_11use_defaultEEEZNS1_13binary_searchIS3_S9_SE_SE_SH_NS1_21lower_bound_search_opENS7_16wrapped_functionINS0_4lessIvEEbEEEE10hipError_tPvRmT1_T2_T3_mmT4_T5_P12ihipStream_tbEUlRKxE_EESO_SS_ST_mSU_SX_bEUlT_E_NS1_11comp_targetILNS1_3genE4ELNS1_11target_archE910ELNS1_3gpuE8ELNS1_3repE0EEENS1_30default_config_static_selectorELNS0_4arch9wavefront6targetE1EEEvSR_,"axG",@progbits,_ZN7rocprim17ROCPRIM_400000_NS6detail17trampoline_kernelINS0_14default_configENS1_27lower_bound_config_selectorIxN6thrust23THRUST_200600_302600_NS6detail10any_assignEEEZNS1_14transform_implILb0ES3_S9_NS7_15normal_iteratorINS6_10device_ptrIxEEEENS6_16discard_iteratorINS6_11use_defaultEEEZNS1_13binary_searchIS3_S9_SE_SE_SH_NS1_21lower_bound_search_opENS7_16wrapped_functionINS0_4lessIvEEbEEEE10hipError_tPvRmT1_T2_T3_mmT4_T5_P12ihipStream_tbEUlRKxE_EESO_SS_ST_mSU_SX_bEUlT_E_NS1_11comp_targetILNS1_3genE4ELNS1_11target_archE910ELNS1_3gpuE8ELNS1_3repE0EEENS1_30default_config_static_selectorELNS0_4arch9wavefront6targetE1EEEvSR_,comdat
.Lfunc_end548:
	.size	_ZN7rocprim17ROCPRIM_400000_NS6detail17trampoline_kernelINS0_14default_configENS1_27lower_bound_config_selectorIxN6thrust23THRUST_200600_302600_NS6detail10any_assignEEEZNS1_14transform_implILb0ES3_S9_NS7_15normal_iteratorINS6_10device_ptrIxEEEENS6_16discard_iteratorINS6_11use_defaultEEEZNS1_13binary_searchIS3_S9_SE_SE_SH_NS1_21lower_bound_search_opENS7_16wrapped_functionINS0_4lessIvEEbEEEE10hipError_tPvRmT1_T2_T3_mmT4_T5_P12ihipStream_tbEUlRKxE_EESO_SS_ST_mSU_SX_bEUlT_E_NS1_11comp_targetILNS1_3genE4ELNS1_11target_archE910ELNS1_3gpuE8ELNS1_3repE0EEENS1_30default_config_static_selectorELNS0_4arch9wavefront6targetE1EEEvSR_, .Lfunc_end548-_ZN7rocprim17ROCPRIM_400000_NS6detail17trampoline_kernelINS0_14default_configENS1_27lower_bound_config_selectorIxN6thrust23THRUST_200600_302600_NS6detail10any_assignEEEZNS1_14transform_implILb0ES3_S9_NS7_15normal_iteratorINS6_10device_ptrIxEEEENS6_16discard_iteratorINS6_11use_defaultEEEZNS1_13binary_searchIS3_S9_SE_SE_SH_NS1_21lower_bound_search_opENS7_16wrapped_functionINS0_4lessIvEEbEEEE10hipError_tPvRmT1_T2_T3_mmT4_T5_P12ihipStream_tbEUlRKxE_EESO_SS_ST_mSU_SX_bEUlT_E_NS1_11comp_targetILNS1_3genE4ELNS1_11target_archE910ELNS1_3gpuE8ELNS1_3repE0EEENS1_30default_config_static_selectorELNS0_4arch9wavefront6targetE1EEEvSR_
                                        ; -- End function
	.section	.AMDGPU.csdata,"",@progbits
; Kernel info:
; codeLenInByte = 4
; NumSgprs: 4
; NumVgprs: 0
; NumAgprs: 0
; TotalNumVgprs: 0
; ScratchSize: 0
; MemoryBound: 0
; FloatMode: 240
; IeeeMode: 1
; LDSByteSize: 0 bytes/workgroup (compile time only)
; SGPRBlocks: 0
; VGPRBlocks: 0
; NumSGPRsForWavesPerEU: 4
; NumVGPRsForWavesPerEU: 1
; AccumOffset: 4
; Occupancy: 8
; WaveLimiterHint : 0
; COMPUTE_PGM_RSRC2:SCRATCH_EN: 0
; COMPUTE_PGM_RSRC2:USER_SGPR: 6
; COMPUTE_PGM_RSRC2:TRAP_HANDLER: 0
; COMPUTE_PGM_RSRC2:TGID_X_EN: 1
; COMPUTE_PGM_RSRC2:TGID_Y_EN: 0
; COMPUTE_PGM_RSRC2:TGID_Z_EN: 0
; COMPUTE_PGM_RSRC2:TIDIG_COMP_CNT: 0
; COMPUTE_PGM_RSRC3_GFX90A:ACCUM_OFFSET: 0
; COMPUTE_PGM_RSRC3_GFX90A:TG_SPLIT: 0
	.section	.text._ZN7rocprim17ROCPRIM_400000_NS6detail17trampoline_kernelINS0_14default_configENS1_27lower_bound_config_selectorIxN6thrust23THRUST_200600_302600_NS6detail10any_assignEEEZNS1_14transform_implILb0ES3_S9_NS7_15normal_iteratorINS6_10device_ptrIxEEEENS6_16discard_iteratorINS6_11use_defaultEEEZNS1_13binary_searchIS3_S9_SE_SE_SH_NS1_21lower_bound_search_opENS7_16wrapped_functionINS0_4lessIvEEbEEEE10hipError_tPvRmT1_T2_T3_mmT4_T5_P12ihipStream_tbEUlRKxE_EESO_SS_ST_mSU_SX_bEUlT_E_NS1_11comp_targetILNS1_3genE3ELNS1_11target_archE908ELNS1_3gpuE7ELNS1_3repE0EEENS1_30default_config_static_selectorELNS0_4arch9wavefront6targetE1EEEvSR_,"axG",@progbits,_ZN7rocprim17ROCPRIM_400000_NS6detail17trampoline_kernelINS0_14default_configENS1_27lower_bound_config_selectorIxN6thrust23THRUST_200600_302600_NS6detail10any_assignEEEZNS1_14transform_implILb0ES3_S9_NS7_15normal_iteratorINS6_10device_ptrIxEEEENS6_16discard_iteratorINS6_11use_defaultEEEZNS1_13binary_searchIS3_S9_SE_SE_SH_NS1_21lower_bound_search_opENS7_16wrapped_functionINS0_4lessIvEEbEEEE10hipError_tPvRmT1_T2_T3_mmT4_T5_P12ihipStream_tbEUlRKxE_EESO_SS_ST_mSU_SX_bEUlT_E_NS1_11comp_targetILNS1_3genE3ELNS1_11target_archE908ELNS1_3gpuE7ELNS1_3repE0EEENS1_30default_config_static_selectorELNS0_4arch9wavefront6targetE1EEEvSR_,comdat
	.protected	_ZN7rocprim17ROCPRIM_400000_NS6detail17trampoline_kernelINS0_14default_configENS1_27lower_bound_config_selectorIxN6thrust23THRUST_200600_302600_NS6detail10any_assignEEEZNS1_14transform_implILb0ES3_S9_NS7_15normal_iteratorINS6_10device_ptrIxEEEENS6_16discard_iteratorINS6_11use_defaultEEEZNS1_13binary_searchIS3_S9_SE_SE_SH_NS1_21lower_bound_search_opENS7_16wrapped_functionINS0_4lessIvEEbEEEE10hipError_tPvRmT1_T2_T3_mmT4_T5_P12ihipStream_tbEUlRKxE_EESO_SS_ST_mSU_SX_bEUlT_E_NS1_11comp_targetILNS1_3genE3ELNS1_11target_archE908ELNS1_3gpuE7ELNS1_3repE0EEENS1_30default_config_static_selectorELNS0_4arch9wavefront6targetE1EEEvSR_ ; -- Begin function _ZN7rocprim17ROCPRIM_400000_NS6detail17trampoline_kernelINS0_14default_configENS1_27lower_bound_config_selectorIxN6thrust23THRUST_200600_302600_NS6detail10any_assignEEEZNS1_14transform_implILb0ES3_S9_NS7_15normal_iteratorINS6_10device_ptrIxEEEENS6_16discard_iteratorINS6_11use_defaultEEEZNS1_13binary_searchIS3_S9_SE_SE_SH_NS1_21lower_bound_search_opENS7_16wrapped_functionINS0_4lessIvEEbEEEE10hipError_tPvRmT1_T2_T3_mmT4_T5_P12ihipStream_tbEUlRKxE_EESO_SS_ST_mSU_SX_bEUlT_E_NS1_11comp_targetILNS1_3genE3ELNS1_11target_archE908ELNS1_3gpuE7ELNS1_3repE0EEENS1_30default_config_static_selectorELNS0_4arch9wavefront6targetE1EEEvSR_
	.globl	_ZN7rocprim17ROCPRIM_400000_NS6detail17trampoline_kernelINS0_14default_configENS1_27lower_bound_config_selectorIxN6thrust23THRUST_200600_302600_NS6detail10any_assignEEEZNS1_14transform_implILb0ES3_S9_NS7_15normal_iteratorINS6_10device_ptrIxEEEENS6_16discard_iteratorINS6_11use_defaultEEEZNS1_13binary_searchIS3_S9_SE_SE_SH_NS1_21lower_bound_search_opENS7_16wrapped_functionINS0_4lessIvEEbEEEE10hipError_tPvRmT1_T2_T3_mmT4_T5_P12ihipStream_tbEUlRKxE_EESO_SS_ST_mSU_SX_bEUlT_E_NS1_11comp_targetILNS1_3genE3ELNS1_11target_archE908ELNS1_3gpuE7ELNS1_3repE0EEENS1_30default_config_static_selectorELNS0_4arch9wavefront6targetE1EEEvSR_
	.p2align	8
	.type	_ZN7rocprim17ROCPRIM_400000_NS6detail17trampoline_kernelINS0_14default_configENS1_27lower_bound_config_selectorIxN6thrust23THRUST_200600_302600_NS6detail10any_assignEEEZNS1_14transform_implILb0ES3_S9_NS7_15normal_iteratorINS6_10device_ptrIxEEEENS6_16discard_iteratorINS6_11use_defaultEEEZNS1_13binary_searchIS3_S9_SE_SE_SH_NS1_21lower_bound_search_opENS7_16wrapped_functionINS0_4lessIvEEbEEEE10hipError_tPvRmT1_T2_T3_mmT4_T5_P12ihipStream_tbEUlRKxE_EESO_SS_ST_mSU_SX_bEUlT_E_NS1_11comp_targetILNS1_3genE3ELNS1_11target_archE908ELNS1_3gpuE7ELNS1_3repE0EEENS1_30default_config_static_selectorELNS0_4arch9wavefront6targetE1EEEvSR_,@function
_ZN7rocprim17ROCPRIM_400000_NS6detail17trampoline_kernelINS0_14default_configENS1_27lower_bound_config_selectorIxN6thrust23THRUST_200600_302600_NS6detail10any_assignEEEZNS1_14transform_implILb0ES3_S9_NS7_15normal_iteratorINS6_10device_ptrIxEEEENS6_16discard_iteratorINS6_11use_defaultEEEZNS1_13binary_searchIS3_S9_SE_SE_SH_NS1_21lower_bound_search_opENS7_16wrapped_functionINS0_4lessIvEEbEEEE10hipError_tPvRmT1_T2_T3_mmT4_T5_P12ihipStream_tbEUlRKxE_EESO_SS_ST_mSU_SX_bEUlT_E_NS1_11comp_targetILNS1_3genE3ELNS1_11target_archE908ELNS1_3gpuE7ELNS1_3repE0EEENS1_30default_config_static_selectorELNS0_4arch9wavefront6targetE1EEEvSR_: ; @_ZN7rocprim17ROCPRIM_400000_NS6detail17trampoline_kernelINS0_14default_configENS1_27lower_bound_config_selectorIxN6thrust23THRUST_200600_302600_NS6detail10any_assignEEEZNS1_14transform_implILb0ES3_S9_NS7_15normal_iteratorINS6_10device_ptrIxEEEENS6_16discard_iteratorINS6_11use_defaultEEEZNS1_13binary_searchIS3_S9_SE_SE_SH_NS1_21lower_bound_search_opENS7_16wrapped_functionINS0_4lessIvEEbEEEE10hipError_tPvRmT1_T2_T3_mmT4_T5_P12ihipStream_tbEUlRKxE_EESO_SS_ST_mSU_SX_bEUlT_E_NS1_11comp_targetILNS1_3genE3ELNS1_11target_archE908ELNS1_3gpuE7ELNS1_3repE0EEENS1_30default_config_static_selectorELNS0_4arch9wavefront6targetE1EEEvSR_
; %bb.0:
	.section	.rodata,"a",@progbits
	.p2align	6, 0x0
	.amdhsa_kernel _ZN7rocprim17ROCPRIM_400000_NS6detail17trampoline_kernelINS0_14default_configENS1_27lower_bound_config_selectorIxN6thrust23THRUST_200600_302600_NS6detail10any_assignEEEZNS1_14transform_implILb0ES3_S9_NS7_15normal_iteratorINS6_10device_ptrIxEEEENS6_16discard_iteratorINS6_11use_defaultEEEZNS1_13binary_searchIS3_S9_SE_SE_SH_NS1_21lower_bound_search_opENS7_16wrapped_functionINS0_4lessIvEEbEEEE10hipError_tPvRmT1_T2_T3_mmT4_T5_P12ihipStream_tbEUlRKxE_EESO_SS_ST_mSU_SX_bEUlT_E_NS1_11comp_targetILNS1_3genE3ELNS1_11target_archE908ELNS1_3gpuE7ELNS1_3repE0EEENS1_30default_config_static_selectorELNS0_4arch9wavefront6targetE1EEEvSR_
		.amdhsa_group_segment_fixed_size 0
		.amdhsa_private_segment_fixed_size 0
		.amdhsa_kernarg_size 64
		.amdhsa_user_sgpr_count 6
		.amdhsa_user_sgpr_private_segment_buffer 1
		.amdhsa_user_sgpr_dispatch_ptr 0
		.amdhsa_user_sgpr_queue_ptr 0
		.amdhsa_user_sgpr_kernarg_segment_ptr 1
		.amdhsa_user_sgpr_dispatch_id 0
		.amdhsa_user_sgpr_flat_scratch_init 0
		.amdhsa_user_sgpr_kernarg_preload_length 0
		.amdhsa_user_sgpr_kernarg_preload_offset 0
		.amdhsa_user_sgpr_private_segment_size 0
		.amdhsa_uses_dynamic_stack 0
		.amdhsa_system_sgpr_private_segment_wavefront_offset 0
		.amdhsa_system_sgpr_workgroup_id_x 1
		.amdhsa_system_sgpr_workgroup_id_y 0
		.amdhsa_system_sgpr_workgroup_id_z 0
		.amdhsa_system_sgpr_workgroup_info 0
		.amdhsa_system_vgpr_workitem_id 0
		.amdhsa_next_free_vgpr 1
		.amdhsa_next_free_sgpr 0
		.amdhsa_accum_offset 4
		.amdhsa_reserve_vcc 0
		.amdhsa_reserve_flat_scratch 0
		.amdhsa_float_round_mode_32 0
		.amdhsa_float_round_mode_16_64 0
		.amdhsa_float_denorm_mode_32 3
		.amdhsa_float_denorm_mode_16_64 3
		.amdhsa_dx10_clamp 1
		.amdhsa_ieee_mode 1
		.amdhsa_fp16_overflow 0
		.amdhsa_tg_split 0
		.amdhsa_exception_fp_ieee_invalid_op 0
		.amdhsa_exception_fp_denorm_src 0
		.amdhsa_exception_fp_ieee_div_zero 0
		.amdhsa_exception_fp_ieee_overflow 0
		.amdhsa_exception_fp_ieee_underflow 0
		.amdhsa_exception_fp_ieee_inexact 0
		.amdhsa_exception_int_div_zero 0
	.end_amdhsa_kernel
	.section	.text._ZN7rocprim17ROCPRIM_400000_NS6detail17trampoline_kernelINS0_14default_configENS1_27lower_bound_config_selectorIxN6thrust23THRUST_200600_302600_NS6detail10any_assignEEEZNS1_14transform_implILb0ES3_S9_NS7_15normal_iteratorINS6_10device_ptrIxEEEENS6_16discard_iteratorINS6_11use_defaultEEEZNS1_13binary_searchIS3_S9_SE_SE_SH_NS1_21lower_bound_search_opENS7_16wrapped_functionINS0_4lessIvEEbEEEE10hipError_tPvRmT1_T2_T3_mmT4_T5_P12ihipStream_tbEUlRKxE_EESO_SS_ST_mSU_SX_bEUlT_E_NS1_11comp_targetILNS1_3genE3ELNS1_11target_archE908ELNS1_3gpuE7ELNS1_3repE0EEENS1_30default_config_static_selectorELNS0_4arch9wavefront6targetE1EEEvSR_,"axG",@progbits,_ZN7rocprim17ROCPRIM_400000_NS6detail17trampoline_kernelINS0_14default_configENS1_27lower_bound_config_selectorIxN6thrust23THRUST_200600_302600_NS6detail10any_assignEEEZNS1_14transform_implILb0ES3_S9_NS7_15normal_iteratorINS6_10device_ptrIxEEEENS6_16discard_iteratorINS6_11use_defaultEEEZNS1_13binary_searchIS3_S9_SE_SE_SH_NS1_21lower_bound_search_opENS7_16wrapped_functionINS0_4lessIvEEbEEEE10hipError_tPvRmT1_T2_T3_mmT4_T5_P12ihipStream_tbEUlRKxE_EESO_SS_ST_mSU_SX_bEUlT_E_NS1_11comp_targetILNS1_3genE3ELNS1_11target_archE908ELNS1_3gpuE7ELNS1_3repE0EEENS1_30default_config_static_selectorELNS0_4arch9wavefront6targetE1EEEvSR_,comdat
.Lfunc_end549:
	.size	_ZN7rocprim17ROCPRIM_400000_NS6detail17trampoline_kernelINS0_14default_configENS1_27lower_bound_config_selectorIxN6thrust23THRUST_200600_302600_NS6detail10any_assignEEEZNS1_14transform_implILb0ES3_S9_NS7_15normal_iteratorINS6_10device_ptrIxEEEENS6_16discard_iteratorINS6_11use_defaultEEEZNS1_13binary_searchIS3_S9_SE_SE_SH_NS1_21lower_bound_search_opENS7_16wrapped_functionINS0_4lessIvEEbEEEE10hipError_tPvRmT1_T2_T3_mmT4_T5_P12ihipStream_tbEUlRKxE_EESO_SS_ST_mSU_SX_bEUlT_E_NS1_11comp_targetILNS1_3genE3ELNS1_11target_archE908ELNS1_3gpuE7ELNS1_3repE0EEENS1_30default_config_static_selectorELNS0_4arch9wavefront6targetE1EEEvSR_, .Lfunc_end549-_ZN7rocprim17ROCPRIM_400000_NS6detail17trampoline_kernelINS0_14default_configENS1_27lower_bound_config_selectorIxN6thrust23THRUST_200600_302600_NS6detail10any_assignEEEZNS1_14transform_implILb0ES3_S9_NS7_15normal_iteratorINS6_10device_ptrIxEEEENS6_16discard_iteratorINS6_11use_defaultEEEZNS1_13binary_searchIS3_S9_SE_SE_SH_NS1_21lower_bound_search_opENS7_16wrapped_functionINS0_4lessIvEEbEEEE10hipError_tPvRmT1_T2_T3_mmT4_T5_P12ihipStream_tbEUlRKxE_EESO_SS_ST_mSU_SX_bEUlT_E_NS1_11comp_targetILNS1_3genE3ELNS1_11target_archE908ELNS1_3gpuE7ELNS1_3repE0EEENS1_30default_config_static_selectorELNS0_4arch9wavefront6targetE1EEEvSR_
                                        ; -- End function
	.section	.AMDGPU.csdata,"",@progbits
; Kernel info:
; codeLenInByte = 0
; NumSgprs: 4
; NumVgprs: 0
; NumAgprs: 0
; TotalNumVgprs: 0
; ScratchSize: 0
; MemoryBound: 0
; FloatMode: 240
; IeeeMode: 1
; LDSByteSize: 0 bytes/workgroup (compile time only)
; SGPRBlocks: 0
; VGPRBlocks: 0
; NumSGPRsForWavesPerEU: 4
; NumVGPRsForWavesPerEU: 1
; AccumOffset: 4
; Occupancy: 8
; WaveLimiterHint : 0
; COMPUTE_PGM_RSRC2:SCRATCH_EN: 0
; COMPUTE_PGM_RSRC2:USER_SGPR: 6
; COMPUTE_PGM_RSRC2:TRAP_HANDLER: 0
; COMPUTE_PGM_RSRC2:TGID_X_EN: 1
; COMPUTE_PGM_RSRC2:TGID_Y_EN: 0
; COMPUTE_PGM_RSRC2:TGID_Z_EN: 0
; COMPUTE_PGM_RSRC2:TIDIG_COMP_CNT: 0
; COMPUTE_PGM_RSRC3_GFX90A:ACCUM_OFFSET: 0
; COMPUTE_PGM_RSRC3_GFX90A:TG_SPLIT: 0
	.section	.text._ZN7rocprim17ROCPRIM_400000_NS6detail17trampoline_kernelINS0_14default_configENS1_27lower_bound_config_selectorIxN6thrust23THRUST_200600_302600_NS6detail10any_assignEEEZNS1_14transform_implILb0ES3_S9_NS7_15normal_iteratorINS6_10device_ptrIxEEEENS6_16discard_iteratorINS6_11use_defaultEEEZNS1_13binary_searchIS3_S9_SE_SE_SH_NS1_21lower_bound_search_opENS7_16wrapped_functionINS0_4lessIvEEbEEEE10hipError_tPvRmT1_T2_T3_mmT4_T5_P12ihipStream_tbEUlRKxE_EESO_SS_ST_mSU_SX_bEUlT_E_NS1_11comp_targetILNS1_3genE2ELNS1_11target_archE906ELNS1_3gpuE6ELNS1_3repE0EEENS1_30default_config_static_selectorELNS0_4arch9wavefront6targetE1EEEvSR_,"axG",@progbits,_ZN7rocprim17ROCPRIM_400000_NS6detail17trampoline_kernelINS0_14default_configENS1_27lower_bound_config_selectorIxN6thrust23THRUST_200600_302600_NS6detail10any_assignEEEZNS1_14transform_implILb0ES3_S9_NS7_15normal_iteratorINS6_10device_ptrIxEEEENS6_16discard_iteratorINS6_11use_defaultEEEZNS1_13binary_searchIS3_S9_SE_SE_SH_NS1_21lower_bound_search_opENS7_16wrapped_functionINS0_4lessIvEEbEEEE10hipError_tPvRmT1_T2_T3_mmT4_T5_P12ihipStream_tbEUlRKxE_EESO_SS_ST_mSU_SX_bEUlT_E_NS1_11comp_targetILNS1_3genE2ELNS1_11target_archE906ELNS1_3gpuE6ELNS1_3repE0EEENS1_30default_config_static_selectorELNS0_4arch9wavefront6targetE1EEEvSR_,comdat
	.protected	_ZN7rocprim17ROCPRIM_400000_NS6detail17trampoline_kernelINS0_14default_configENS1_27lower_bound_config_selectorIxN6thrust23THRUST_200600_302600_NS6detail10any_assignEEEZNS1_14transform_implILb0ES3_S9_NS7_15normal_iteratorINS6_10device_ptrIxEEEENS6_16discard_iteratorINS6_11use_defaultEEEZNS1_13binary_searchIS3_S9_SE_SE_SH_NS1_21lower_bound_search_opENS7_16wrapped_functionINS0_4lessIvEEbEEEE10hipError_tPvRmT1_T2_T3_mmT4_T5_P12ihipStream_tbEUlRKxE_EESO_SS_ST_mSU_SX_bEUlT_E_NS1_11comp_targetILNS1_3genE2ELNS1_11target_archE906ELNS1_3gpuE6ELNS1_3repE0EEENS1_30default_config_static_selectorELNS0_4arch9wavefront6targetE1EEEvSR_ ; -- Begin function _ZN7rocprim17ROCPRIM_400000_NS6detail17trampoline_kernelINS0_14default_configENS1_27lower_bound_config_selectorIxN6thrust23THRUST_200600_302600_NS6detail10any_assignEEEZNS1_14transform_implILb0ES3_S9_NS7_15normal_iteratorINS6_10device_ptrIxEEEENS6_16discard_iteratorINS6_11use_defaultEEEZNS1_13binary_searchIS3_S9_SE_SE_SH_NS1_21lower_bound_search_opENS7_16wrapped_functionINS0_4lessIvEEbEEEE10hipError_tPvRmT1_T2_T3_mmT4_T5_P12ihipStream_tbEUlRKxE_EESO_SS_ST_mSU_SX_bEUlT_E_NS1_11comp_targetILNS1_3genE2ELNS1_11target_archE906ELNS1_3gpuE6ELNS1_3repE0EEENS1_30default_config_static_selectorELNS0_4arch9wavefront6targetE1EEEvSR_
	.globl	_ZN7rocprim17ROCPRIM_400000_NS6detail17trampoline_kernelINS0_14default_configENS1_27lower_bound_config_selectorIxN6thrust23THRUST_200600_302600_NS6detail10any_assignEEEZNS1_14transform_implILb0ES3_S9_NS7_15normal_iteratorINS6_10device_ptrIxEEEENS6_16discard_iteratorINS6_11use_defaultEEEZNS1_13binary_searchIS3_S9_SE_SE_SH_NS1_21lower_bound_search_opENS7_16wrapped_functionINS0_4lessIvEEbEEEE10hipError_tPvRmT1_T2_T3_mmT4_T5_P12ihipStream_tbEUlRKxE_EESO_SS_ST_mSU_SX_bEUlT_E_NS1_11comp_targetILNS1_3genE2ELNS1_11target_archE906ELNS1_3gpuE6ELNS1_3repE0EEENS1_30default_config_static_selectorELNS0_4arch9wavefront6targetE1EEEvSR_
	.p2align	8
	.type	_ZN7rocprim17ROCPRIM_400000_NS6detail17trampoline_kernelINS0_14default_configENS1_27lower_bound_config_selectorIxN6thrust23THRUST_200600_302600_NS6detail10any_assignEEEZNS1_14transform_implILb0ES3_S9_NS7_15normal_iteratorINS6_10device_ptrIxEEEENS6_16discard_iteratorINS6_11use_defaultEEEZNS1_13binary_searchIS3_S9_SE_SE_SH_NS1_21lower_bound_search_opENS7_16wrapped_functionINS0_4lessIvEEbEEEE10hipError_tPvRmT1_T2_T3_mmT4_T5_P12ihipStream_tbEUlRKxE_EESO_SS_ST_mSU_SX_bEUlT_E_NS1_11comp_targetILNS1_3genE2ELNS1_11target_archE906ELNS1_3gpuE6ELNS1_3repE0EEENS1_30default_config_static_selectorELNS0_4arch9wavefront6targetE1EEEvSR_,@function
_ZN7rocprim17ROCPRIM_400000_NS6detail17trampoline_kernelINS0_14default_configENS1_27lower_bound_config_selectorIxN6thrust23THRUST_200600_302600_NS6detail10any_assignEEEZNS1_14transform_implILb0ES3_S9_NS7_15normal_iteratorINS6_10device_ptrIxEEEENS6_16discard_iteratorINS6_11use_defaultEEEZNS1_13binary_searchIS3_S9_SE_SE_SH_NS1_21lower_bound_search_opENS7_16wrapped_functionINS0_4lessIvEEbEEEE10hipError_tPvRmT1_T2_T3_mmT4_T5_P12ihipStream_tbEUlRKxE_EESO_SS_ST_mSU_SX_bEUlT_E_NS1_11comp_targetILNS1_3genE2ELNS1_11target_archE906ELNS1_3gpuE6ELNS1_3repE0EEENS1_30default_config_static_selectorELNS0_4arch9wavefront6targetE1EEEvSR_: ; @_ZN7rocprim17ROCPRIM_400000_NS6detail17trampoline_kernelINS0_14default_configENS1_27lower_bound_config_selectorIxN6thrust23THRUST_200600_302600_NS6detail10any_assignEEEZNS1_14transform_implILb0ES3_S9_NS7_15normal_iteratorINS6_10device_ptrIxEEEENS6_16discard_iteratorINS6_11use_defaultEEEZNS1_13binary_searchIS3_S9_SE_SE_SH_NS1_21lower_bound_search_opENS7_16wrapped_functionINS0_4lessIvEEbEEEE10hipError_tPvRmT1_T2_T3_mmT4_T5_P12ihipStream_tbEUlRKxE_EESO_SS_ST_mSU_SX_bEUlT_E_NS1_11comp_targetILNS1_3genE2ELNS1_11target_archE906ELNS1_3gpuE6ELNS1_3repE0EEENS1_30default_config_static_selectorELNS0_4arch9wavefront6targetE1EEEvSR_
; %bb.0:
	.section	.rodata,"a",@progbits
	.p2align	6, 0x0
	.amdhsa_kernel _ZN7rocprim17ROCPRIM_400000_NS6detail17trampoline_kernelINS0_14default_configENS1_27lower_bound_config_selectorIxN6thrust23THRUST_200600_302600_NS6detail10any_assignEEEZNS1_14transform_implILb0ES3_S9_NS7_15normal_iteratorINS6_10device_ptrIxEEEENS6_16discard_iteratorINS6_11use_defaultEEEZNS1_13binary_searchIS3_S9_SE_SE_SH_NS1_21lower_bound_search_opENS7_16wrapped_functionINS0_4lessIvEEbEEEE10hipError_tPvRmT1_T2_T3_mmT4_T5_P12ihipStream_tbEUlRKxE_EESO_SS_ST_mSU_SX_bEUlT_E_NS1_11comp_targetILNS1_3genE2ELNS1_11target_archE906ELNS1_3gpuE6ELNS1_3repE0EEENS1_30default_config_static_selectorELNS0_4arch9wavefront6targetE1EEEvSR_
		.amdhsa_group_segment_fixed_size 0
		.amdhsa_private_segment_fixed_size 0
		.amdhsa_kernarg_size 64
		.amdhsa_user_sgpr_count 6
		.amdhsa_user_sgpr_private_segment_buffer 1
		.amdhsa_user_sgpr_dispatch_ptr 0
		.amdhsa_user_sgpr_queue_ptr 0
		.amdhsa_user_sgpr_kernarg_segment_ptr 1
		.amdhsa_user_sgpr_dispatch_id 0
		.amdhsa_user_sgpr_flat_scratch_init 0
		.amdhsa_user_sgpr_kernarg_preload_length 0
		.amdhsa_user_sgpr_kernarg_preload_offset 0
		.amdhsa_user_sgpr_private_segment_size 0
		.amdhsa_uses_dynamic_stack 0
		.amdhsa_system_sgpr_private_segment_wavefront_offset 0
		.amdhsa_system_sgpr_workgroup_id_x 1
		.amdhsa_system_sgpr_workgroup_id_y 0
		.amdhsa_system_sgpr_workgroup_id_z 0
		.amdhsa_system_sgpr_workgroup_info 0
		.amdhsa_system_vgpr_workitem_id 0
		.amdhsa_next_free_vgpr 1
		.amdhsa_next_free_sgpr 0
		.amdhsa_accum_offset 4
		.amdhsa_reserve_vcc 0
		.amdhsa_reserve_flat_scratch 0
		.amdhsa_float_round_mode_32 0
		.amdhsa_float_round_mode_16_64 0
		.amdhsa_float_denorm_mode_32 3
		.amdhsa_float_denorm_mode_16_64 3
		.amdhsa_dx10_clamp 1
		.amdhsa_ieee_mode 1
		.amdhsa_fp16_overflow 0
		.amdhsa_tg_split 0
		.amdhsa_exception_fp_ieee_invalid_op 0
		.amdhsa_exception_fp_denorm_src 0
		.amdhsa_exception_fp_ieee_div_zero 0
		.amdhsa_exception_fp_ieee_overflow 0
		.amdhsa_exception_fp_ieee_underflow 0
		.amdhsa_exception_fp_ieee_inexact 0
		.amdhsa_exception_int_div_zero 0
	.end_amdhsa_kernel
	.section	.text._ZN7rocprim17ROCPRIM_400000_NS6detail17trampoline_kernelINS0_14default_configENS1_27lower_bound_config_selectorIxN6thrust23THRUST_200600_302600_NS6detail10any_assignEEEZNS1_14transform_implILb0ES3_S9_NS7_15normal_iteratorINS6_10device_ptrIxEEEENS6_16discard_iteratorINS6_11use_defaultEEEZNS1_13binary_searchIS3_S9_SE_SE_SH_NS1_21lower_bound_search_opENS7_16wrapped_functionINS0_4lessIvEEbEEEE10hipError_tPvRmT1_T2_T3_mmT4_T5_P12ihipStream_tbEUlRKxE_EESO_SS_ST_mSU_SX_bEUlT_E_NS1_11comp_targetILNS1_3genE2ELNS1_11target_archE906ELNS1_3gpuE6ELNS1_3repE0EEENS1_30default_config_static_selectorELNS0_4arch9wavefront6targetE1EEEvSR_,"axG",@progbits,_ZN7rocprim17ROCPRIM_400000_NS6detail17trampoline_kernelINS0_14default_configENS1_27lower_bound_config_selectorIxN6thrust23THRUST_200600_302600_NS6detail10any_assignEEEZNS1_14transform_implILb0ES3_S9_NS7_15normal_iteratorINS6_10device_ptrIxEEEENS6_16discard_iteratorINS6_11use_defaultEEEZNS1_13binary_searchIS3_S9_SE_SE_SH_NS1_21lower_bound_search_opENS7_16wrapped_functionINS0_4lessIvEEbEEEE10hipError_tPvRmT1_T2_T3_mmT4_T5_P12ihipStream_tbEUlRKxE_EESO_SS_ST_mSU_SX_bEUlT_E_NS1_11comp_targetILNS1_3genE2ELNS1_11target_archE906ELNS1_3gpuE6ELNS1_3repE0EEENS1_30default_config_static_selectorELNS0_4arch9wavefront6targetE1EEEvSR_,comdat
.Lfunc_end550:
	.size	_ZN7rocprim17ROCPRIM_400000_NS6detail17trampoline_kernelINS0_14default_configENS1_27lower_bound_config_selectorIxN6thrust23THRUST_200600_302600_NS6detail10any_assignEEEZNS1_14transform_implILb0ES3_S9_NS7_15normal_iteratorINS6_10device_ptrIxEEEENS6_16discard_iteratorINS6_11use_defaultEEEZNS1_13binary_searchIS3_S9_SE_SE_SH_NS1_21lower_bound_search_opENS7_16wrapped_functionINS0_4lessIvEEbEEEE10hipError_tPvRmT1_T2_T3_mmT4_T5_P12ihipStream_tbEUlRKxE_EESO_SS_ST_mSU_SX_bEUlT_E_NS1_11comp_targetILNS1_3genE2ELNS1_11target_archE906ELNS1_3gpuE6ELNS1_3repE0EEENS1_30default_config_static_selectorELNS0_4arch9wavefront6targetE1EEEvSR_, .Lfunc_end550-_ZN7rocprim17ROCPRIM_400000_NS6detail17trampoline_kernelINS0_14default_configENS1_27lower_bound_config_selectorIxN6thrust23THRUST_200600_302600_NS6detail10any_assignEEEZNS1_14transform_implILb0ES3_S9_NS7_15normal_iteratorINS6_10device_ptrIxEEEENS6_16discard_iteratorINS6_11use_defaultEEEZNS1_13binary_searchIS3_S9_SE_SE_SH_NS1_21lower_bound_search_opENS7_16wrapped_functionINS0_4lessIvEEbEEEE10hipError_tPvRmT1_T2_T3_mmT4_T5_P12ihipStream_tbEUlRKxE_EESO_SS_ST_mSU_SX_bEUlT_E_NS1_11comp_targetILNS1_3genE2ELNS1_11target_archE906ELNS1_3gpuE6ELNS1_3repE0EEENS1_30default_config_static_selectorELNS0_4arch9wavefront6targetE1EEEvSR_
                                        ; -- End function
	.section	.AMDGPU.csdata,"",@progbits
; Kernel info:
; codeLenInByte = 0
; NumSgprs: 4
; NumVgprs: 0
; NumAgprs: 0
; TotalNumVgprs: 0
; ScratchSize: 0
; MemoryBound: 0
; FloatMode: 240
; IeeeMode: 1
; LDSByteSize: 0 bytes/workgroup (compile time only)
; SGPRBlocks: 0
; VGPRBlocks: 0
; NumSGPRsForWavesPerEU: 4
; NumVGPRsForWavesPerEU: 1
; AccumOffset: 4
; Occupancy: 8
; WaveLimiterHint : 0
; COMPUTE_PGM_RSRC2:SCRATCH_EN: 0
; COMPUTE_PGM_RSRC2:USER_SGPR: 6
; COMPUTE_PGM_RSRC2:TRAP_HANDLER: 0
; COMPUTE_PGM_RSRC2:TGID_X_EN: 1
; COMPUTE_PGM_RSRC2:TGID_Y_EN: 0
; COMPUTE_PGM_RSRC2:TGID_Z_EN: 0
; COMPUTE_PGM_RSRC2:TIDIG_COMP_CNT: 0
; COMPUTE_PGM_RSRC3_GFX90A:ACCUM_OFFSET: 0
; COMPUTE_PGM_RSRC3_GFX90A:TG_SPLIT: 0
	.section	.text._ZN7rocprim17ROCPRIM_400000_NS6detail17trampoline_kernelINS0_14default_configENS1_27lower_bound_config_selectorIxN6thrust23THRUST_200600_302600_NS6detail10any_assignEEEZNS1_14transform_implILb0ES3_S9_NS7_15normal_iteratorINS6_10device_ptrIxEEEENS6_16discard_iteratorINS6_11use_defaultEEEZNS1_13binary_searchIS3_S9_SE_SE_SH_NS1_21lower_bound_search_opENS7_16wrapped_functionINS0_4lessIvEEbEEEE10hipError_tPvRmT1_T2_T3_mmT4_T5_P12ihipStream_tbEUlRKxE_EESO_SS_ST_mSU_SX_bEUlT_E_NS1_11comp_targetILNS1_3genE10ELNS1_11target_archE1201ELNS1_3gpuE5ELNS1_3repE0EEENS1_30default_config_static_selectorELNS0_4arch9wavefront6targetE1EEEvSR_,"axG",@progbits,_ZN7rocprim17ROCPRIM_400000_NS6detail17trampoline_kernelINS0_14default_configENS1_27lower_bound_config_selectorIxN6thrust23THRUST_200600_302600_NS6detail10any_assignEEEZNS1_14transform_implILb0ES3_S9_NS7_15normal_iteratorINS6_10device_ptrIxEEEENS6_16discard_iteratorINS6_11use_defaultEEEZNS1_13binary_searchIS3_S9_SE_SE_SH_NS1_21lower_bound_search_opENS7_16wrapped_functionINS0_4lessIvEEbEEEE10hipError_tPvRmT1_T2_T3_mmT4_T5_P12ihipStream_tbEUlRKxE_EESO_SS_ST_mSU_SX_bEUlT_E_NS1_11comp_targetILNS1_3genE10ELNS1_11target_archE1201ELNS1_3gpuE5ELNS1_3repE0EEENS1_30default_config_static_selectorELNS0_4arch9wavefront6targetE1EEEvSR_,comdat
	.protected	_ZN7rocprim17ROCPRIM_400000_NS6detail17trampoline_kernelINS0_14default_configENS1_27lower_bound_config_selectorIxN6thrust23THRUST_200600_302600_NS6detail10any_assignEEEZNS1_14transform_implILb0ES3_S9_NS7_15normal_iteratorINS6_10device_ptrIxEEEENS6_16discard_iteratorINS6_11use_defaultEEEZNS1_13binary_searchIS3_S9_SE_SE_SH_NS1_21lower_bound_search_opENS7_16wrapped_functionINS0_4lessIvEEbEEEE10hipError_tPvRmT1_T2_T3_mmT4_T5_P12ihipStream_tbEUlRKxE_EESO_SS_ST_mSU_SX_bEUlT_E_NS1_11comp_targetILNS1_3genE10ELNS1_11target_archE1201ELNS1_3gpuE5ELNS1_3repE0EEENS1_30default_config_static_selectorELNS0_4arch9wavefront6targetE1EEEvSR_ ; -- Begin function _ZN7rocprim17ROCPRIM_400000_NS6detail17trampoline_kernelINS0_14default_configENS1_27lower_bound_config_selectorIxN6thrust23THRUST_200600_302600_NS6detail10any_assignEEEZNS1_14transform_implILb0ES3_S9_NS7_15normal_iteratorINS6_10device_ptrIxEEEENS6_16discard_iteratorINS6_11use_defaultEEEZNS1_13binary_searchIS3_S9_SE_SE_SH_NS1_21lower_bound_search_opENS7_16wrapped_functionINS0_4lessIvEEbEEEE10hipError_tPvRmT1_T2_T3_mmT4_T5_P12ihipStream_tbEUlRKxE_EESO_SS_ST_mSU_SX_bEUlT_E_NS1_11comp_targetILNS1_3genE10ELNS1_11target_archE1201ELNS1_3gpuE5ELNS1_3repE0EEENS1_30default_config_static_selectorELNS0_4arch9wavefront6targetE1EEEvSR_
	.globl	_ZN7rocprim17ROCPRIM_400000_NS6detail17trampoline_kernelINS0_14default_configENS1_27lower_bound_config_selectorIxN6thrust23THRUST_200600_302600_NS6detail10any_assignEEEZNS1_14transform_implILb0ES3_S9_NS7_15normal_iteratorINS6_10device_ptrIxEEEENS6_16discard_iteratorINS6_11use_defaultEEEZNS1_13binary_searchIS3_S9_SE_SE_SH_NS1_21lower_bound_search_opENS7_16wrapped_functionINS0_4lessIvEEbEEEE10hipError_tPvRmT1_T2_T3_mmT4_T5_P12ihipStream_tbEUlRKxE_EESO_SS_ST_mSU_SX_bEUlT_E_NS1_11comp_targetILNS1_3genE10ELNS1_11target_archE1201ELNS1_3gpuE5ELNS1_3repE0EEENS1_30default_config_static_selectorELNS0_4arch9wavefront6targetE1EEEvSR_
	.p2align	8
	.type	_ZN7rocprim17ROCPRIM_400000_NS6detail17trampoline_kernelINS0_14default_configENS1_27lower_bound_config_selectorIxN6thrust23THRUST_200600_302600_NS6detail10any_assignEEEZNS1_14transform_implILb0ES3_S9_NS7_15normal_iteratorINS6_10device_ptrIxEEEENS6_16discard_iteratorINS6_11use_defaultEEEZNS1_13binary_searchIS3_S9_SE_SE_SH_NS1_21lower_bound_search_opENS7_16wrapped_functionINS0_4lessIvEEbEEEE10hipError_tPvRmT1_T2_T3_mmT4_T5_P12ihipStream_tbEUlRKxE_EESO_SS_ST_mSU_SX_bEUlT_E_NS1_11comp_targetILNS1_3genE10ELNS1_11target_archE1201ELNS1_3gpuE5ELNS1_3repE0EEENS1_30default_config_static_selectorELNS0_4arch9wavefront6targetE1EEEvSR_,@function
_ZN7rocprim17ROCPRIM_400000_NS6detail17trampoline_kernelINS0_14default_configENS1_27lower_bound_config_selectorIxN6thrust23THRUST_200600_302600_NS6detail10any_assignEEEZNS1_14transform_implILb0ES3_S9_NS7_15normal_iteratorINS6_10device_ptrIxEEEENS6_16discard_iteratorINS6_11use_defaultEEEZNS1_13binary_searchIS3_S9_SE_SE_SH_NS1_21lower_bound_search_opENS7_16wrapped_functionINS0_4lessIvEEbEEEE10hipError_tPvRmT1_T2_T3_mmT4_T5_P12ihipStream_tbEUlRKxE_EESO_SS_ST_mSU_SX_bEUlT_E_NS1_11comp_targetILNS1_3genE10ELNS1_11target_archE1201ELNS1_3gpuE5ELNS1_3repE0EEENS1_30default_config_static_selectorELNS0_4arch9wavefront6targetE1EEEvSR_: ; @_ZN7rocprim17ROCPRIM_400000_NS6detail17trampoline_kernelINS0_14default_configENS1_27lower_bound_config_selectorIxN6thrust23THRUST_200600_302600_NS6detail10any_assignEEEZNS1_14transform_implILb0ES3_S9_NS7_15normal_iteratorINS6_10device_ptrIxEEEENS6_16discard_iteratorINS6_11use_defaultEEEZNS1_13binary_searchIS3_S9_SE_SE_SH_NS1_21lower_bound_search_opENS7_16wrapped_functionINS0_4lessIvEEbEEEE10hipError_tPvRmT1_T2_T3_mmT4_T5_P12ihipStream_tbEUlRKxE_EESO_SS_ST_mSU_SX_bEUlT_E_NS1_11comp_targetILNS1_3genE10ELNS1_11target_archE1201ELNS1_3gpuE5ELNS1_3repE0EEENS1_30default_config_static_selectorELNS0_4arch9wavefront6targetE1EEEvSR_
; %bb.0:
	.section	.rodata,"a",@progbits
	.p2align	6, 0x0
	.amdhsa_kernel _ZN7rocprim17ROCPRIM_400000_NS6detail17trampoline_kernelINS0_14default_configENS1_27lower_bound_config_selectorIxN6thrust23THRUST_200600_302600_NS6detail10any_assignEEEZNS1_14transform_implILb0ES3_S9_NS7_15normal_iteratorINS6_10device_ptrIxEEEENS6_16discard_iteratorINS6_11use_defaultEEEZNS1_13binary_searchIS3_S9_SE_SE_SH_NS1_21lower_bound_search_opENS7_16wrapped_functionINS0_4lessIvEEbEEEE10hipError_tPvRmT1_T2_T3_mmT4_T5_P12ihipStream_tbEUlRKxE_EESO_SS_ST_mSU_SX_bEUlT_E_NS1_11comp_targetILNS1_3genE10ELNS1_11target_archE1201ELNS1_3gpuE5ELNS1_3repE0EEENS1_30default_config_static_selectorELNS0_4arch9wavefront6targetE1EEEvSR_
		.amdhsa_group_segment_fixed_size 0
		.amdhsa_private_segment_fixed_size 0
		.amdhsa_kernarg_size 64
		.amdhsa_user_sgpr_count 6
		.amdhsa_user_sgpr_private_segment_buffer 1
		.amdhsa_user_sgpr_dispatch_ptr 0
		.amdhsa_user_sgpr_queue_ptr 0
		.amdhsa_user_sgpr_kernarg_segment_ptr 1
		.amdhsa_user_sgpr_dispatch_id 0
		.amdhsa_user_sgpr_flat_scratch_init 0
		.amdhsa_user_sgpr_kernarg_preload_length 0
		.amdhsa_user_sgpr_kernarg_preload_offset 0
		.amdhsa_user_sgpr_private_segment_size 0
		.amdhsa_uses_dynamic_stack 0
		.amdhsa_system_sgpr_private_segment_wavefront_offset 0
		.amdhsa_system_sgpr_workgroup_id_x 1
		.amdhsa_system_sgpr_workgroup_id_y 0
		.amdhsa_system_sgpr_workgroup_id_z 0
		.amdhsa_system_sgpr_workgroup_info 0
		.amdhsa_system_vgpr_workitem_id 0
		.amdhsa_next_free_vgpr 1
		.amdhsa_next_free_sgpr 0
		.amdhsa_accum_offset 4
		.amdhsa_reserve_vcc 0
		.amdhsa_reserve_flat_scratch 0
		.amdhsa_float_round_mode_32 0
		.amdhsa_float_round_mode_16_64 0
		.amdhsa_float_denorm_mode_32 3
		.amdhsa_float_denorm_mode_16_64 3
		.amdhsa_dx10_clamp 1
		.amdhsa_ieee_mode 1
		.amdhsa_fp16_overflow 0
		.amdhsa_tg_split 0
		.amdhsa_exception_fp_ieee_invalid_op 0
		.amdhsa_exception_fp_denorm_src 0
		.amdhsa_exception_fp_ieee_div_zero 0
		.amdhsa_exception_fp_ieee_overflow 0
		.amdhsa_exception_fp_ieee_underflow 0
		.amdhsa_exception_fp_ieee_inexact 0
		.amdhsa_exception_int_div_zero 0
	.end_amdhsa_kernel
	.section	.text._ZN7rocprim17ROCPRIM_400000_NS6detail17trampoline_kernelINS0_14default_configENS1_27lower_bound_config_selectorIxN6thrust23THRUST_200600_302600_NS6detail10any_assignEEEZNS1_14transform_implILb0ES3_S9_NS7_15normal_iteratorINS6_10device_ptrIxEEEENS6_16discard_iteratorINS6_11use_defaultEEEZNS1_13binary_searchIS3_S9_SE_SE_SH_NS1_21lower_bound_search_opENS7_16wrapped_functionINS0_4lessIvEEbEEEE10hipError_tPvRmT1_T2_T3_mmT4_T5_P12ihipStream_tbEUlRKxE_EESO_SS_ST_mSU_SX_bEUlT_E_NS1_11comp_targetILNS1_3genE10ELNS1_11target_archE1201ELNS1_3gpuE5ELNS1_3repE0EEENS1_30default_config_static_selectorELNS0_4arch9wavefront6targetE1EEEvSR_,"axG",@progbits,_ZN7rocprim17ROCPRIM_400000_NS6detail17trampoline_kernelINS0_14default_configENS1_27lower_bound_config_selectorIxN6thrust23THRUST_200600_302600_NS6detail10any_assignEEEZNS1_14transform_implILb0ES3_S9_NS7_15normal_iteratorINS6_10device_ptrIxEEEENS6_16discard_iteratorINS6_11use_defaultEEEZNS1_13binary_searchIS3_S9_SE_SE_SH_NS1_21lower_bound_search_opENS7_16wrapped_functionINS0_4lessIvEEbEEEE10hipError_tPvRmT1_T2_T3_mmT4_T5_P12ihipStream_tbEUlRKxE_EESO_SS_ST_mSU_SX_bEUlT_E_NS1_11comp_targetILNS1_3genE10ELNS1_11target_archE1201ELNS1_3gpuE5ELNS1_3repE0EEENS1_30default_config_static_selectorELNS0_4arch9wavefront6targetE1EEEvSR_,comdat
.Lfunc_end551:
	.size	_ZN7rocprim17ROCPRIM_400000_NS6detail17trampoline_kernelINS0_14default_configENS1_27lower_bound_config_selectorIxN6thrust23THRUST_200600_302600_NS6detail10any_assignEEEZNS1_14transform_implILb0ES3_S9_NS7_15normal_iteratorINS6_10device_ptrIxEEEENS6_16discard_iteratorINS6_11use_defaultEEEZNS1_13binary_searchIS3_S9_SE_SE_SH_NS1_21lower_bound_search_opENS7_16wrapped_functionINS0_4lessIvEEbEEEE10hipError_tPvRmT1_T2_T3_mmT4_T5_P12ihipStream_tbEUlRKxE_EESO_SS_ST_mSU_SX_bEUlT_E_NS1_11comp_targetILNS1_3genE10ELNS1_11target_archE1201ELNS1_3gpuE5ELNS1_3repE0EEENS1_30default_config_static_selectorELNS0_4arch9wavefront6targetE1EEEvSR_, .Lfunc_end551-_ZN7rocprim17ROCPRIM_400000_NS6detail17trampoline_kernelINS0_14default_configENS1_27lower_bound_config_selectorIxN6thrust23THRUST_200600_302600_NS6detail10any_assignEEEZNS1_14transform_implILb0ES3_S9_NS7_15normal_iteratorINS6_10device_ptrIxEEEENS6_16discard_iteratorINS6_11use_defaultEEEZNS1_13binary_searchIS3_S9_SE_SE_SH_NS1_21lower_bound_search_opENS7_16wrapped_functionINS0_4lessIvEEbEEEE10hipError_tPvRmT1_T2_T3_mmT4_T5_P12ihipStream_tbEUlRKxE_EESO_SS_ST_mSU_SX_bEUlT_E_NS1_11comp_targetILNS1_3genE10ELNS1_11target_archE1201ELNS1_3gpuE5ELNS1_3repE0EEENS1_30default_config_static_selectorELNS0_4arch9wavefront6targetE1EEEvSR_
                                        ; -- End function
	.section	.AMDGPU.csdata,"",@progbits
; Kernel info:
; codeLenInByte = 0
; NumSgprs: 4
; NumVgprs: 0
; NumAgprs: 0
; TotalNumVgprs: 0
; ScratchSize: 0
; MemoryBound: 0
; FloatMode: 240
; IeeeMode: 1
; LDSByteSize: 0 bytes/workgroup (compile time only)
; SGPRBlocks: 0
; VGPRBlocks: 0
; NumSGPRsForWavesPerEU: 4
; NumVGPRsForWavesPerEU: 1
; AccumOffset: 4
; Occupancy: 8
; WaveLimiterHint : 0
; COMPUTE_PGM_RSRC2:SCRATCH_EN: 0
; COMPUTE_PGM_RSRC2:USER_SGPR: 6
; COMPUTE_PGM_RSRC2:TRAP_HANDLER: 0
; COMPUTE_PGM_RSRC2:TGID_X_EN: 1
; COMPUTE_PGM_RSRC2:TGID_Y_EN: 0
; COMPUTE_PGM_RSRC2:TGID_Z_EN: 0
; COMPUTE_PGM_RSRC2:TIDIG_COMP_CNT: 0
; COMPUTE_PGM_RSRC3_GFX90A:ACCUM_OFFSET: 0
; COMPUTE_PGM_RSRC3_GFX90A:TG_SPLIT: 0
	.section	.text._ZN7rocprim17ROCPRIM_400000_NS6detail17trampoline_kernelINS0_14default_configENS1_27lower_bound_config_selectorIxN6thrust23THRUST_200600_302600_NS6detail10any_assignEEEZNS1_14transform_implILb0ES3_S9_NS7_15normal_iteratorINS6_10device_ptrIxEEEENS6_16discard_iteratorINS6_11use_defaultEEEZNS1_13binary_searchIS3_S9_SE_SE_SH_NS1_21lower_bound_search_opENS7_16wrapped_functionINS0_4lessIvEEbEEEE10hipError_tPvRmT1_T2_T3_mmT4_T5_P12ihipStream_tbEUlRKxE_EESO_SS_ST_mSU_SX_bEUlT_E_NS1_11comp_targetILNS1_3genE10ELNS1_11target_archE1200ELNS1_3gpuE4ELNS1_3repE0EEENS1_30default_config_static_selectorELNS0_4arch9wavefront6targetE1EEEvSR_,"axG",@progbits,_ZN7rocprim17ROCPRIM_400000_NS6detail17trampoline_kernelINS0_14default_configENS1_27lower_bound_config_selectorIxN6thrust23THRUST_200600_302600_NS6detail10any_assignEEEZNS1_14transform_implILb0ES3_S9_NS7_15normal_iteratorINS6_10device_ptrIxEEEENS6_16discard_iteratorINS6_11use_defaultEEEZNS1_13binary_searchIS3_S9_SE_SE_SH_NS1_21lower_bound_search_opENS7_16wrapped_functionINS0_4lessIvEEbEEEE10hipError_tPvRmT1_T2_T3_mmT4_T5_P12ihipStream_tbEUlRKxE_EESO_SS_ST_mSU_SX_bEUlT_E_NS1_11comp_targetILNS1_3genE10ELNS1_11target_archE1200ELNS1_3gpuE4ELNS1_3repE0EEENS1_30default_config_static_selectorELNS0_4arch9wavefront6targetE1EEEvSR_,comdat
	.protected	_ZN7rocprim17ROCPRIM_400000_NS6detail17trampoline_kernelINS0_14default_configENS1_27lower_bound_config_selectorIxN6thrust23THRUST_200600_302600_NS6detail10any_assignEEEZNS1_14transform_implILb0ES3_S9_NS7_15normal_iteratorINS6_10device_ptrIxEEEENS6_16discard_iteratorINS6_11use_defaultEEEZNS1_13binary_searchIS3_S9_SE_SE_SH_NS1_21lower_bound_search_opENS7_16wrapped_functionINS0_4lessIvEEbEEEE10hipError_tPvRmT1_T2_T3_mmT4_T5_P12ihipStream_tbEUlRKxE_EESO_SS_ST_mSU_SX_bEUlT_E_NS1_11comp_targetILNS1_3genE10ELNS1_11target_archE1200ELNS1_3gpuE4ELNS1_3repE0EEENS1_30default_config_static_selectorELNS0_4arch9wavefront6targetE1EEEvSR_ ; -- Begin function _ZN7rocprim17ROCPRIM_400000_NS6detail17trampoline_kernelINS0_14default_configENS1_27lower_bound_config_selectorIxN6thrust23THRUST_200600_302600_NS6detail10any_assignEEEZNS1_14transform_implILb0ES3_S9_NS7_15normal_iteratorINS6_10device_ptrIxEEEENS6_16discard_iteratorINS6_11use_defaultEEEZNS1_13binary_searchIS3_S9_SE_SE_SH_NS1_21lower_bound_search_opENS7_16wrapped_functionINS0_4lessIvEEbEEEE10hipError_tPvRmT1_T2_T3_mmT4_T5_P12ihipStream_tbEUlRKxE_EESO_SS_ST_mSU_SX_bEUlT_E_NS1_11comp_targetILNS1_3genE10ELNS1_11target_archE1200ELNS1_3gpuE4ELNS1_3repE0EEENS1_30default_config_static_selectorELNS0_4arch9wavefront6targetE1EEEvSR_
	.globl	_ZN7rocprim17ROCPRIM_400000_NS6detail17trampoline_kernelINS0_14default_configENS1_27lower_bound_config_selectorIxN6thrust23THRUST_200600_302600_NS6detail10any_assignEEEZNS1_14transform_implILb0ES3_S9_NS7_15normal_iteratorINS6_10device_ptrIxEEEENS6_16discard_iteratorINS6_11use_defaultEEEZNS1_13binary_searchIS3_S9_SE_SE_SH_NS1_21lower_bound_search_opENS7_16wrapped_functionINS0_4lessIvEEbEEEE10hipError_tPvRmT1_T2_T3_mmT4_T5_P12ihipStream_tbEUlRKxE_EESO_SS_ST_mSU_SX_bEUlT_E_NS1_11comp_targetILNS1_3genE10ELNS1_11target_archE1200ELNS1_3gpuE4ELNS1_3repE0EEENS1_30default_config_static_selectorELNS0_4arch9wavefront6targetE1EEEvSR_
	.p2align	8
	.type	_ZN7rocprim17ROCPRIM_400000_NS6detail17trampoline_kernelINS0_14default_configENS1_27lower_bound_config_selectorIxN6thrust23THRUST_200600_302600_NS6detail10any_assignEEEZNS1_14transform_implILb0ES3_S9_NS7_15normal_iteratorINS6_10device_ptrIxEEEENS6_16discard_iteratorINS6_11use_defaultEEEZNS1_13binary_searchIS3_S9_SE_SE_SH_NS1_21lower_bound_search_opENS7_16wrapped_functionINS0_4lessIvEEbEEEE10hipError_tPvRmT1_T2_T3_mmT4_T5_P12ihipStream_tbEUlRKxE_EESO_SS_ST_mSU_SX_bEUlT_E_NS1_11comp_targetILNS1_3genE10ELNS1_11target_archE1200ELNS1_3gpuE4ELNS1_3repE0EEENS1_30default_config_static_selectorELNS0_4arch9wavefront6targetE1EEEvSR_,@function
_ZN7rocprim17ROCPRIM_400000_NS6detail17trampoline_kernelINS0_14default_configENS1_27lower_bound_config_selectorIxN6thrust23THRUST_200600_302600_NS6detail10any_assignEEEZNS1_14transform_implILb0ES3_S9_NS7_15normal_iteratorINS6_10device_ptrIxEEEENS6_16discard_iteratorINS6_11use_defaultEEEZNS1_13binary_searchIS3_S9_SE_SE_SH_NS1_21lower_bound_search_opENS7_16wrapped_functionINS0_4lessIvEEbEEEE10hipError_tPvRmT1_T2_T3_mmT4_T5_P12ihipStream_tbEUlRKxE_EESO_SS_ST_mSU_SX_bEUlT_E_NS1_11comp_targetILNS1_3genE10ELNS1_11target_archE1200ELNS1_3gpuE4ELNS1_3repE0EEENS1_30default_config_static_selectorELNS0_4arch9wavefront6targetE1EEEvSR_: ; @_ZN7rocprim17ROCPRIM_400000_NS6detail17trampoline_kernelINS0_14default_configENS1_27lower_bound_config_selectorIxN6thrust23THRUST_200600_302600_NS6detail10any_assignEEEZNS1_14transform_implILb0ES3_S9_NS7_15normal_iteratorINS6_10device_ptrIxEEEENS6_16discard_iteratorINS6_11use_defaultEEEZNS1_13binary_searchIS3_S9_SE_SE_SH_NS1_21lower_bound_search_opENS7_16wrapped_functionINS0_4lessIvEEbEEEE10hipError_tPvRmT1_T2_T3_mmT4_T5_P12ihipStream_tbEUlRKxE_EESO_SS_ST_mSU_SX_bEUlT_E_NS1_11comp_targetILNS1_3genE10ELNS1_11target_archE1200ELNS1_3gpuE4ELNS1_3repE0EEENS1_30default_config_static_selectorELNS0_4arch9wavefront6targetE1EEEvSR_
; %bb.0:
	.section	.rodata,"a",@progbits
	.p2align	6, 0x0
	.amdhsa_kernel _ZN7rocprim17ROCPRIM_400000_NS6detail17trampoline_kernelINS0_14default_configENS1_27lower_bound_config_selectorIxN6thrust23THRUST_200600_302600_NS6detail10any_assignEEEZNS1_14transform_implILb0ES3_S9_NS7_15normal_iteratorINS6_10device_ptrIxEEEENS6_16discard_iteratorINS6_11use_defaultEEEZNS1_13binary_searchIS3_S9_SE_SE_SH_NS1_21lower_bound_search_opENS7_16wrapped_functionINS0_4lessIvEEbEEEE10hipError_tPvRmT1_T2_T3_mmT4_T5_P12ihipStream_tbEUlRKxE_EESO_SS_ST_mSU_SX_bEUlT_E_NS1_11comp_targetILNS1_3genE10ELNS1_11target_archE1200ELNS1_3gpuE4ELNS1_3repE0EEENS1_30default_config_static_selectorELNS0_4arch9wavefront6targetE1EEEvSR_
		.amdhsa_group_segment_fixed_size 0
		.amdhsa_private_segment_fixed_size 0
		.amdhsa_kernarg_size 64
		.amdhsa_user_sgpr_count 6
		.amdhsa_user_sgpr_private_segment_buffer 1
		.amdhsa_user_sgpr_dispatch_ptr 0
		.amdhsa_user_sgpr_queue_ptr 0
		.amdhsa_user_sgpr_kernarg_segment_ptr 1
		.amdhsa_user_sgpr_dispatch_id 0
		.amdhsa_user_sgpr_flat_scratch_init 0
		.amdhsa_user_sgpr_kernarg_preload_length 0
		.amdhsa_user_sgpr_kernarg_preload_offset 0
		.amdhsa_user_sgpr_private_segment_size 0
		.amdhsa_uses_dynamic_stack 0
		.amdhsa_system_sgpr_private_segment_wavefront_offset 0
		.amdhsa_system_sgpr_workgroup_id_x 1
		.amdhsa_system_sgpr_workgroup_id_y 0
		.amdhsa_system_sgpr_workgroup_id_z 0
		.amdhsa_system_sgpr_workgroup_info 0
		.amdhsa_system_vgpr_workitem_id 0
		.amdhsa_next_free_vgpr 1
		.amdhsa_next_free_sgpr 0
		.amdhsa_accum_offset 4
		.amdhsa_reserve_vcc 0
		.amdhsa_reserve_flat_scratch 0
		.amdhsa_float_round_mode_32 0
		.amdhsa_float_round_mode_16_64 0
		.amdhsa_float_denorm_mode_32 3
		.amdhsa_float_denorm_mode_16_64 3
		.amdhsa_dx10_clamp 1
		.amdhsa_ieee_mode 1
		.amdhsa_fp16_overflow 0
		.amdhsa_tg_split 0
		.amdhsa_exception_fp_ieee_invalid_op 0
		.amdhsa_exception_fp_denorm_src 0
		.amdhsa_exception_fp_ieee_div_zero 0
		.amdhsa_exception_fp_ieee_overflow 0
		.amdhsa_exception_fp_ieee_underflow 0
		.amdhsa_exception_fp_ieee_inexact 0
		.amdhsa_exception_int_div_zero 0
	.end_amdhsa_kernel
	.section	.text._ZN7rocprim17ROCPRIM_400000_NS6detail17trampoline_kernelINS0_14default_configENS1_27lower_bound_config_selectorIxN6thrust23THRUST_200600_302600_NS6detail10any_assignEEEZNS1_14transform_implILb0ES3_S9_NS7_15normal_iteratorINS6_10device_ptrIxEEEENS6_16discard_iteratorINS6_11use_defaultEEEZNS1_13binary_searchIS3_S9_SE_SE_SH_NS1_21lower_bound_search_opENS7_16wrapped_functionINS0_4lessIvEEbEEEE10hipError_tPvRmT1_T2_T3_mmT4_T5_P12ihipStream_tbEUlRKxE_EESO_SS_ST_mSU_SX_bEUlT_E_NS1_11comp_targetILNS1_3genE10ELNS1_11target_archE1200ELNS1_3gpuE4ELNS1_3repE0EEENS1_30default_config_static_selectorELNS0_4arch9wavefront6targetE1EEEvSR_,"axG",@progbits,_ZN7rocprim17ROCPRIM_400000_NS6detail17trampoline_kernelINS0_14default_configENS1_27lower_bound_config_selectorIxN6thrust23THRUST_200600_302600_NS6detail10any_assignEEEZNS1_14transform_implILb0ES3_S9_NS7_15normal_iteratorINS6_10device_ptrIxEEEENS6_16discard_iteratorINS6_11use_defaultEEEZNS1_13binary_searchIS3_S9_SE_SE_SH_NS1_21lower_bound_search_opENS7_16wrapped_functionINS0_4lessIvEEbEEEE10hipError_tPvRmT1_T2_T3_mmT4_T5_P12ihipStream_tbEUlRKxE_EESO_SS_ST_mSU_SX_bEUlT_E_NS1_11comp_targetILNS1_3genE10ELNS1_11target_archE1200ELNS1_3gpuE4ELNS1_3repE0EEENS1_30default_config_static_selectorELNS0_4arch9wavefront6targetE1EEEvSR_,comdat
.Lfunc_end552:
	.size	_ZN7rocprim17ROCPRIM_400000_NS6detail17trampoline_kernelINS0_14default_configENS1_27lower_bound_config_selectorIxN6thrust23THRUST_200600_302600_NS6detail10any_assignEEEZNS1_14transform_implILb0ES3_S9_NS7_15normal_iteratorINS6_10device_ptrIxEEEENS6_16discard_iteratorINS6_11use_defaultEEEZNS1_13binary_searchIS3_S9_SE_SE_SH_NS1_21lower_bound_search_opENS7_16wrapped_functionINS0_4lessIvEEbEEEE10hipError_tPvRmT1_T2_T3_mmT4_T5_P12ihipStream_tbEUlRKxE_EESO_SS_ST_mSU_SX_bEUlT_E_NS1_11comp_targetILNS1_3genE10ELNS1_11target_archE1200ELNS1_3gpuE4ELNS1_3repE0EEENS1_30default_config_static_selectorELNS0_4arch9wavefront6targetE1EEEvSR_, .Lfunc_end552-_ZN7rocprim17ROCPRIM_400000_NS6detail17trampoline_kernelINS0_14default_configENS1_27lower_bound_config_selectorIxN6thrust23THRUST_200600_302600_NS6detail10any_assignEEEZNS1_14transform_implILb0ES3_S9_NS7_15normal_iteratorINS6_10device_ptrIxEEEENS6_16discard_iteratorINS6_11use_defaultEEEZNS1_13binary_searchIS3_S9_SE_SE_SH_NS1_21lower_bound_search_opENS7_16wrapped_functionINS0_4lessIvEEbEEEE10hipError_tPvRmT1_T2_T3_mmT4_T5_P12ihipStream_tbEUlRKxE_EESO_SS_ST_mSU_SX_bEUlT_E_NS1_11comp_targetILNS1_3genE10ELNS1_11target_archE1200ELNS1_3gpuE4ELNS1_3repE0EEENS1_30default_config_static_selectorELNS0_4arch9wavefront6targetE1EEEvSR_
                                        ; -- End function
	.section	.AMDGPU.csdata,"",@progbits
; Kernel info:
; codeLenInByte = 0
; NumSgprs: 4
; NumVgprs: 0
; NumAgprs: 0
; TotalNumVgprs: 0
; ScratchSize: 0
; MemoryBound: 0
; FloatMode: 240
; IeeeMode: 1
; LDSByteSize: 0 bytes/workgroup (compile time only)
; SGPRBlocks: 0
; VGPRBlocks: 0
; NumSGPRsForWavesPerEU: 4
; NumVGPRsForWavesPerEU: 1
; AccumOffset: 4
; Occupancy: 8
; WaveLimiterHint : 0
; COMPUTE_PGM_RSRC2:SCRATCH_EN: 0
; COMPUTE_PGM_RSRC2:USER_SGPR: 6
; COMPUTE_PGM_RSRC2:TRAP_HANDLER: 0
; COMPUTE_PGM_RSRC2:TGID_X_EN: 1
; COMPUTE_PGM_RSRC2:TGID_Y_EN: 0
; COMPUTE_PGM_RSRC2:TGID_Z_EN: 0
; COMPUTE_PGM_RSRC2:TIDIG_COMP_CNT: 0
; COMPUTE_PGM_RSRC3_GFX90A:ACCUM_OFFSET: 0
; COMPUTE_PGM_RSRC3_GFX90A:TG_SPLIT: 0
	.section	.text._ZN7rocprim17ROCPRIM_400000_NS6detail17trampoline_kernelINS0_14default_configENS1_27lower_bound_config_selectorIxN6thrust23THRUST_200600_302600_NS6detail10any_assignEEEZNS1_14transform_implILb0ES3_S9_NS7_15normal_iteratorINS6_10device_ptrIxEEEENS6_16discard_iteratorINS6_11use_defaultEEEZNS1_13binary_searchIS3_S9_SE_SE_SH_NS1_21lower_bound_search_opENS7_16wrapped_functionINS0_4lessIvEEbEEEE10hipError_tPvRmT1_T2_T3_mmT4_T5_P12ihipStream_tbEUlRKxE_EESO_SS_ST_mSU_SX_bEUlT_E_NS1_11comp_targetILNS1_3genE9ELNS1_11target_archE1100ELNS1_3gpuE3ELNS1_3repE0EEENS1_30default_config_static_selectorELNS0_4arch9wavefront6targetE1EEEvSR_,"axG",@progbits,_ZN7rocprim17ROCPRIM_400000_NS6detail17trampoline_kernelINS0_14default_configENS1_27lower_bound_config_selectorIxN6thrust23THRUST_200600_302600_NS6detail10any_assignEEEZNS1_14transform_implILb0ES3_S9_NS7_15normal_iteratorINS6_10device_ptrIxEEEENS6_16discard_iteratorINS6_11use_defaultEEEZNS1_13binary_searchIS3_S9_SE_SE_SH_NS1_21lower_bound_search_opENS7_16wrapped_functionINS0_4lessIvEEbEEEE10hipError_tPvRmT1_T2_T3_mmT4_T5_P12ihipStream_tbEUlRKxE_EESO_SS_ST_mSU_SX_bEUlT_E_NS1_11comp_targetILNS1_3genE9ELNS1_11target_archE1100ELNS1_3gpuE3ELNS1_3repE0EEENS1_30default_config_static_selectorELNS0_4arch9wavefront6targetE1EEEvSR_,comdat
	.protected	_ZN7rocprim17ROCPRIM_400000_NS6detail17trampoline_kernelINS0_14default_configENS1_27lower_bound_config_selectorIxN6thrust23THRUST_200600_302600_NS6detail10any_assignEEEZNS1_14transform_implILb0ES3_S9_NS7_15normal_iteratorINS6_10device_ptrIxEEEENS6_16discard_iteratorINS6_11use_defaultEEEZNS1_13binary_searchIS3_S9_SE_SE_SH_NS1_21lower_bound_search_opENS7_16wrapped_functionINS0_4lessIvEEbEEEE10hipError_tPvRmT1_T2_T3_mmT4_T5_P12ihipStream_tbEUlRKxE_EESO_SS_ST_mSU_SX_bEUlT_E_NS1_11comp_targetILNS1_3genE9ELNS1_11target_archE1100ELNS1_3gpuE3ELNS1_3repE0EEENS1_30default_config_static_selectorELNS0_4arch9wavefront6targetE1EEEvSR_ ; -- Begin function _ZN7rocprim17ROCPRIM_400000_NS6detail17trampoline_kernelINS0_14default_configENS1_27lower_bound_config_selectorIxN6thrust23THRUST_200600_302600_NS6detail10any_assignEEEZNS1_14transform_implILb0ES3_S9_NS7_15normal_iteratorINS6_10device_ptrIxEEEENS6_16discard_iteratorINS6_11use_defaultEEEZNS1_13binary_searchIS3_S9_SE_SE_SH_NS1_21lower_bound_search_opENS7_16wrapped_functionINS0_4lessIvEEbEEEE10hipError_tPvRmT1_T2_T3_mmT4_T5_P12ihipStream_tbEUlRKxE_EESO_SS_ST_mSU_SX_bEUlT_E_NS1_11comp_targetILNS1_3genE9ELNS1_11target_archE1100ELNS1_3gpuE3ELNS1_3repE0EEENS1_30default_config_static_selectorELNS0_4arch9wavefront6targetE1EEEvSR_
	.globl	_ZN7rocprim17ROCPRIM_400000_NS6detail17trampoline_kernelINS0_14default_configENS1_27lower_bound_config_selectorIxN6thrust23THRUST_200600_302600_NS6detail10any_assignEEEZNS1_14transform_implILb0ES3_S9_NS7_15normal_iteratorINS6_10device_ptrIxEEEENS6_16discard_iteratorINS6_11use_defaultEEEZNS1_13binary_searchIS3_S9_SE_SE_SH_NS1_21lower_bound_search_opENS7_16wrapped_functionINS0_4lessIvEEbEEEE10hipError_tPvRmT1_T2_T3_mmT4_T5_P12ihipStream_tbEUlRKxE_EESO_SS_ST_mSU_SX_bEUlT_E_NS1_11comp_targetILNS1_3genE9ELNS1_11target_archE1100ELNS1_3gpuE3ELNS1_3repE0EEENS1_30default_config_static_selectorELNS0_4arch9wavefront6targetE1EEEvSR_
	.p2align	8
	.type	_ZN7rocprim17ROCPRIM_400000_NS6detail17trampoline_kernelINS0_14default_configENS1_27lower_bound_config_selectorIxN6thrust23THRUST_200600_302600_NS6detail10any_assignEEEZNS1_14transform_implILb0ES3_S9_NS7_15normal_iteratorINS6_10device_ptrIxEEEENS6_16discard_iteratorINS6_11use_defaultEEEZNS1_13binary_searchIS3_S9_SE_SE_SH_NS1_21lower_bound_search_opENS7_16wrapped_functionINS0_4lessIvEEbEEEE10hipError_tPvRmT1_T2_T3_mmT4_T5_P12ihipStream_tbEUlRKxE_EESO_SS_ST_mSU_SX_bEUlT_E_NS1_11comp_targetILNS1_3genE9ELNS1_11target_archE1100ELNS1_3gpuE3ELNS1_3repE0EEENS1_30default_config_static_selectorELNS0_4arch9wavefront6targetE1EEEvSR_,@function
_ZN7rocprim17ROCPRIM_400000_NS6detail17trampoline_kernelINS0_14default_configENS1_27lower_bound_config_selectorIxN6thrust23THRUST_200600_302600_NS6detail10any_assignEEEZNS1_14transform_implILb0ES3_S9_NS7_15normal_iteratorINS6_10device_ptrIxEEEENS6_16discard_iteratorINS6_11use_defaultEEEZNS1_13binary_searchIS3_S9_SE_SE_SH_NS1_21lower_bound_search_opENS7_16wrapped_functionINS0_4lessIvEEbEEEE10hipError_tPvRmT1_T2_T3_mmT4_T5_P12ihipStream_tbEUlRKxE_EESO_SS_ST_mSU_SX_bEUlT_E_NS1_11comp_targetILNS1_3genE9ELNS1_11target_archE1100ELNS1_3gpuE3ELNS1_3repE0EEENS1_30default_config_static_selectorELNS0_4arch9wavefront6targetE1EEEvSR_: ; @_ZN7rocprim17ROCPRIM_400000_NS6detail17trampoline_kernelINS0_14default_configENS1_27lower_bound_config_selectorIxN6thrust23THRUST_200600_302600_NS6detail10any_assignEEEZNS1_14transform_implILb0ES3_S9_NS7_15normal_iteratorINS6_10device_ptrIxEEEENS6_16discard_iteratorINS6_11use_defaultEEEZNS1_13binary_searchIS3_S9_SE_SE_SH_NS1_21lower_bound_search_opENS7_16wrapped_functionINS0_4lessIvEEbEEEE10hipError_tPvRmT1_T2_T3_mmT4_T5_P12ihipStream_tbEUlRKxE_EESO_SS_ST_mSU_SX_bEUlT_E_NS1_11comp_targetILNS1_3genE9ELNS1_11target_archE1100ELNS1_3gpuE3ELNS1_3repE0EEENS1_30default_config_static_selectorELNS0_4arch9wavefront6targetE1EEEvSR_
; %bb.0:
	.section	.rodata,"a",@progbits
	.p2align	6, 0x0
	.amdhsa_kernel _ZN7rocprim17ROCPRIM_400000_NS6detail17trampoline_kernelINS0_14default_configENS1_27lower_bound_config_selectorIxN6thrust23THRUST_200600_302600_NS6detail10any_assignEEEZNS1_14transform_implILb0ES3_S9_NS7_15normal_iteratorINS6_10device_ptrIxEEEENS6_16discard_iteratorINS6_11use_defaultEEEZNS1_13binary_searchIS3_S9_SE_SE_SH_NS1_21lower_bound_search_opENS7_16wrapped_functionINS0_4lessIvEEbEEEE10hipError_tPvRmT1_T2_T3_mmT4_T5_P12ihipStream_tbEUlRKxE_EESO_SS_ST_mSU_SX_bEUlT_E_NS1_11comp_targetILNS1_3genE9ELNS1_11target_archE1100ELNS1_3gpuE3ELNS1_3repE0EEENS1_30default_config_static_selectorELNS0_4arch9wavefront6targetE1EEEvSR_
		.amdhsa_group_segment_fixed_size 0
		.amdhsa_private_segment_fixed_size 0
		.amdhsa_kernarg_size 64
		.amdhsa_user_sgpr_count 6
		.amdhsa_user_sgpr_private_segment_buffer 1
		.amdhsa_user_sgpr_dispatch_ptr 0
		.amdhsa_user_sgpr_queue_ptr 0
		.amdhsa_user_sgpr_kernarg_segment_ptr 1
		.amdhsa_user_sgpr_dispatch_id 0
		.amdhsa_user_sgpr_flat_scratch_init 0
		.amdhsa_user_sgpr_kernarg_preload_length 0
		.amdhsa_user_sgpr_kernarg_preload_offset 0
		.amdhsa_user_sgpr_private_segment_size 0
		.amdhsa_uses_dynamic_stack 0
		.amdhsa_system_sgpr_private_segment_wavefront_offset 0
		.amdhsa_system_sgpr_workgroup_id_x 1
		.amdhsa_system_sgpr_workgroup_id_y 0
		.amdhsa_system_sgpr_workgroup_id_z 0
		.amdhsa_system_sgpr_workgroup_info 0
		.amdhsa_system_vgpr_workitem_id 0
		.amdhsa_next_free_vgpr 1
		.amdhsa_next_free_sgpr 0
		.amdhsa_accum_offset 4
		.amdhsa_reserve_vcc 0
		.amdhsa_reserve_flat_scratch 0
		.amdhsa_float_round_mode_32 0
		.amdhsa_float_round_mode_16_64 0
		.amdhsa_float_denorm_mode_32 3
		.amdhsa_float_denorm_mode_16_64 3
		.amdhsa_dx10_clamp 1
		.amdhsa_ieee_mode 1
		.amdhsa_fp16_overflow 0
		.amdhsa_tg_split 0
		.amdhsa_exception_fp_ieee_invalid_op 0
		.amdhsa_exception_fp_denorm_src 0
		.amdhsa_exception_fp_ieee_div_zero 0
		.amdhsa_exception_fp_ieee_overflow 0
		.amdhsa_exception_fp_ieee_underflow 0
		.amdhsa_exception_fp_ieee_inexact 0
		.amdhsa_exception_int_div_zero 0
	.end_amdhsa_kernel
	.section	.text._ZN7rocprim17ROCPRIM_400000_NS6detail17trampoline_kernelINS0_14default_configENS1_27lower_bound_config_selectorIxN6thrust23THRUST_200600_302600_NS6detail10any_assignEEEZNS1_14transform_implILb0ES3_S9_NS7_15normal_iteratorINS6_10device_ptrIxEEEENS6_16discard_iteratorINS6_11use_defaultEEEZNS1_13binary_searchIS3_S9_SE_SE_SH_NS1_21lower_bound_search_opENS7_16wrapped_functionINS0_4lessIvEEbEEEE10hipError_tPvRmT1_T2_T3_mmT4_T5_P12ihipStream_tbEUlRKxE_EESO_SS_ST_mSU_SX_bEUlT_E_NS1_11comp_targetILNS1_3genE9ELNS1_11target_archE1100ELNS1_3gpuE3ELNS1_3repE0EEENS1_30default_config_static_selectorELNS0_4arch9wavefront6targetE1EEEvSR_,"axG",@progbits,_ZN7rocprim17ROCPRIM_400000_NS6detail17trampoline_kernelINS0_14default_configENS1_27lower_bound_config_selectorIxN6thrust23THRUST_200600_302600_NS6detail10any_assignEEEZNS1_14transform_implILb0ES3_S9_NS7_15normal_iteratorINS6_10device_ptrIxEEEENS6_16discard_iteratorINS6_11use_defaultEEEZNS1_13binary_searchIS3_S9_SE_SE_SH_NS1_21lower_bound_search_opENS7_16wrapped_functionINS0_4lessIvEEbEEEE10hipError_tPvRmT1_T2_T3_mmT4_T5_P12ihipStream_tbEUlRKxE_EESO_SS_ST_mSU_SX_bEUlT_E_NS1_11comp_targetILNS1_3genE9ELNS1_11target_archE1100ELNS1_3gpuE3ELNS1_3repE0EEENS1_30default_config_static_selectorELNS0_4arch9wavefront6targetE1EEEvSR_,comdat
.Lfunc_end553:
	.size	_ZN7rocprim17ROCPRIM_400000_NS6detail17trampoline_kernelINS0_14default_configENS1_27lower_bound_config_selectorIxN6thrust23THRUST_200600_302600_NS6detail10any_assignEEEZNS1_14transform_implILb0ES3_S9_NS7_15normal_iteratorINS6_10device_ptrIxEEEENS6_16discard_iteratorINS6_11use_defaultEEEZNS1_13binary_searchIS3_S9_SE_SE_SH_NS1_21lower_bound_search_opENS7_16wrapped_functionINS0_4lessIvEEbEEEE10hipError_tPvRmT1_T2_T3_mmT4_T5_P12ihipStream_tbEUlRKxE_EESO_SS_ST_mSU_SX_bEUlT_E_NS1_11comp_targetILNS1_3genE9ELNS1_11target_archE1100ELNS1_3gpuE3ELNS1_3repE0EEENS1_30default_config_static_selectorELNS0_4arch9wavefront6targetE1EEEvSR_, .Lfunc_end553-_ZN7rocprim17ROCPRIM_400000_NS6detail17trampoline_kernelINS0_14default_configENS1_27lower_bound_config_selectorIxN6thrust23THRUST_200600_302600_NS6detail10any_assignEEEZNS1_14transform_implILb0ES3_S9_NS7_15normal_iteratorINS6_10device_ptrIxEEEENS6_16discard_iteratorINS6_11use_defaultEEEZNS1_13binary_searchIS3_S9_SE_SE_SH_NS1_21lower_bound_search_opENS7_16wrapped_functionINS0_4lessIvEEbEEEE10hipError_tPvRmT1_T2_T3_mmT4_T5_P12ihipStream_tbEUlRKxE_EESO_SS_ST_mSU_SX_bEUlT_E_NS1_11comp_targetILNS1_3genE9ELNS1_11target_archE1100ELNS1_3gpuE3ELNS1_3repE0EEENS1_30default_config_static_selectorELNS0_4arch9wavefront6targetE1EEEvSR_
                                        ; -- End function
	.section	.AMDGPU.csdata,"",@progbits
; Kernel info:
; codeLenInByte = 0
; NumSgprs: 4
; NumVgprs: 0
; NumAgprs: 0
; TotalNumVgprs: 0
; ScratchSize: 0
; MemoryBound: 0
; FloatMode: 240
; IeeeMode: 1
; LDSByteSize: 0 bytes/workgroup (compile time only)
; SGPRBlocks: 0
; VGPRBlocks: 0
; NumSGPRsForWavesPerEU: 4
; NumVGPRsForWavesPerEU: 1
; AccumOffset: 4
; Occupancy: 8
; WaveLimiterHint : 0
; COMPUTE_PGM_RSRC2:SCRATCH_EN: 0
; COMPUTE_PGM_RSRC2:USER_SGPR: 6
; COMPUTE_PGM_RSRC2:TRAP_HANDLER: 0
; COMPUTE_PGM_RSRC2:TGID_X_EN: 1
; COMPUTE_PGM_RSRC2:TGID_Y_EN: 0
; COMPUTE_PGM_RSRC2:TGID_Z_EN: 0
; COMPUTE_PGM_RSRC2:TIDIG_COMP_CNT: 0
; COMPUTE_PGM_RSRC3_GFX90A:ACCUM_OFFSET: 0
; COMPUTE_PGM_RSRC3_GFX90A:TG_SPLIT: 0
	.section	.text._ZN7rocprim17ROCPRIM_400000_NS6detail17trampoline_kernelINS0_14default_configENS1_27lower_bound_config_selectorIxN6thrust23THRUST_200600_302600_NS6detail10any_assignEEEZNS1_14transform_implILb0ES3_S9_NS7_15normal_iteratorINS6_10device_ptrIxEEEENS6_16discard_iteratorINS6_11use_defaultEEEZNS1_13binary_searchIS3_S9_SE_SE_SH_NS1_21lower_bound_search_opENS7_16wrapped_functionINS0_4lessIvEEbEEEE10hipError_tPvRmT1_T2_T3_mmT4_T5_P12ihipStream_tbEUlRKxE_EESO_SS_ST_mSU_SX_bEUlT_E_NS1_11comp_targetILNS1_3genE8ELNS1_11target_archE1030ELNS1_3gpuE2ELNS1_3repE0EEENS1_30default_config_static_selectorELNS0_4arch9wavefront6targetE1EEEvSR_,"axG",@progbits,_ZN7rocprim17ROCPRIM_400000_NS6detail17trampoline_kernelINS0_14default_configENS1_27lower_bound_config_selectorIxN6thrust23THRUST_200600_302600_NS6detail10any_assignEEEZNS1_14transform_implILb0ES3_S9_NS7_15normal_iteratorINS6_10device_ptrIxEEEENS6_16discard_iteratorINS6_11use_defaultEEEZNS1_13binary_searchIS3_S9_SE_SE_SH_NS1_21lower_bound_search_opENS7_16wrapped_functionINS0_4lessIvEEbEEEE10hipError_tPvRmT1_T2_T3_mmT4_T5_P12ihipStream_tbEUlRKxE_EESO_SS_ST_mSU_SX_bEUlT_E_NS1_11comp_targetILNS1_3genE8ELNS1_11target_archE1030ELNS1_3gpuE2ELNS1_3repE0EEENS1_30default_config_static_selectorELNS0_4arch9wavefront6targetE1EEEvSR_,comdat
	.protected	_ZN7rocprim17ROCPRIM_400000_NS6detail17trampoline_kernelINS0_14default_configENS1_27lower_bound_config_selectorIxN6thrust23THRUST_200600_302600_NS6detail10any_assignEEEZNS1_14transform_implILb0ES3_S9_NS7_15normal_iteratorINS6_10device_ptrIxEEEENS6_16discard_iteratorINS6_11use_defaultEEEZNS1_13binary_searchIS3_S9_SE_SE_SH_NS1_21lower_bound_search_opENS7_16wrapped_functionINS0_4lessIvEEbEEEE10hipError_tPvRmT1_T2_T3_mmT4_T5_P12ihipStream_tbEUlRKxE_EESO_SS_ST_mSU_SX_bEUlT_E_NS1_11comp_targetILNS1_3genE8ELNS1_11target_archE1030ELNS1_3gpuE2ELNS1_3repE0EEENS1_30default_config_static_selectorELNS0_4arch9wavefront6targetE1EEEvSR_ ; -- Begin function _ZN7rocprim17ROCPRIM_400000_NS6detail17trampoline_kernelINS0_14default_configENS1_27lower_bound_config_selectorIxN6thrust23THRUST_200600_302600_NS6detail10any_assignEEEZNS1_14transform_implILb0ES3_S9_NS7_15normal_iteratorINS6_10device_ptrIxEEEENS6_16discard_iteratorINS6_11use_defaultEEEZNS1_13binary_searchIS3_S9_SE_SE_SH_NS1_21lower_bound_search_opENS7_16wrapped_functionINS0_4lessIvEEbEEEE10hipError_tPvRmT1_T2_T3_mmT4_T5_P12ihipStream_tbEUlRKxE_EESO_SS_ST_mSU_SX_bEUlT_E_NS1_11comp_targetILNS1_3genE8ELNS1_11target_archE1030ELNS1_3gpuE2ELNS1_3repE0EEENS1_30default_config_static_selectorELNS0_4arch9wavefront6targetE1EEEvSR_
	.globl	_ZN7rocprim17ROCPRIM_400000_NS6detail17trampoline_kernelINS0_14default_configENS1_27lower_bound_config_selectorIxN6thrust23THRUST_200600_302600_NS6detail10any_assignEEEZNS1_14transform_implILb0ES3_S9_NS7_15normal_iteratorINS6_10device_ptrIxEEEENS6_16discard_iteratorINS6_11use_defaultEEEZNS1_13binary_searchIS3_S9_SE_SE_SH_NS1_21lower_bound_search_opENS7_16wrapped_functionINS0_4lessIvEEbEEEE10hipError_tPvRmT1_T2_T3_mmT4_T5_P12ihipStream_tbEUlRKxE_EESO_SS_ST_mSU_SX_bEUlT_E_NS1_11comp_targetILNS1_3genE8ELNS1_11target_archE1030ELNS1_3gpuE2ELNS1_3repE0EEENS1_30default_config_static_selectorELNS0_4arch9wavefront6targetE1EEEvSR_
	.p2align	8
	.type	_ZN7rocprim17ROCPRIM_400000_NS6detail17trampoline_kernelINS0_14default_configENS1_27lower_bound_config_selectorIxN6thrust23THRUST_200600_302600_NS6detail10any_assignEEEZNS1_14transform_implILb0ES3_S9_NS7_15normal_iteratorINS6_10device_ptrIxEEEENS6_16discard_iteratorINS6_11use_defaultEEEZNS1_13binary_searchIS3_S9_SE_SE_SH_NS1_21lower_bound_search_opENS7_16wrapped_functionINS0_4lessIvEEbEEEE10hipError_tPvRmT1_T2_T3_mmT4_T5_P12ihipStream_tbEUlRKxE_EESO_SS_ST_mSU_SX_bEUlT_E_NS1_11comp_targetILNS1_3genE8ELNS1_11target_archE1030ELNS1_3gpuE2ELNS1_3repE0EEENS1_30default_config_static_selectorELNS0_4arch9wavefront6targetE1EEEvSR_,@function
_ZN7rocprim17ROCPRIM_400000_NS6detail17trampoline_kernelINS0_14default_configENS1_27lower_bound_config_selectorIxN6thrust23THRUST_200600_302600_NS6detail10any_assignEEEZNS1_14transform_implILb0ES3_S9_NS7_15normal_iteratorINS6_10device_ptrIxEEEENS6_16discard_iteratorINS6_11use_defaultEEEZNS1_13binary_searchIS3_S9_SE_SE_SH_NS1_21lower_bound_search_opENS7_16wrapped_functionINS0_4lessIvEEbEEEE10hipError_tPvRmT1_T2_T3_mmT4_T5_P12ihipStream_tbEUlRKxE_EESO_SS_ST_mSU_SX_bEUlT_E_NS1_11comp_targetILNS1_3genE8ELNS1_11target_archE1030ELNS1_3gpuE2ELNS1_3repE0EEENS1_30default_config_static_selectorELNS0_4arch9wavefront6targetE1EEEvSR_: ; @_ZN7rocprim17ROCPRIM_400000_NS6detail17trampoline_kernelINS0_14default_configENS1_27lower_bound_config_selectorIxN6thrust23THRUST_200600_302600_NS6detail10any_assignEEEZNS1_14transform_implILb0ES3_S9_NS7_15normal_iteratorINS6_10device_ptrIxEEEENS6_16discard_iteratorINS6_11use_defaultEEEZNS1_13binary_searchIS3_S9_SE_SE_SH_NS1_21lower_bound_search_opENS7_16wrapped_functionINS0_4lessIvEEbEEEE10hipError_tPvRmT1_T2_T3_mmT4_T5_P12ihipStream_tbEUlRKxE_EESO_SS_ST_mSU_SX_bEUlT_E_NS1_11comp_targetILNS1_3genE8ELNS1_11target_archE1030ELNS1_3gpuE2ELNS1_3repE0EEENS1_30default_config_static_selectorELNS0_4arch9wavefront6targetE1EEEvSR_
; %bb.0:
	.section	.rodata,"a",@progbits
	.p2align	6, 0x0
	.amdhsa_kernel _ZN7rocprim17ROCPRIM_400000_NS6detail17trampoline_kernelINS0_14default_configENS1_27lower_bound_config_selectorIxN6thrust23THRUST_200600_302600_NS6detail10any_assignEEEZNS1_14transform_implILb0ES3_S9_NS7_15normal_iteratorINS6_10device_ptrIxEEEENS6_16discard_iteratorINS6_11use_defaultEEEZNS1_13binary_searchIS3_S9_SE_SE_SH_NS1_21lower_bound_search_opENS7_16wrapped_functionINS0_4lessIvEEbEEEE10hipError_tPvRmT1_T2_T3_mmT4_T5_P12ihipStream_tbEUlRKxE_EESO_SS_ST_mSU_SX_bEUlT_E_NS1_11comp_targetILNS1_3genE8ELNS1_11target_archE1030ELNS1_3gpuE2ELNS1_3repE0EEENS1_30default_config_static_selectorELNS0_4arch9wavefront6targetE1EEEvSR_
		.amdhsa_group_segment_fixed_size 0
		.amdhsa_private_segment_fixed_size 0
		.amdhsa_kernarg_size 64
		.amdhsa_user_sgpr_count 6
		.amdhsa_user_sgpr_private_segment_buffer 1
		.amdhsa_user_sgpr_dispatch_ptr 0
		.amdhsa_user_sgpr_queue_ptr 0
		.amdhsa_user_sgpr_kernarg_segment_ptr 1
		.amdhsa_user_sgpr_dispatch_id 0
		.amdhsa_user_sgpr_flat_scratch_init 0
		.amdhsa_user_sgpr_kernarg_preload_length 0
		.amdhsa_user_sgpr_kernarg_preload_offset 0
		.amdhsa_user_sgpr_private_segment_size 0
		.amdhsa_uses_dynamic_stack 0
		.amdhsa_system_sgpr_private_segment_wavefront_offset 0
		.amdhsa_system_sgpr_workgroup_id_x 1
		.amdhsa_system_sgpr_workgroup_id_y 0
		.amdhsa_system_sgpr_workgroup_id_z 0
		.amdhsa_system_sgpr_workgroup_info 0
		.amdhsa_system_vgpr_workitem_id 0
		.amdhsa_next_free_vgpr 1
		.amdhsa_next_free_sgpr 0
		.amdhsa_accum_offset 4
		.amdhsa_reserve_vcc 0
		.amdhsa_reserve_flat_scratch 0
		.amdhsa_float_round_mode_32 0
		.amdhsa_float_round_mode_16_64 0
		.amdhsa_float_denorm_mode_32 3
		.amdhsa_float_denorm_mode_16_64 3
		.amdhsa_dx10_clamp 1
		.amdhsa_ieee_mode 1
		.amdhsa_fp16_overflow 0
		.amdhsa_tg_split 0
		.amdhsa_exception_fp_ieee_invalid_op 0
		.amdhsa_exception_fp_denorm_src 0
		.amdhsa_exception_fp_ieee_div_zero 0
		.amdhsa_exception_fp_ieee_overflow 0
		.amdhsa_exception_fp_ieee_underflow 0
		.amdhsa_exception_fp_ieee_inexact 0
		.amdhsa_exception_int_div_zero 0
	.end_amdhsa_kernel
	.section	.text._ZN7rocprim17ROCPRIM_400000_NS6detail17trampoline_kernelINS0_14default_configENS1_27lower_bound_config_selectorIxN6thrust23THRUST_200600_302600_NS6detail10any_assignEEEZNS1_14transform_implILb0ES3_S9_NS7_15normal_iteratorINS6_10device_ptrIxEEEENS6_16discard_iteratorINS6_11use_defaultEEEZNS1_13binary_searchIS3_S9_SE_SE_SH_NS1_21lower_bound_search_opENS7_16wrapped_functionINS0_4lessIvEEbEEEE10hipError_tPvRmT1_T2_T3_mmT4_T5_P12ihipStream_tbEUlRKxE_EESO_SS_ST_mSU_SX_bEUlT_E_NS1_11comp_targetILNS1_3genE8ELNS1_11target_archE1030ELNS1_3gpuE2ELNS1_3repE0EEENS1_30default_config_static_selectorELNS0_4arch9wavefront6targetE1EEEvSR_,"axG",@progbits,_ZN7rocprim17ROCPRIM_400000_NS6detail17trampoline_kernelINS0_14default_configENS1_27lower_bound_config_selectorIxN6thrust23THRUST_200600_302600_NS6detail10any_assignEEEZNS1_14transform_implILb0ES3_S9_NS7_15normal_iteratorINS6_10device_ptrIxEEEENS6_16discard_iteratorINS6_11use_defaultEEEZNS1_13binary_searchIS3_S9_SE_SE_SH_NS1_21lower_bound_search_opENS7_16wrapped_functionINS0_4lessIvEEbEEEE10hipError_tPvRmT1_T2_T3_mmT4_T5_P12ihipStream_tbEUlRKxE_EESO_SS_ST_mSU_SX_bEUlT_E_NS1_11comp_targetILNS1_3genE8ELNS1_11target_archE1030ELNS1_3gpuE2ELNS1_3repE0EEENS1_30default_config_static_selectorELNS0_4arch9wavefront6targetE1EEEvSR_,comdat
.Lfunc_end554:
	.size	_ZN7rocprim17ROCPRIM_400000_NS6detail17trampoline_kernelINS0_14default_configENS1_27lower_bound_config_selectorIxN6thrust23THRUST_200600_302600_NS6detail10any_assignEEEZNS1_14transform_implILb0ES3_S9_NS7_15normal_iteratorINS6_10device_ptrIxEEEENS6_16discard_iteratorINS6_11use_defaultEEEZNS1_13binary_searchIS3_S9_SE_SE_SH_NS1_21lower_bound_search_opENS7_16wrapped_functionINS0_4lessIvEEbEEEE10hipError_tPvRmT1_T2_T3_mmT4_T5_P12ihipStream_tbEUlRKxE_EESO_SS_ST_mSU_SX_bEUlT_E_NS1_11comp_targetILNS1_3genE8ELNS1_11target_archE1030ELNS1_3gpuE2ELNS1_3repE0EEENS1_30default_config_static_selectorELNS0_4arch9wavefront6targetE1EEEvSR_, .Lfunc_end554-_ZN7rocprim17ROCPRIM_400000_NS6detail17trampoline_kernelINS0_14default_configENS1_27lower_bound_config_selectorIxN6thrust23THRUST_200600_302600_NS6detail10any_assignEEEZNS1_14transform_implILb0ES3_S9_NS7_15normal_iteratorINS6_10device_ptrIxEEEENS6_16discard_iteratorINS6_11use_defaultEEEZNS1_13binary_searchIS3_S9_SE_SE_SH_NS1_21lower_bound_search_opENS7_16wrapped_functionINS0_4lessIvEEbEEEE10hipError_tPvRmT1_T2_T3_mmT4_T5_P12ihipStream_tbEUlRKxE_EESO_SS_ST_mSU_SX_bEUlT_E_NS1_11comp_targetILNS1_3genE8ELNS1_11target_archE1030ELNS1_3gpuE2ELNS1_3repE0EEENS1_30default_config_static_selectorELNS0_4arch9wavefront6targetE1EEEvSR_
                                        ; -- End function
	.section	.AMDGPU.csdata,"",@progbits
; Kernel info:
; codeLenInByte = 0
; NumSgprs: 4
; NumVgprs: 0
; NumAgprs: 0
; TotalNumVgprs: 0
; ScratchSize: 0
; MemoryBound: 0
; FloatMode: 240
; IeeeMode: 1
; LDSByteSize: 0 bytes/workgroup (compile time only)
; SGPRBlocks: 0
; VGPRBlocks: 0
; NumSGPRsForWavesPerEU: 4
; NumVGPRsForWavesPerEU: 1
; AccumOffset: 4
; Occupancy: 8
; WaveLimiterHint : 0
; COMPUTE_PGM_RSRC2:SCRATCH_EN: 0
; COMPUTE_PGM_RSRC2:USER_SGPR: 6
; COMPUTE_PGM_RSRC2:TRAP_HANDLER: 0
; COMPUTE_PGM_RSRC2:TGID_X_EN: 1
; COMPUTE_PGM_RSRC2:TGID_Y_EN: 0
; COMPUTE_PGM_RSRC2:TGID_Z_EN: 0
; COMPUTE_PGM_RSRC2:TIDIG_COMP_CNT: 0
; COMPUTE_PGM_RSRC3_GFX90A:ACCUM_OFFSET: 0
; COMPUTE_PGM_RSRC3_GFX90A:TG_SPLIT: 0
	.section	.text._ZN7rocprim17ROCPRIM_400000_NS6detail17trampoline_kernelINS0_14default_configENS1_27lower_bound_config_selectorIiN6thrust23THRUST_200600_302600_NS6detail10any_assignEEEZNS1_14transform_implILb0ES3_S9_NS7_15normal_iteratorINS6_10device_ptrIiEEEENS6_16discard_iteratorINS6_11use_defaultEEEZNS1_13binary_searchIS3_S9_SE_SE_SH_NS1_21lower_bound_search_opENS7_16wrapped_functionINS0_4lessIvEEbEEEE10hipError_tPvRmT1_T2_T3_mmT4_T5_P12ihipStream_tbEUlRKiE_EESO_SS_ST_mSU_SX_bEUlT_E_NS1_11comp_targetILNS1_3genE0ELNS1_11target_archE4294967295ELNS1_3gpuE0ELNS1_3repE0EEENS1_30default_config_static_selectorELNS0_4arch9wavefront6targetE1EEEvSR_,"axG",@progbits,_ZN7rocprim17ROCPRIM_400000_NS6detail17trampoline_kernelINS0_14default_configENS1_27lower_bound_config_selectorIiN6thrust23THRUST_200600_302600_NS6detail10any_assignEEEZNS1_14transform_implILb0ES3_S9_NS7_15normal_iteratorINS6_10device_ptrIiEEEENS6_16discard_iteratorINS6_11use_defaultEEEZNS1_13binary_searchIS3_S9_SE_SE_SH_NS1_21lower_bound_search_opENS7_16wrapped_functionINS0_4lessIvEEbEEEE10hipError_tPvRmT1_T2_T3_mmT4_T5_P12ihipStream_tbEUlRKiE_EESO_SS_ST_mSU_SX_bEUlT_E_NS1_11comp_targetILNS1_3genE0ELNS1_11target_archE4294967295ELNS1_3gpuE0ELNS1_3repE0EEENS1_30default_config_static_selectorELNS0_4arch9wavefront6targetE1EEEvSR_,comdat
	.protected	_ZN7rocprim17ROCPRIM_400000_NS6detail17trampoline_kernelINS0_14default_configENS1_27lower_bound_config_selectorIiN6thrust23THRUST_200600_302600_NS6detail10any_assignEEEZNS1_14transform_implILb0ES3_S9_NS7_15normal_iteratorINS6_10device_ptrIiEEEENS6_16discard_iteratorINS6_11use_defaultEEEZNS1_13binary_searchIS3_S9_SE_SE_SH_NS1_21lower_bound_search_opENS7_16wrapped_functionINS0_4lessIvEEbEEEE10hipError_tPvRmT1_T2_T3_mmT4_T5_P12ihipStream_tbEUlRKiE_EESO_SS_ST_mSU_SX_bEUlT_E_NS1_11comp_targetILNS1_3genE0ELNS1_11target_archE4294967295ELNS1_3gpuE0ELNS1_3repE0EEENS1_30default_config_static_selectorELNS0_4arch9wavefront6targetE1EEEvSR_ ; -- Begin function _ZN7rocprim17ROCPRIM_400000_NS6detail17trampoline_kernelINS0_14default_configENS1_27lower_bound_config_selectorIiN6thrust23THRUST_200600_302600_NS6detail10any_assignEEEZNS1_14transform_implILb0ES3_S9_NS7_15normal_iteratorINS6_10device_ptrIiEEEENS6_16discard_iteratorINS6_11use_defaultEEEZNS1_13binary_searchIS3_S9_SE_SE_SH_NS1_21lower_bound_search_opENS7_16wrapped_functionINS0_4lessIvEEbEEEE10hipError_tPvRmT1_T2_T3_mmT4_T5_P12ihipStream_tbEUlRKiE_EESO_SS_ST_mSU_SX_bEUlT_E_NS1_11comp_targetILNS1_3genE0ELNS1_11target_archE4294967295ELNS1_3gpuE0ELNS1_3repE0EEENS1_30default_config_static_selectorELNS0_4arch9wavefront6targetE1EEEvSR_
	.globl	_ZN7rocprim17ROCPRIM_400000_NS6detail17trampoline_kernelINS0_14default_configENS1_27lower_bound_config_selectorIiN6thrust23THRUST_200600_302600_NS6detail10any_assignEEEZNS1_14transform_implILb0ES3_S9_NS7_15normal_iteratorINS6_10device_ptrIiEEEENS6_16discard_iteratorINS6_11use_defaultEEEZNS1_13binary_searchIS3_S9_SE_SE_SH_NS1_21lower_bound_search_opENS7_16wrapped_functionINS0_4lessIvEEbEEEE10hipError_tPvRmT1_T2_T3_mmT4_T5_P12ihipStream_tbEUlRKiE_EESO_SS_ST_mSU_SX_bEUlT_E_NS1_11comp_targetILNS1_3genE0ELNS1_11target_archE4294967295ELNS1_3gpuE0ELNS1_3repE0EEENS1_30default_config_static_selectorELNS0_4arch9wavefront6targetE1EEEvSR_
	.p2align	8
	.type	_ZN7rocprim17ROCPRIM_400000_NS6detail17trampoline_kernelINS0_14default_configENS1_27lower_bound_config_selectorIiN6thrust23THRUST_200600_302600_NS6detail10any_assignEEEZNS1_14transform_implILb0ES3_S9_NS7_15normal_iteratorINS6_10device_ptrIiEEEENS6_16discard_iteratorINS6_11use_defaultEEEZNS1_13binary_searchIS3_S9_SE_SE_SH_NS1_21lower_bound_search_opENS7_16wrapped_functionINS0_4lessIvEEbEEEE10hipError_tPvRmT1_T2_T3_mmT4_T5_P12ihipStream_tbEUlRKiE_EESO_SS_ST_mSU_SX_bEUlT_E_NS1_11comp_targetILNS1_3genE0ELNS1_11target_archE4294967295ELNS1_3gpuE0ELNS1_3repE0EEENS1_30default_config_static_selectorELNS0_4arch9wavefront6targetE1EEEvSR_,@function
_ZN7rocprim17ROCPRIM_400000_NS6detail17trampoline_kernelINS0_14default_configENS1_27lower_bound_config_selectorIiN6thrust23THRUST_200600_302600_NS6detail10any_assignEEEZNS1_14transform_implILb0ES3_S9_NS7_15normal_iteratorINS6_10device_ptrIiEEEENS6_16discard_iteratorINS6_11use_defaultEEEZNS1_13binary_searchIS3_S9_SE_SE_SH_NS1_21lower_bound_search_opENS7_16wrapped_functionINS0_4lessIvEEbEEEE10hipError_tPvRmT1_T2_T3_mmT4_T5_P12ihipStream_tbEUlRKiE_EESO_SS_ST_mSU_SX_bEUlT_E_NS1_11comp_targetILNS1_3genE0ELNS1_11target_archE4294967295ELNS1_3gpuE0ELNS1_3repE0EEENS1_30default_config_static_selectorELNS0_4arch9wavefront6targetE1EEEvSR_: ; @_ZN7rocprim17ROCPRIM_400000_NS6detail17trampoline_kernelINS0_14default_configENS1_27lower_bound_config_selectorIiN6thrust23THRUST_200600_302600_NS6detail10any_assignEEEZNS1_14transform_implILb0ES3_S9_NS7_15normal_iteratorINS6_10device_ptrIiEEEENS6_16discard_iteratorINS6_11use_defaultEEEZNS1_13binary_searchIS3_S9_SE_SE_SH_NS1_21lower_bound_search_opENS7_16wrapped_functionINS0_4lessIvEEbEEEE10hipError_tPvRmT1_T2_T3_mmT4_T5_P12ihipStream_tbEUlRKiE_EESO_SS_ST_mSU_SX_bEUlT_E_NS1_11comp_targetILNS1_3genE0ELNS1_11target_archE4294967295ELNS1_3gpuE0ELNS1_3repE0EEENS1_30default_config_static_selectorELNS0_4arch9wavefront6targetE1EEEvSR_
; %bb.0:
	.section	.rodata,"a",@progbits
	.p2align	6, 0x0
	.amdhsa_kernel _ZN7rocprim17ROCPRIM_400000_NS6detail17trampoline_kernelINS0_14default_configENS1_27lower_bound_config_selectorIiN6thrust23THRUST_200600_302600_NS6detail10any_assignEEEZNS1_14transform_implILb0ES3_S9_NS7_15normal_iteratorINS6_10device_ptrIiEEEENS6_16discard_iteratorINS6_11use_defaultEEEZNS1_13binary_searchIS3_S9_SE_SE_SH_NS1_21lower_bound_search_opENS7_16wrapped_functionINS0_4lessIvEEbEEEE10hipError_tPvRmT1_T2_T3_mmT4_T5_P12ihipStream_tbEUlRKiE_EESO_SS_ST_mSU_SX_bEUlT_E_NS1_11comp_targetILNS1_3genE0ELNS1_11target_archE4294967295ELNS1_3gpuE0ELNS1_3repE0EEENS1_30default_config_static_selectorELNS0_4arch9wavefront6targetE1EEEvSR_
		.amdhsa_group_segment_fixed_size 0
		.amdhsa_private_segment_fixed_size 0
		.amdhsa_kernarg_size 64
		.amdhsa_user_sgpr_count 6
		.amdhsa_user_sgpr_private_segment_buffer 1
		.amdhsa_user_sgpr_dispatch_ptr 0
		.amdhsa_user_sgpr_queue_ptr 0
		.amdhsa_user_sgpr_kernarg_segment_ptr 1
		.amdhsa_user_sgpr_dispatch_id 0
		.amdhsa_user_sgpr_flat_scratch_init 0
		.amdhsa_user_sgpr_kernarg_preload_length 0
		.amdhsa_user_sgpr_kernarg_preload_offset 0
		.amdhsa_user_sgpr_private_segment_size 0
		.amdhsa_uses_dynamic_stack 0
		.amdhsa_system_sgpr_private_segment_wavefront_offset 0
		.amdhsa_system_sgpr_workgroup_id_x 1
		.amdhsa_system_sgpr_workgroup_id_y 0
		.amdhsa_system_sgpr_workgroup_id_z 0
		.amdhsa_system_sgpr_workgroup_info 0
		.amdhsa_system_vgpr_workitem_id 0
		.amdhsa_next_free_vgpr 1
		.amdhsa_next_free_sgpr 0
		.amdhsa_accum_offset 4
		.amdhsa_reserve_vcc 0
		.amdhsa_reserve_flat_scratch 0
		.amdhsa_float_round_mode_32 0
		.amdhsa_float_round_mode_16_64 0
		.amdhsa_float_denorm_mode_32 3
		.amdhsa_float_denorm_mode_16_64 3
		.amdhsa_dx10_clamp 1
		.amdhsa_ieee_mode 1
		.amdhsa_fp16_overflow 0
		.amdhsa_tg_split 0
		.amdhsa_exception_fp_ieee_invalid_op 0
		.amdhsa_exception_fp_denorm_src 0
		.amdhsa_exception_fp_ieee_div_zero 0
		.amdhsa_exception_fp_ieee_overflow 0
		.amdhsa_exception_fp_ieee_underflow 0
		.amdhsa_exception_fp_ieee_inexact 0
		.amdhsa_exception_int_div_zero 0
	.end_amdhsa_kernel
	.section	.text._ZN7rocprim17ROCPRIM_400000_NS6detail17trampoline_kernelINS0_14default_configENS1_27lower_bound_config_selectorIiN6thrust23THRUST_200600_302600_NS6detail10any_assignEEEZNS1_14transform_implILb0ES3_S9_NS7_15normal_iteratorINS6_10device_ptrIiEEEENS6_16discard_iteratorINS6_11use_defaultEEEZNS1_13binary_searchIS3_S9_SE_SE_SH_NS1_21lower_bound_search_opENS7_16wrapped_functionINS0_4lessIvEEbEEEE10hipError_tPvRmT1_T2_T3_mmT4_T5_P12ihipStream_tbEUlRKiE_EESO_SS_ST_mSU_SX_bEUlT_E_NS1_11comp_targetILNS1_3genE0ELNS1_11target_archE4294967295ELNS1_3gpuE0ELNS1_3repE0EEENS1_30default_config_static_selectorELNS0_4arch9wavefront6targetE1EEEvSR_,"axG",@progbits,_ZN7rocprim17ROCPRIM_400000_NS6detail17trampoline_kernelINS0_14default_configENS1_27lower_bound_config_selectorIiN6thrust23THRUST_200600_302600_NS6detail10any_assignEEEZNS1_14transform_implILb0ES3_S9_NS7_15normal_iteratorINS6_10device_ptrIiEEEENS6_16discard_iteratorINS6_11use_defaultEEEZNS1_13binary_searchIS3_S9_SE_SE_SH_NS1_21lower_bound_search_opENS7_16wrapped_functionINS0_4lessIvEEbEEEE10hipError_tPvRmT1_T2_T3_mmT4_T5_P12ihipStream_tbEUlRKiE_EESO_SS_ST_mSU_SX_bEUlT_E_NS1_11comp_targetILNS1_3genE0ELNS1_11target_archE4294967295ELNS1_3gpuE0ELNS1_3repE0EEENS1_30default_config_static_selectorELNS0_4arch9wavefront6targetE1EEEvSR_,comdat
.Lfunc_end555:
	.size	_ZN7rocprim17ROCPRIM_400000_NS6detail17trampoline_kernelINS0_14default_configENS1_27lower_bound_config_selectorIiN6thrust23THRUST_200600_302600_NS6detail10any_assignEEEZNS1_14transform_implILb0ES3_S9_NS7_15normal_iteratorINS6_10device_ptrIiEEEENS6_16discard_iteratorINS6_11use_defaultEEEZNS1_13binary_searchIS3_S9_SE_SE_SH_NS1_21lower_bound_search_opENS7_16wrapped_functionINS0_4lessIvEEbEEEE10hipError_tPvRmT1_T2_T3_mmT4_T5_P12ihipStream_tbEUlRKiE_EESO_SS_ST_mSU_SX_bEUlT_E_NS1_11comp_targetILNS1_3genE0ELNS1_11target_archE4294967295ELNS1_3gpuE0ELNS1_3repE0EEENS1_30default_config_static_selectorELNS0_4arch9wavefront6targetE1EEEvSR_, .Lfunc_end555-_ZN7rocprim17ROCPRIM_400000_NS6detail17trampoline_kernelINS0_14default_configENS1_27lower_bound_config_selectorIiN6thrust23THRUST_200600_302600_NS6detail10any_assignEEEZNS1_14transform_implILb0ES3_S9_NS7_15normal_iteratorINS6_10device_ptrIiEEEENS6_16discard_iteratorINS6_11use_defaultEEEZNS1_13binary_searchIS3_S9_SE_SE_SH_NS1_21lower_bound_search_opENS7_16wrapped_functionINS0_4lessIvEEbEEEE10hipError_tPvRmT1_T2_T3_mmT4_T5_P12ihipStream_tbEUlRKiE_EESO_SS_ST_mSU_SX_bEUlT_E_NS1_11comp_targetILNS1_3genE0ELNS1_11target_archE4294967295ELNS1_3gpuE0ELNS1_3repE0EEENS1_30default_config_static_selectorELNS0_4arch9wavefront6targetE1EEEvSR_
                                        ; -- End function
	.section	.AMDGPU.csdata,"",@progbits
; Kernel info:
; codeLenInByte = 0
; NumSgprs: 4
; NumVgprs: 0
; NumAgprs: 0
; TotalNumVgprs: 0
; ScratchSize: 0
; MemoryBound: 0
; FloatMode: 240
; IeeeMode: 1
; LDSByteSize: 0 bytes/workgroup (compile time only)
; SGPRBlocks: 0
; VGPRBlocks: 0
; NumSGPRsForWavesPerEU: 4
; NumVGPRsForWavesPerEU: 1
; AccumOffset: 4
; Occupancy: 8
; WaveLimiterHint : 0
; COMPUTE_PGM_RSRC2:SCRATCH_EN: 0
; COMPUTE_PGM_RSRC2:USER_SGPR: 6
; COMPUTE_PGM_RSRC2:TRAP_HANDLER: 0
; COMPUTE_PGM_RSRC2:TGID_X_EN: 1
; COMPUTE_PGM_RSRC2:TGID_Y_EN: 0
; COMPUTE_PGM_RSRC2:TGID_Z_EN: 0
; COMPUTE_PGM_RSRC2:TIDIG_COMP_CNT: 0
; COMPUTE_PGM_RSRC3_GFX90A:ACCUM_OFFSET: 0
; COMPUTE_PGM_RSRC3_GFX90A:TG_SPLIT: 0
	.section	.text._ZN7rocprim17ROCPRIM_400000_NS6detail17trampoline_kernelINS0_14default_configENS1_27lower_bound_config_selectorIiN6thrust23THRUST_200600_302600_NS6detail10any_assignEEEZNS1_14transform_implILb0ES3_S9_NS7_15normal_iteratorINS6_10device_ptrIiEEEENS6_16discard_iteratorINS6_11use_defaultEEEZNS1_13binary_searchIS3_S9_SE_SE_SH_NS1_21lower_bound_search_opENS7_16wrapped_functionINS0_4lessIvEEbEEEE10hipError_tPvRmT1_T2_T3_mmT4_T5_P12ihipStream_tbEUlRKiE_EESO_SS_ST_mSU_SX_bEUlT_E_NS1_11comp_targetILNS1_3genE5ELNS1_11target_archE942ELNS1_3gpuE9ELNS1_3repE0EEENS1_30default_config_static_selectorELNS0_4arch9wavefront6targetE1EEEvSR_,"axG",@progbits,_ZN7rocprim17ROCPRIM_400000_NS6detail17trampoline_kernelINS0_14default_configENS1_27lower_bound_config_selectorIiN6thrust23THRUST_200600_302600_NS6detail10any_assignEEEZNS1_14transform_implILb0ES3_S9_NS7_15normal_iteratorINS6_10device_ptrIiEEEENS6_16discard_iteratorINS6_11use_defaultEEEZNS1_13binary_searchIS3_S9_SE_SE_SH_NS1_21lower_bound_search_opENS7_16wrapped_functionINS0_4lessIvEEbEEEE10hipError_tPvRmT1_T2_T3_mmT4_T5_P12ihipStream_tbEUlRKiE_EESO_SS_ST_mSU_SX_bEUlT_E_NS1_11comp_targetILNS1_3genE5ELNS1_11target_archE942ELNS1_3gpuE9ELNS1_3repE0EEENS1_30default_config_static_selectorELNS0_4arch9wavefront6targetE1EEEvSR_,comdat
	.protected	_ZN7rocprim17ROCPRIM_400000_NS6detail17trampoline_kernelINS0_14default_configENS1_27lower_bound_config_selectorIiN6thrust23THRUST_200600_302600_NS6detail10any_assignEEEZNS1_14transform_implILb0ES3_S9_NS7_15normal_iteratorINS6_10device_ptrIiEEEENS6_16discard_iteratorINS6_11use_defaultEEEZNS1_13binary_searchIS3_S9_SE_SE_SH_NS1_21lower_bound_search_opENS7_16wrapped_functionINS0_4lessIvEEbEEEE10hipError_tPvRmT1_T2_T3_mmT4_T5_P12ihipStream_tbEUlRKiE_EESO_SS_ST_mSU_SX_bEUlT_E_NS1_11comp_targetILNS1_3genE5ELNS1_11target_archE942ELNS1_3gpuE9ELNS1_3repE0EEENS1_30default_config_static_selectorELNS0_4arch9wavefront6targetE1EEEvSR_ ; -- Begin function _ZN7rocprim17ROCPRIM_400000_NS6detail17trampoline_kernelINS0_14default_configENS1_27lower_bound_config_selectorIiN6thrust23THRUST_200600_302600_NS6detail10any_assignEEEZNS1_14transform_implILb0ES3_S9_NS7_15normal_iteratorINS6_10device_ptrIiEEEENS6_16discard_iteratorINS6_11use_defaultEEEZNS1_13binary_searchIS3_S9_SE_SE_SH_NS1_21lower_bound_search_opENS7_16wrapped_functionINS0_4lessIvEEbEEEE10hipError_tPvRmT1_T2_T3_mmT4_T5_P12ihipStream_tbEUlRKiE_EESO_SS_ST_mSU_SX_bEUlT_E_NS1_11comp_targetILNS1_3genE5ELNS1_11target_archE942ELNS1_3gpuE9ELNS1_3repE0EEENS1_30default_config_static_selectorELNS0_4arch9wavefront6targetE1EEEvSR_
	.globl	_ZN7rocprim17ROCPRIM_400000_NS6detail17trampoline_kernelINS0_14default_configENS1_27lower_bound_config_selectorIiN6thrust23THRUST_200600_302600_NS6detail10any_assignEEEZNS1_14transform_implILb0ES3_S9_NS7_15normal_iteratorINS6_10device_ptrIiEEEENS6_16discard_iteratorINS6_11use_defaultEEEZNS1_13binary_searchIS3_S9_SE_SE_SH_NS1_21lower_bound_search_opENS7_16wrapped_functionINS0_4lessIvEEbEEEE10hipError_tPvRmT1_T2_T3_mmT4_T5_P12ihipStream_tbEUlRKiE_EESO_SS_ST_mSU_SX_bEUlT_E_NS1_11comp_targetILNS1_3genE5ELNS1_11target_archE942ELNS1_3gpuE9ELNS1_3repE0EEENS1_30default_config_static_selectorELNS0_4arch9wavefront6targetE1EEEvSR_
	.p2align	8
	.type	_ZN7rocprim17ROCPRIM_400000_NS6detail17trampoline_kernelINS0_14default_configENS1_27lower_bound_config_selectorIiN6thrust23THRUST_200600_302600_NS6detail10any_assignEEEZNS1_14transform_implILb0ES3_S9_NS7_15normal_iteratorINS6_10device_ptrIiEEEENS6_16discard_iteratorINS6_11use_defaultEEEZNS1_13binary_searchIS3_S9_SE_SE_SH_NS1_21lower_bound_search_opENS7_16wrapped_functionINS0_4lessIvEEbEEEE10hipError_tPvRmT1_T2_T3_mmT4_T5_P12ihipStream_tbEUlRKiE_EESO_SS_ST_mSU_SX_bEUlT_E_NS1_11comp_targetILNS1_3genE5ELNS1_11target_archE942ELNS1_3gpuE9ELNS1_3repE0EEENS1_30default_config_static_selectorELNS0_4arch9wavefront6targetE1EEEvSR_,@function
_ZN7rocprim17ROCPRIM_400000_NS6detail17trampoline_kernelINS0_14default_configENS1_27lower_bound_config_selectorIiN6thrust23THRUST_200600_302600_NS6detail10any_assignEEEZNS1_14transform_implILb0ES3_S9_NS7_15normal_iteratorINS6_10device_ptrIiEEEENS6_16discard_iteratorINS6_11use_defaultEEEZNS1_13binary_searchIS3_S9_SE_SE_SH_NS1_21lower_bound_search_opENS7_16wrapped_functionINS0_4lessIvEEbEEEE10hipError_tPvRmT1_T2_T3_mmT4_T5_P12ihipStream_tbEUlRKiE_EESO_SS_ST_mSU_SX_bEUlT_E_NS1_11comp_targetILNS1_3genE5ELNS1_11target_archE942ELNS1_3gpuE9ELNS1_3repE0EEENS1_30default_config_static_selectorELNS0_4arch9wavefront6targetE1EEEvSR_: ; @_ZN7rocprim17ROCPRIM_400000_NS6detail17trampoline_kernelINS0_14default_configENS1_27lower_bound_config_selectorIiN6thrust23THRUST_200600_302600_NS6detail10any_assignEEEZNS1_14transform_implILb0ES3_S9_NS7_15normal_iteratorINS6_10device_ptrIiEEEENS6_16discard_iteratorINS6_11use_defaultEEEZNS1_13binary_searchIS3_S9_SE_SE_SH_NS1_21lower_bound_search_opENS7_16wrapped_functionINS0_4lessIvEEbEEEE10hipError_tPvRmT1_T2_T3_mmT4_T5_P12ihipStream_tbEUlRKiE_EESO_SS_ST_mSU_SX_bEUlT_E_NS1_11comp_targetILNS1_3genE5ELNS1_11target_archE942ELNS1_3gpuE9ELNS1_3repE0EEENS1_30default_config_static_selectorELNS0_4arch9wavefront6targetE1EEEvSR_
; %bb.0:
	.section	.rodata,"a",@progbits
	.p2align	6, 0x0
	.amdhsa_kernel _ZN7rocprim17ROCPRIM_400000_NS6detail17trampoline_kernelINS0_14default_configENS1_27lower_bound_config_selectorIiN6thrust23THRUST_200600_302600_NS6detail10any_assignEEEZNS1_14transform_implILb0ES3_S9_NS7_15normal_iteratorINS6_10device_ptrIiEEEENS6_16discard_iteratorINS6_11use_defaultEEEZNS1_13binary_searchIS3_S9_SE_SE_SH_NS1_21lower_bound_search_opENS7_16wrapped_functionINS0_4lessIvEEbEEEE10hipError_tPvRmT1_T2_T3_mmT4_T5_P12ihipStream_tbEUlRKiE_EESO_SS_ST_mSU_SX_bEUlT_E_NS1_11comp_targetILNS1_3genE5ELNS1_11target_archE942ELNS1_3gpuE9ELNS1_3repE0EEENS1_30default_config_static_selectorELNS0_4arch9wavefront6targetE1EEEvSR_
		.amdhsa_group_segment_fixed_size 0
		.amdhsa_private_segment_fixed_size 0
		.amdhsa_kernarg_size 64
		.amdhsa_user_sgpr_count 6
		.amdhsa_user_sgpr_private_segment_buffer 1
		.amdhsa_user_sgpr_dispatch_ptr 0
		.amdhsa_user_sgpr_queue_ptr 0
		.amdhsa_user_sgpr_kernarg_segment_ptr 1
		.amdhsa_user_sgpr_dispatch_id 0
		.amdhsa_user_sgpr_flat_scratch_init 0
		.amdhsa_user_sgpr_kernarg_preload_length 0
		.amdhsa_user_sgpr_kernarg_preload_offset 0
		.amdhsa_user_sgpr_private_segment_size 0
		.amdhsa_uses_dynamic_stack 0
		.amdhsa_system_sgpr_private_segment_wavefront_offset 0
		.amdhsa_system_sgpr_workgroup_id_x 1
		.amdhsa_system_sgpr_workgroup_id_y 0
		.amdhsa_system_sgpr_workgroup_id_z 0
		.amdhsa_system_sgpr_workgroup_info 0
		.amdhsa_system_vgpr_workitem_id 0
		.amdhsa_next_free_vgpr 1
		.amdhsa_next_free_sgpr 0
		.amdhsa_accum_offset 4
		.amdhsa_reserve_vcc 0
		.amdhsa_reserve_flat_scratch 0
		.amdhsa_float_round_mode_32 0
		.amdhsa_float_round_mode_16_64 0
		.amdhsa_float_denorm_mode_32 3
		.amdhsa_float_denorm_mode_16_64 3
		.amdhsa_dx10_clamp 1
		.amdhsa_ieee_mode 1
		.amdhsa_fp16_overflow 0
		.amdhsa_tg_split 0
		.amdhsa_exception_fp_ieee_invalid_op 0
		.amdhsa_exception_fp_denorm_src 0
		.amdhsa_exception_fp_ieee_div_zero 0
		.amdhsa_exception_fp_ieee_overflow 0
		.amdhsa_exception_fp_ieee_underflow 0
		.amdhsa_exception_fp_ieee_inexact 0
		.amdhsa_exception_int_div_zero 0
	.end_amdhsa_kernel
	.section	.text._ZN7rocprim17ROCPRIM_400000_NS6detail17trampoline_kernelINS0_14default_configENS1_27lower_bound_config_selectorIiN6thrust23THRUST_200600_302600_NS6detail10any_assignEEEZNS1_14transform_implILb0ES3_S9_NS7_15normal_iteratorINS6_10device_ptrIiEEEENS6_16discard_iteratorINS6_11use_defaultEEEZNS1_13binary_searchIS3_S9_SE_SE_SH_NS1_21lower_bound_search_opENS7_16wrapped_functionINS0_4lessIvEEbEEEE10hipError_tPvRmT1_T2_T3_mmT4_T5_P12ihipStream_tbEUlRKiE_EESO_SS_ST_mSU_SX_bEUlT_E_NS1_11comp_targetILNS1_3genE5ELNS1_11target_archE942ELNS1_3gpuE9ELNS1_3repE0EEENS1_30default_config_static_selectorELNS0_4arch9wavefront6targetE1EEEvSR_,"axG",@progbits,_ZN7rocprim17ROCPRIM_400000_NS6detail17trampoline_kernelINS0_14default_configENS1_27lower_bound_config_selectorIiN6thrust23THRUST_200600_302600_NS6detail10any_assignEEEZNS1_14transform_implILb0ES3_S9_NS7_15normal_iteratorINS6_10device_ptrIiEEEENS6_16discard_iteratorINS6_11use_defaultEEEZNS1_13binary_searchIS3_S9_SE_SE_SH_NS1_21lower_bound_search_opENS7_16wrapped_functionINS0_4lessIvEEbEEEE10hipError_tPvRmT1_T2_T3_mmT4_T5_P12ihipStream_tbEUlRKiE_EESO_SS_ST_mSU_SX_bEUlT_E_NS1_11comp_targetILNS1_3genE5ELNS1_11target_archE942ELNS1_3gpuE9ELNS1_3repE0EEENS1_30default_config_static_selectorELNS0_4arch9wavefront6targetE1EEEvSR_,comdat
.Lfunc_end556:
	.size	_ZN7rocprim17ROCPRIM_400000_NS6detail17trampoline_kernelINS0_14default_configENS1_27lower_bound_config_selectorIiN6thrust23THRUST_200600_302600_NS6detail10any_assignEEEZNS1_14transform_implILb0ES3_S9_NS7_15normal_iteratorINS6_10device_ptrIiEEEENS6_16discard_iteratorINS6_11use_defaultEEEZNS1_13binary_searchIS3_S9_SE_SE_SH_NS1_21lower_bound_search_opENS7_16wrapped_functionINS0_4lessIvEEbEEEE10hipError_tPvRmT1_T2_T3_mmT4_T5_P12ihipStream_tbEUlRKiE_EESO_SS_ST_mSU_SX_bEUlT_E_NS1_11comp_targetILNS1_3genE5ELNS1_11target_archE942ELNS1_3gpuE9ELNS1_3repE0EEENS1_30default_config_static_selectorELNS0_4arch9wavefront6targetE1EEEvSR_, .Lfunc_end556-_ZN7rocprim17ROCPRIM_400000_NS6detail17trampoline_kernelINS0_14default_configENS1_27lower_bound_config_selectorIiN6thrust23THRUST_200600_302600_NS6detail10any_assignEEEZNS1_14transform_implILb0ES3_S9_NS7_15normal_iteratorINS6_10device_ptrIiEEEENS6_16discard_iteratorINS6_11use_defaultEEEZNS1_13binary_searchIS3_S9_SE_SE_SH_NS1_21lower_bound_search_opENS7_16wrapped_functionINS0_4lessIvEEbEEEE10hipError_tPvRmT1_T2_T3_mmT4_T5_P12ihipStream_tbEUlRKiE_EESO_SS_ST_mSU_SX_bEUlT_E_NS1_11comp_targetILNS1_3genE5ELNS1_11target_archE942ELNS1_3gpuE9ELNS1_3repE0EEENS1_30default_config_static_selectorELNS0_4arch9wavefront6targetE1EEEvSR_
                                        ; -- End function
	.section	.AMDGPU.csdata,"",@progbits
; Kernel info:
; codeLenInByte = 0
; NumSgprs: 4
; NumVgprs: 0
; NumAgprs: 0
; TotalNumVgprs: 0
; ScratchSize: 0
; MemoryBound: 0
; FloatMode: 240
; IeeeMode: 1
; LDSByteSize: 0 bytes/workgroup (compile time only)
; SGPRBlocks: 0
; VGPRBlocks: 0
; NumSGPRsForWavesPerEU: 4
; NumVGPRsForWavesPerEU: 1
; AccumOffset: 4
; Occupancy: 8
; WaveLimiterHint : 0
; COMPUTE_PGM_RSRC2:SCRATCH_EN: 0
; COMPUTE_PGM_RSRC2:USER_SGPR: 6
; COMPUTE_PGM_RSRC2:TRAP_HANDLER: 0
; COMPUTE_PGM_RSRC2:TGID_X_EN: 1
; COMPUTE_PGM_RSRC2:TGID_Y_EN: 0
; COMPUTE_PGM_RSRC2:TGID_Z_EN: 0
; COMPUTE_PGM_RSRC2:TIDIG_COMP_CNT: 0
; COMPUTE_PGM_RSRC3_GFX90A:ACCUM_OFFSET: 0
; COMPUTE_PGM_RSRC3_GFX90A:TG_SPLIT: 0
	.section	.text._ZN7rocprim17ROCPRIM_400000_NS6detail17trampoline_kernelINS0_14default_configENS1_27lower_bound_config_selectorIiN6thrust23THRUST_200600_302600_NS6detail10any_assignEEEZNS1_14transform_implILb0ES3_S9_NS7_15normal_iteratorINS6_10device_ptrIiEEEENS6_16discard_iteratorINS6_11use_defaultEEEZNS1_13binary_searchIS3_S9_SE_SE_SH_NS1_21lower_bound_search_opENS7_16wrapped_functionINS0_4lessIvEEbEEEE10hipError_tPvRmT1_T2_T3_mmT4_T5_P12ihipStream_tbEUlRKiE_EESO_SS_ST_mSU_SX_bEUlT_E_NS1_11comp_targetILNS1_3genE4ELNS1_11target_archE910ELNS1_3gpuE8ELNS1_3repE0EEENS1_30default_config_static_selectorELNS0_4arch9wavefront6targetE1EEEvSR_,"axG",@progbits,_ZN7rocprim17ROCPRIM_400000_NS6detail17trampoline_kernelINS0_14default_configENS1_27lower_bound_config_selectorIiN6thrust23THRUST_200600_302600_NS6detail10any_assignEEEZNS1_14transform_implILb0ES3_S9_NS7_15normal_iteratorINS6_10device_ptrIiEEEENS6_16discard_iteratorINS6_11use_defaultEEEZNS1_13binary_searchIS3_S9_SE_SE_SH_NS1_21lower_bound_search_opENS7_16wrapped_functionINS0_4lessIvEEbEEEE10hipError_tPvRmT1_T2_T3_mmT4_T5_P12ihipStream_tbEUlRKiE_EESO_SS_ST_mSU_SX_bEUlT_E_NS1_11comp_targetILNS1_3genE4ELNS1_11target_archE910ELNS1_3gpuE8ELNS1_3repE0EEENS1_30default_config_static_selectorELNS0_4arch9wavefront6targetE1EEEvSR_,comdat
	.protected	_ZN7rocprim17ROCPRIM_400000_NS6detail17trampoline_kernelINS0_14default_configENS1_27lower_bound_config_selectorIiN6thrust23THRUST_200600_302600_NS6detail10any_assignEEEZNS1_14transform_implILb0ES3_S9_NS7_15normal_iteratorINS6_10device_ptrIiEEEENS6_16discard_iteratorINS6_11use_defaultEEEZNS1_13binary_searchIS3_S9_SE_SE_SH_NS1_21lower_bound_search_opENS7_16wrapped_functionINS0_4lessIvEEbEEEE10hipError_tPvRmT1_T2_T3_mmT4_T5_P12ihipStream_tbEUlRKiE_EESO_SS_ST_mSU_SX_bEUlT_E_NS1_11comp_targetILNS1_3genE4ELNS1_11target_archE910ELNS1_3gpuE8ELNS1_3repE0EEENS1_30default_config_static_selectorELNS0_4arch9wavefront6targetE1EEEvSR_ ; -- Begin function _ZN7rocprim17ROCPRIM_400000_NS6detail17trampoline_kernelINS0_14default_configENS1_27lower_bound_config_selectorIiN6thrust23THRUST_200600_302600_NS6detail10any_assignEEEZNS1_14transform_implILb0ES3_S9_NS7_15normal_iteratorINS6_10device_ptrIiEEEENS6_16discard_iteratorINS6_11use_defaultEEEZNS1_13binary_searchIS3_S9_SE_SE_SH_NS1_21lower_bound_search_opENS7_16wrapped_functionINS0_4lessIvEEbEEEE10hipError_tPvRmT1_T2_T3_mmT4_T5_P12ihipStream_tbEUlRKiE_EESO_SS_ST_mSU_SX_bEUlT_E_NS1_11comp_targetILNS1_3genE4ELNS1_11target_archE910ELNS1_3gpuE8ELNS1_3repE0EEENS1_30default_config_static_selectorELNS0_4arch9wavefront6targetE1EEEvSR_
	.globl	_ZN7rocprim17ROCPRIM_400000_NS6detail17trampoline_kernelINS0_14default_configENS1_27lower_bound_config_selectorIiN6thrust23THRUST_200600_302600_NS6detail10any_assignEEEZNS1_14transform_implILb0ES3_S9_NS7_15normal_iteratorINS6_10device_ptrIiEEEENS6_16discard_iteratorINS6_11use_defaultEEEZNS1_13binary_searchIS3_S9_SE_SE_SH_NS1_21lower_bound_search_opENS7_16wrapped_functionINS0_4lessIvEEbEEEE10hipError_tPvRmT1_T2_T3_mmT4_T5_P12ihipStream_tbEUlRKiE_EESO_SS_ST_mSU_SX_bEUlT_E_NS1_11comp_targetILNS1_3genE4ELNS1_11target_archE910ELNS1_3gpuE8ELNS1_3repE0EEENS1_30default_config_static_selectorELNS0_4arch9wavefront6targetE1EEEvSR_
	.p2align	8
	.type	_ZN7rocprim17ROCPRIM_400000_NS6detail17trampoline_kernelINS0_14default_configENS1_27lower_bound_config_selectorIiN6thrust23THRUST_200600_302600_NS6detail10any_assignEEEZNS1_14transform_implILb0ES3_S9_NS7_15normal_iteratorINS6_10device_ptrIiEEEENS6_16discard_iteratorINS6_11use_defaultEEEZNS1_13binary_searchIS3_S9_SE_SE_SH_NS1_21lower_bound_search_opENS7_16wrapped_functionINS0_4lessIvEEbEEEE10hipError_tPvRmT1_T2_T3_mmT4_T5_P12ihipStream_tbEUlRKiE_EESO_SS_ST_mSU_SX_bEUlT_E_NS1_11comp_targetILNS1_3genE4ELNS1_11target_archE910ELNS1_3gpuE8ELNS1_3repE0EEENS1_30default_config_static_selectorELNS0_4arch9wavefront6targetE1EEEvSR_,@function
_ZN7rocprim17ROCPRIM_400000_NS6detail17trampoline_kernelINS0_14default_configENS1_27lower_bound_config_selectorIiN6thrust23THRUST_200600_302600_NS6detail10any_assignEEEZNS1_14transform_implILb0ES3_S9_NS7_15normal_iteratorINS6_10device_ptrIiEEEENS6_16discard_iteratorINS6_11use_defaultEEEZNS1_13binary_searchIS3_S9_SE_SE_SH_NS1_21lower_bound_search_opENS7_16wrapped_functionINS0_4lessIvEEbEEEE10hipError_tPvRmT1_T2_T3_mmT4_T5_P12ihipStream_tbEUlRKiE_EESO_SS_ST_mSU_SX_bEUlT_E_NS1_11comp_targetILNS1_3genE4ELNS1_11target_archE910ELNS1_3gpuE8ELNS1_3repE0EEENS1_30default_config_static_selectorELNS0_4arch9wavefront6targetE1EEEvSR_: ; @_ZN7rocprim17ROCPRIM_400000_NS6detail17trampoline_kernelINS0_14default_configENS1_27lower_bound_config_selectorIiN6thrust23THRUST_200600_302600_NS6detail10any_assignEEEZNS1_14transform_implILb0ES3_S9_NS7_15normal_iteratorINS6_10device_ptrIiEEEENS6_16discard_iteratorINS6_11use_defaultEEEZNS1_13binary_searchIS3_S9_SE_SE_SH_NS1_21lower_bound_search_opENS7_16wrapped_functionINS0_4lessIvEEbEEEE10hipError_tPvRmT1_T2_T3_mmT4_T5_P12ihipStream_tbEUlRKiE_EESO_SS_ST_mSU_SX_bEUlT_E_NS1_11comp_targetILNS1_3genE4ELNS1_11target_archE910ELNS1_3gpuE8ELNS1_3repE0EEENS1_30default_config_static_selectorELNS0_4arch9wavefront6targetE1EEEvSR_
; %bb.0:
	s_endpgm
	.section	.rodata,"a",@progbits
	.p2align	6, 0x0
	.amdhsa_kernel _ZN7rocprim17ROCPRIM_400000_NS6detail17trampoline_kernelINS0_14default_configENS1_27lower_bound_config_selectorIiN6thrust23THRUST_200600_302600_NS6detail10any_assignEEEZNS1_14transform_implILb0ES3_S9_NS7_15normal_iteratorINS6_10device_ptrIiEEEENS6_16discard_iteratorINS6_11use_defaultEEEZNS1_13binary_searchIS3_S9_SE_SE_SH_NS1_21lower_bound_search_opENS7_16wrapped_functionINS0_4lessIvEEbEEEE10hipError_tPvRmT1_T2_T3_mmT4_T5_P12ihipStream_tbEUlRKiE_EESO_SS_ST_mSU_SX_bEUlT_E_NS1_11comp_targetILNS1_3genE4ELNS1_11target_archE910ELNS1_3gpuE8ELNS1_3repE0EEENS1_30default_config_static_selectorELNS0_4arch9wavefront6targetE1EEEvSR_
		.amdhsa_group_segment_fixed_size 0
		.amdhsa_private_segment_fixed_size 0
		.amdhsa_kernarg_size 64
		.amdhsa_user_sgpr_count 6
		.amdhsa_user_sgpr_private_segment_buffer 1
		.amdhsa_user_sgpr_dispatch_ptr 0
		.amdhsa_user_sgpr_queue_ptr 0
		.amdhsa_user_sgpr_kernarg_segment_ptr 1
		.amdhsa_user_sgpr_dispatch_id 0
		.amdhsa_user_sgpr_flat_scratch_init 0
		.amdhsa_user_sgpr_kernarg_preload_length 0
		.amdhsa_user_sgpr_kernarg_preload_offset 0
		.amdhsa_user_sgpr_private_segment_size 0
		.amdhsa_uses_dynamic_stack 0
		.amdhsa_system_sgpr_private_segment_wavefront_offset 0
		.amdhsa_system_sgpr_workgroup_id_x 1
		.amdhsa_system_sgpr_workgroup_id_y 0
		.amdhsa_system_sgpr_workgroup_id_z 0
		.amdhsa_system_sgpr_workgroup_info 0
		.amdhsa_system_vgpr_workitem_id 0
		.amdhsa_next_free_vgpr 1
		.amdhsa_next_free_sgpr 0
		.amdhsa_accum_offset 4
		.amdhsa_reserve_vcc 0
		.amdhsa_reserve_flat_scratch 0
		.amdhsa_float_round_mode_32 0
		.amdhsa_float_round_mode_16_64 0
		.amdhsa_float_denorm_mode_32 3
		.amdhsa_float_denorm_mode_16_64 3
		.amdhsa_dx10_clamp 1
		.amdhsa_ieee_mode 1
		.amdhsa_fp16_overflow 0
		.amdhsa_tg_split 0
		.amdhsa_exception_fp_ieee_invalid_op 0
		.amdhsa_exception_fp_denorm_src 0
		.amdhsa_exception_fp_ieee_div_zero 0
		.amdhsa_exception_fp_ieee_overflow 0
		.amdhsa_exception_fp_ieee_underflow 0
		.amdhsa_exception_fp_ieee_inexact 0
		.amdhsa_exception_int_div_zero 0
	.end_amdhsa_kernel
	.section	.text._ZN7rocprim17ROCPRIM_400000_NS6detail17trampoline_kernelINS0_14default_configENS1_27lower_bound_config_selectorIiN6thrust23THRUST_200600_302600_NS6detail10any_assignEEEZNS1_14transform_implILb0ES3_S9_NS7_15normal_iteratorINS6_10device_ptrIiEEEENS6_16discard_iteratorINS6_11use_defaultEEEZNS1_13binary_searchIS3_S9_SE_SE_SH_NS1_21lower_bound_search_opENS7_16wrapped_functionINS0_4lessIvEEbEEEE10hipError_tPvRmT1_T2_T3_mmT4_T5_P12ihipStream_tbEUlRKiE_EESO_SS_ST_mSU_SX_bEUlT_E_NS1_11comp_targetILNS1_3genE4ELNS1_11target_archE910ELNS1_3gpuE8ELNS1_3repE0EEENS1_30default_config_static_selectorELNS0_4arch9wavefront6targetE1EEEvSR_,"axG",@progbits,_ZN7rocprim17ROCPRIM_400000_NS6detail17trampoline_kernelINS0_14default_configENS1_27lower_bound_config_selectorIiN6thrust23THRUST_200600_302600_NS6detail10any_assignEEEZNS1_14transform_implILb0ES3_S9_NS7_15normal_iteratorINS6_10device_ptrIiEEEENS6_16discard_iteratorINS6_11use_defaultEEEZNS1_13binary_searchIS3_S9_SE_SE_SH_NS1_21lower_bound_search_opENS7_16wrapped_functionINS0_4lessIvEEbEEEE10hipError_tPvRmT1_T2_T3_mmT4_T5_P12ihipStream_tbEUlRKiE_EESO_SS_ST_mSU_SX_bEUlT_E_NS1_11comp_targetILNS1_3genE4ELNS1_11target_archE910ELNS1_3gpuE8ELNS1_3repE0EEENS1_30default_config_static_selectorELNS0_4arch9wavefront6targetE1EEEvSR_,comdat
.Lfunc_end557:
	.size	_ZN7rocprim17ROCPRIM_400000_NS6detail17trampoline_kernelINS0_14default_configENS1_27lower_bound_config_selectorIiN6thrust23THRUST_200600_302600_NS6detail10any_assignEEEZNS1_14transform_implILb0ES3_S9_NS7_15normal_iteratorINS6_10device_ptrIiEEEENS6_16discard_iteratorINS6_11use_defaultEEEZNS1_13binary_searchIS3_S9_SE_SE_SH_NS1_21lower_bound_search_opENS7_16wrapped_functionINS0_4lessIvEEbEEEE10hipError_tPvRmT1_T2_T3_mmT4_T5_P12ihipStream_tbEUlRKiE_EESO_SS_ST_mSU_SX_bEUlT_E_NS1_11comp_targetILNS1_3genE4ELNS1_11target_archE910ELNS1_3gpuE8ELNS1_3repE0EEENS1_30default_config_static_selectorELNS0_4arch9wavefront6targetE1EEEvSR_, .Lfunc_end557-_ZN7rocprim17ROCPRIM_400000_NS6detail17trampoline_kernelINS0_14default_configENS1_27lower_bound_config_selectorIiN6thrust23THRUST_200600_302600_NS6detail10any_assignEEEZNS1_14transform_implILb0ES3_S9_NS7_15normal_iteratorINS6_10device_ptrIiEEEENS6_16discard_iteratorINS6_11use_defaultEEEZNS1_13binary_searchIS3_S9_SE_SE_SH_NS1_21lower_bound_search_opENS7_16wrapped_functionINS0_4lessIvEEbEEEE10hipError_tPvRmT1_T2_T3_mmT4_T5_P12ihipStream_tbEUlRKiE_EESO_SS_ST_mSU_SX_bEUlT_E_NS1_11comp_targetILNS1_3genE4ELNS1_11target_archE910ELNS1_3gpuE8ELNS1_3repE0EEENS1_30default_config_static_selectorELNS0_4arch9wavefront6targetE1EEEvSR_
                                        ; -- End function
	.section	.AMDGPU.csdata,"",@progbits
; Kernel info:
; codeLenInByte = 4
; NumSgprs: 4
; NumVgprs: 0
; NumAgprs: 0
; TotalNumVgprs: 0
; ScratchSize: 0
; MemoryBound: 0
; FloatMode: 240
; IeeeMode: 1
; LDSByteSize: 0 bytes/workgroup (compile time only)
; SGPRBlocks: 0
; VGPRBlocks: 0
; NumSGPRsForWavesPerEU: 4
; NumVGPRsForWavesPerEU: 1
; AccumOffset: 4
; Occupancy: 8
; WaveLimiterHint : 0
; COMPUTE_PGM_RSRC2:SCRATCH_EN: 0
; COMPUTE_PGM_RSRC2:USER_SGPR: 6
; COMPUTE_PGM_RSRC2:TRAP_HANDLER: 0
; COMPUTE_PGM_RSRC2:TGID_X_EN: 1
; COMPUTE_PGM_RSRC2:TGID_Y_EN: 0
; COMPUTE_PGM_RSRC2:TGID_Z_EN: 0
; COMPUTE_PGM_RSRC2:TIDIG_COMP_CNT: 0
; COMPUTE_PGM_RSRC3_GFX90A:ACCUM_OFFSET: 0
; COMPUTE_PGM_RSRC3_GFX90A:TG_SPLIT: 0
	.section	.text._ZN7rocprim17ROCPRIM_400000_NS6detail17trampoline_kernelINS0_14default_configENS1_27lower_bound_config_selectorIiN6thrust23THRUST_200600_302600_NS6detail10any_assignEEEZNS1_14transform_implILb0ES3_S9_NS7_15normal_iteratorINS6_10device_ptrIiEEEENS6_16discard_iteratorINS6_11use_defaultEEEZNS1_13binary_searchIS3_S9_SE_SE_SH_NS1_21lower_bound_search_opENS7_16wrapped_functionINS0_4lessIvEEbEEEE10hipError_tPvRmT1_T2_T3_mmT4_T5_P12ihipStream_tbEUlRKiE_EESO_SS_ST_mSU_SX_bEUlT_E_NS1_11comp_targetILNS1_3genE3ELNS1_11target_archE908ELNS1_3gpuE7ELNS1_3repE0EEENS1_30default_config_static_selectorELNS0_4arch9wavefront6targetE1EEEvSR_,"axG",@progbits,_ZN7rocprim17ROCPRIM_400000_NS6detail17trampoline_kernelINS0_14default_configENS1_27lower_bound_config_selectorIiN6thrust23THRUST_200600_302600_NS6detail10any_assignEEEZNS1_14transform_implILb0ES3_S9_NS7_15normal_iteratorINS6_10device_ptrIiEEEENS6_16discard_iteratorINS6_11use_defaultEEEZNS1_13binary_searchIS3_S9_SE_SE_SH_NS1_21lower_bound_search_opENS7_16wrapped_functionINS0_4lessIvEEbEEEE10hipError_tPvRmT1_T2_T3_mmT4_T5_P12ihipStream_tbEUlRKiE_EESO_SS_ST_mSU_SX_bEUlT_E_NS1_11comp_targetILNS1_3genE3ELNS1_11target_archE908ELNS1_3gpuE7ELNS1_3repE0EEENS1_30default_config_static_selectorELNS0_4arch9wavefront6targetE1EEEvSR_,comdat
	.protected	_ZN7rocprim17ROCPRIM_400000_NS6detail17trampoline_kernelINS0_14default_configENS1_27lower_bound_config_selectorIiN6thrust23THRUST_200600_302600_NS6detail10any_assignEEEZNS1_14transform_implILb0ES3_S9_NS7_15normal_iteratorINS6_10device_ptrIiEEEENS6_16discard_iteratorINS6_11use_defaultEEEZNS1_13binary_searchIS3_S9_SE_SE_SH_NS1_21lower_bound_search_opENS7_16wrapped_functionINS0_4lessIvEEbEEEE10hipError_tPvRmT1_T2_T3_mmT4_T5_P12ihipStream_tbEUlRKiE_EESO_SS_ST_mSU_SX_bEUlT_E_NS1_11comp_targetILNS1_3genE3ELNS1_11target_archE908ELNS1_3gpuE7ELNS1_3repE0EEENS1_30default_config_static_selectorELNS0_4arch9wavefront6targetE1EEEvSR_ ; -- Begin function _ZN7rocprim17ROCPRIM_400000_NS6detail17trampoline_kernelINS0_14default_configENS1_27lower_bound_config_selectorIiN6thrust23THRUST_200600_302600_NS6detail10any_assignEEEZNS1_14transform_implILb0ES3_S9_NS7_15normal_iteratorINS6_10device_ptrIiEEEENS6_16discard_iteratorINS6_11use_defaultEEEZNS1_13binary_searchIS3_S9_SE_SE_SH_NS1_21lower_bound_search_opENS7_16wrapped_functionINS0_4lessIvEEbEEEE10hipError_tPvRmT1_T2_T3_mmT4_T5_P12ihipStream_tbEUlRKiE_EESO_SS_ST_mSU_SX_bEUlT_E_NS1_11comp_targetILNS1_3genE3ELNS1_11target_archE908ELNS1_3gpuE7ELNS1_3repE0EEENS1_30default_config_static_selectorELNS0_4arch9wavefront6targetE1EEEvSR_
	.globl	_ZN7rocprim17ROCPRIM_400000_NS6detail17trampoline_kernelINS0_14default_configENS1_27lower_bound_config_selectorIiN6thrust23THRUST_200600_302600_NS6detail10any_assignEEEZNS1_14transform_implILb0ES3_S9_NS7_15normal_iteratorINS6_10device_ptrIiEEEENS6_16discard_iteratorINS6_11use_defaultEEEZNS1_13binary_searchIS3_S9_SE_SE_SH_NS1_21lower_bound_search_opENS7_16wrapped_functionINS0_4lessIvEEbEEEE10hipError_tPvRmT1_T2_T3_mmT4_T5_P12ihipStream_tbEUlRKiE_EESO_SS_ST_mSU_SX_bEUlT_E_NS1_11comp_targetILNS1_3genE3ELNS1_11target_archE908ELNS1_3gpuE7ELNS1_3repE0EEENS1_30default_config_static_selectorELNS0_4arch9wavefront6targetE1EEEvSR_
	.p2align	8
	.type	_ZN7rocprim17ROCPRIM_400000_NS6detail17trampoline_kernelINS0_14default_configENS1_27lower_bound_config_selectorIiN6thrust23THRUST_200600_302600_NS6detail10any_assignEEEZNS1_14transform_implILb0ES3_S9_NS7_15normal_iteratorINS6_10device_ptrIiEEEENS6_16discard_iteratorINS6_11use_defaultEEEZNS1_13binary_searchIS3_S9_SE_SE_SH_NS1_21lower_bound_search_opENS7_16wrapped_functionINS0_4lessIvEEbEEEE10hipError_tPvRmT1_T2_T3_mmT4_T5_P12ihipStream_tbEUlRKiE_EESO_SS_ST_mSU_SX_bEUlT_E_NS1_11comp_targetILNS1_3genE3ELNS1_11target_archE908ELNS1_3gpuE7ELNS1_3repE0EEENS1_30default_config_static_selectorELNS0_4arch9wavefront6targetE1EEEvSR_,@function
_ZN7rocprim17ROCPRIM_400000_NS6detail17trampoline_kernelINS0_14default_configENS1_27lower_bound_config_selectorIiN6thrust23THRUST_200600_302600_NS6detail10any_assignEEEZNS1_14transform_implILb0ES3_S9_NS7_15normal_iteratorINS6_10device_ptrIiEEEENS6_16discard_iteratorINS6_11use_defaultEEEZNS1_13binary_searchIS3_S9_SE_SE_SH_NS1_21lower_bound_search_opENS7_16wrapped_functionINS0_4lessIvEEbEEEE10hipError_tPvRmT1_T2_T3_mmT4_T5_P12ihipStream_tbEUlRKiE_EESO_SS_ST_mSU_SX_bEUlT_E_NS1_11comp_targetILNS1_3genE3ELNS1_11target_archE908ELNS1_3gpuE7ELNS1_3repE0EEENS1_30default_config_static_selectorELNS0_4arch9wavefront6targetE1EEEvSR_: ; @_ZN7rocprim17ROCPRIM_400000_NS6detail17trampoline_kernelINS0_14default_configENS1_27lower_bound_config_selectorIiN6thrust23THRUST_200600_302600_NS6detail10any_assignEEEZNS1_14transform_implILb0ES3_S9_NS7_15normal_iteratorINS6_10device_ptrIiEEEENS6_16discard_iteratorINS6_11use_defaultEEEZNS1_13binary_searchIS3_S9_SE_SE_SH_NS1_21lower_bound_search_opENS7_16wrapped_functionINS0_4lessIvEEbEEEE10hipError_tPvRmT1_T2_T3_mmT4_T5_P12ihipStream_tbEUlRKiE_EESO_SS_ST_mSU_SX_bEUlT_E_NS1_11comp_targetILNS1_3genE3ELNS1_11target_archE908ELNS1_3gpuE7ELNS1_3repE0EEENS1_30default_config_static_selectorELNS0_4arch9wavefront6targetE1EEEvSR_
; %bb.0:
	.section	.rodata,"a",@progbits
	.p2align	6, 0x0
	.amdhsa_kernel _ZN7rocprim17ROCPRIM_400000_NS6detail17trampoline_kernelINS0_14default_configENS1_27lower_bound_config_selectorIiN6thrust23THRUST_200600_302600_NS6detail10any_assignEEEZNS1_14transform_implILb0ES3_S9_NS7_15normal_iteratorINS6_10device_ptrIiEEEENS6_16discard_iteratorINS6_11use_defaultEEEZNS1_13binary_searchIS3_S9_SE_SE_SH_NS1_21lower_bound_search_opENS7_16wrapped_functionINS0_4lessIvEEbEEEE10hipError_tPvRmT1_T2_T3_mmT4_T5_P12ihipStream_tbEUlRKiE_EESO_SS_ST_mSU_SX_bEUlT_E_NS1_11comp_targetILNS1_3genE3ELNS1_11target_archE908ELNS1_3gpuE7ELNS1_3repE0EEENS1_30default_config_static_selectorELNS0_4arch9wavefront6targetE1EEEvSR_
		.amdhsa_group_segment_fixed_size 0
		.amdhsa_private_segment_fixed_size 0
		.amdhsa_kernarg_size 64
		.amdhsa_user_sgpr_count 6
		.amdhsa_user_sgpr_private_segment_buffer 1
		.amdhsa_user_sgpr_dispatch_ptr 0
		.amdhsa_user_sgpr_queue_ptr 0
		.amdhsa_user_sgpr_kernarg_segment_ptr 1
		.amdhsa_user_sgpr_dispatch_id 0
		.amdhsa_user_sgpr_flat_scratch_init 0
		.amdhsa_user_sgpr_kernarg_preload_length 0
		.amdhsa_user_sgpr_kernarg_preload_offset 0
		.amdhsa_user_sgpr_private_segment_size 0
		.amdhsa_uses_dynamic_stack 0
		.amdhsa_system_sgpr_private_segment_wavefront_offset 0
		.amdhsa_system_sgpr_workgroup_id_x 1
		.amdhsa_system_sgpr_workgroup_id_y 0
		.amdhsa_system_sgpr_workgroup_id_z 0
		.amdhsa_system_sgpr_workgroup_info 0
		.amdhsa_system_vgpr_workitem_id 0
		.amdhsa_next_free_vgpr 1
		.amdhsa_next_free_sgpr 0
		.amdhsa_accum_offset 4
		.amdhsa_reserve_vcc 0
		.amdhsa_reserve_flat_scratch 0
		.amdhsa_float_round_mode_32 0
		.amdhsa_float_round_mode_16_64 0
		.amdhsa_float_denorm_mode_32 3
		.amdhsa_float_denorm_mode_16_64 3
		.amdhsa_dx10_clamp 1
		.amdhsa_ieee_mode 1
		.amdhsa_fp16_overflow 0
		.amdhsa_tg_split 0
		.amdhsa_exception_fp_ieee_invalid_op 0
		.amdhsa_exception_fp_denorm_src 0
		.amdhsa_exception_fp_ieee_div_zero 0
		.amdhsa_exception_fp_ieee_overflow 0
		.amdhsa_exception_fp_ieee_underflow 0
		.amdhsa_exception_fp_ieee_inexact 0
		.amdhsa_exception_int_div_zero 0
	.end_amdhsa_kernel
	.section	.text._ZN7rocprim17ROCPRIM_400000_NS6detail17trampoline_kernelINS0_14default_configENS1_27lower_bound_config_selectorIiN6thrust23THRUST_200600_302600_NS6detail10any_assignEEEZNS1_14transform_implILb0ES3_S9_NS7_15normal_iteratorINS6_10device_ptrIiEEEENS6_16discard_iteratorINS6_11use_defaultEEEZNS1_13binary_searchIS3_S9_SE_SE_SH_NS1_21lower_bound_search_opENS7_16wrapped_functionINS0_4lessIvEEbEEEE10hipError_tPvRmT1_T2_T3_mmT4_T5_P12ihipStream_tbEUlRKiE_EESO_SS_ST_mSU_SX_bEUlT_E_NS1_11comp_targetILNS1_3genE3ELNS1_11target_archE908ELNS1_3gpuE7ELNS1_3repE0EEENS1_30default_config_static_selectorELNS0_4arch9wavefront6targetE1EEEvSR_,"axG",@progbits,_ZN7rocprim17ROCPRIM_400000_NS6detail17trampoline_kernelINS0_14default_configENS1_27lower_bound_config_selectorIiN6thrust23THRUST_200600_302600_NS6detail10any_assignEEEZNS1_14transform_implILb0ES3_S9_NS7_15normal_iteratorINS6_10device_ptrIiEEEENS6_16discard_iteratorINS6_11use_defaultEEEZNS1_13binary_searchIS3_S9_SE_SE_SH_NS1_21lower_bound_search_opENS7_16wrapped_functionINS0_4lessIvEEbEEEE10hipError_tPvRmT1_T2_T3_mmT4_T5_P12ihipStream_tbEUlRKiE_EESO_SS_ST_mSU_SX_bEUlT_E_NS1_11comp_targetILNS1_3genE3ELNS1_11target_archE908ELNS1_3gpuE7ELNS1_3repE0EEENS1_30default_config_static_selectorELNS0_4arch9wavefront6targetE1EEEvSR_,comdat
.Lfunc_end558:
	.size	_ZN7rocprim17ROCPRIM_400000_NS6detail17trampoline_kernelINS0_14default_configENS1_27lower_bound_config_selectorIiN6thrust23THRUST_200600_302600_NS6detail10any_assignEEEZNS1_14transform_implILb0ES3_S9_NS7_15normal_iteratorINS6_10device_ptrIiEEEENS6_16discard_iteratorINS6_11use_defaultEEEZNS1_13binary_searchIS3_S9_SE_SE_SH_NS1_21lower_bound_search_opENS7_16wrapped_functionINS0_4lessIvEEbEEEE10hipError_tPvRmT1_T2_T3_mmT4_T5_P12ihipStream_tbEUlRKiE_EESO_SS_ST_mSU_SX_bEUlT_E_NS1_11comp_targetILNS1_3genE3ELNS1_11target_archE908ELNS1_3gpuE7ELNS1_3repE0EEENS1_30default_config_static_selectorELNS0_4arch9wavefront6targetE1EEEvSR_, .Lfunc_end558-_ZN7rocprim17ROCPRIM_400000_NS6detail17trampoline_kernelINS0_14default_configENS1_27lower_bound_config_selectorIiN6thrust23THRUST_200600_302600_NS6detail10any_assignEEEZNS1_14transform_implILb0ES3_S9_NS7_15normal_iteratorINS6_10device_ptrIiEEEENS6_16discard_iteratorINS6_11use_defaultEEEZNS1_13binary_searchIS3_S9_SE_SE_SH_NS1_21lower_bound_search_opENS7_16wrapped_functionINS0_4lessIvEEbEEEE10hipError_tPvRmT1_T2_T3_mmT4_T5_P12ihipStream_tbEUlRKiE_EESO_SS_ST_mSU_SX_bEUlT_E_NS1_11comp_targetILNS1_3genE3ELNS1_11target_archE908ELNS1_3gpuE7ELNS1_3repE0EEENS1_30default_config_static_selectorELNS0_4arch9wavefront6targetE1EEEvSR_
                                        ; -- End function
	.section	.AMDGPU.csdata,"",@progbits
; Kernel info:
; codeLenInByte = 0
; NumSgprs: 4
; NumVgprs: 0
; NumAgprs: 0
; TotalNumVgprs: 0
; ScratchSize: 0
; MemoryBound: 0
; FloatMode: 240
; IeeeMode: 1
; LDSByteSize: 0 bytes/workgroup (compile time only)
; SGPRBlocks: 0
; VGPRBlocks: 0
; NumSGPRsForWavesPerEU: 4
; NumVGPRsForWavesPerEU: 1
; AccumOffset: 4
; Occupancy: 8
; WaveLimiterHint : 0
; COMPUTE_PGM_RSRC2:SCRATCH_EN: 0
; COMPUTE_PGM_RSRC2:USER_SGPR: 6
; COMPUTE_PGM_RSRC2:TRAP_HANDLER: 0
; COMPUTE_PGM_RSRC2:TGID_X_EN: 1
; COMPUTE_PGM_RSRC2:TGID_Y_EN: 0
; COMPUTE_PGM_RSRC2:TGID_Z_EN: 0
; COMPUTE_PGM_RSRC2:TIDIG_COMP_CNT: 0
; COMPUTE_PGM_RSRC3_GFX90A:ACCUM_OFFSET: 0
; COMPUTE_PGM_RSRC3_GFX90A:TG_SPLIT: 0
	.section	.text._ZN7rocprim17ROCPRIM_400000_NS6detail17trampoline_kernelINS0_14default_configENS1_27lower_bound_config_selectorIiN6thrust23THRUST_200600_302600_NS6detail10any_assignEEEZNS1_14transform_implILb0ES3_S9_NS7_15normal_iteratorINS6_10device_ptrIiEEEENS6_16discard_iteratorINS6_11use_defaultEEEZNS1_13binary_searchIS3_S9_SE_SE_SH_NS1_21lower_bound_search_opENS7_16wrapped_functionINS0_4lessIvEEbEEEE10hipError_tPvRmT1_T2_T3_mmT4_T5_P12ihipStream_tbEUlRKiE_EESO_SS_ST_mSU_SX_bEUlT_E_NS1_11comp_targetILNS1_3genE2ELNS1_11target_archE906ELNS1_3gpuE6ELNS1_3repE0EEENS1_30default_config_static_selectorELNS0_4arch9wavefront6targetE1EEEvSR_,"axG",@progbits,_ZN7rocprim17ROCPRIM_400000_NS6detail17trampoline_kernelINS0_14default_configENS1_27lower_bound_config_selectorIiN6thrust23THRUST_200600_302600_NS6detail10any_assignEEEZNS1_14transform_implILb0ES3_S9_NS7_15normal_iteratorINS6_10device_ptrIiEEEENS6_16discard_iteratorINS6_11use_defaultEEEZNS1_13binary_searchIS3_S9_SE_SE_SH_NS1_21lower_bound_search_opENS7_16wrapped_functionINS0_4lessIvEEbEEEE10hipError_tPvRmT1_T2_T3_mmT4_T5_P12ihipStream_tbEUlRKiE_EESO_SS_ST_mSU_SX_bEUlT_E_NS1_11comp_targetILNS1_3genE2ELNS1_11target_archE906ELNS1_3gpuE6ELNS1_3repE0EEENS1_30default_config_static_selectorELNS0_4arch9wavefront6targetE1EEEvSR_,comdat
	.protected	_ZN7rocprim17ROCPRIM_400000_NS6detail17trampoline_kernelINS0_14default_configENS1_27lower_bound_config_selectorIiN6thrust23THRUST_200600_302600_NS6detail10any_assignEEEZNS1_14transform_implILb0ES3_S9_NS7_15normal_iteratorINS6_10device_ptrIiEEEENS6_16discard_iteratorINS6_11use_defaultEEEZNS1_13binary_searchIS3_S9_SE_SE_SH_NS1_21lower_bound_search_opENS7_16wrapped_functionINS0_4lessIvEEbEEEE10hipError_tPvRmT1_T2_T3_mmT4_T5_P12ihipStream_tbEUlRKiE_EESO_SS_ST_mSU_SX_bEUlT_E_NS1_11comp_targetILNS1_3genE2ELNS1_11target_archE906ELNS1_3gpuE6ELNS1_3repE0EEENS1_30default_config_static_selectorELNS0_4arch9wavefront6targetE1EEEvSR_ ; -- Begin function _ZN7rocprim17ROCPRIM_400000_NS6detail17trampoline_kernelINS0_14default_configENS1_27lower_bound_config_selectorIiN6thrust23THRUST_200600_302600_NS6detail10any_assignEEEZNS1_14transform_implILb0ES3_S9_NS7_15normal_iteratorINS6_10device_ptrIiEEEENS6_16discard_iteratorINS6_11use_defaultEEEZNS1_13binary_searchIS3_S9_SE_SE_SH_NS1_21lower_bound_search_opENS7_16wrapped_functionINS0_4lessIvEEbEEEE10hipError_tPvRmT1_T2_T3_mmT4_T5_P12ihipStream_tbEUlRKiE_EESO_SS_ST_mSU_SX_bEUlT_E_NS1_11comp_targetILNS1_3genE2ELNS1_11target_archE906ELNS1_3gpuE6ELNS1_3repE0EEENS1_30default_config_static_selectorELNS0_4arch9wavefront6targetE1EEEvSR_
	.globl	_ZN7rocprim17ROCPRIM_400000_NS6detail17trampoline_kernelINS0_14default_configENS1_27lower_bound_config_selectorIiN6thrust23THRUST_200600_302600_NS6detail10any_assignEEEZNS1_14transform_implILb0ES3_S9_NS7_15normal_iteratorINS6_10device_ptrIiEEEENS6_16discard_iteratorINS6_11use_defaultEEEZNS1_13binary_searchIS3_S9_SE_SE_SH_NS1_21lower_bound_search_opENS7_16wrapped_functionINS0_4lessIvEEbEEEE10hipError_tPvRmT1_T2_T3_mmT4_T5_P12ihipStream_tbEUlRKiE_EESO_SS_ST_mSU_SX_bEUlT_E_NS1_11comp_targetILNS1_3genE2ELNS1_11target_archE906ELNS1_3gpuE6ELNS1_3repE0EEENS1_30default_config_static_selectorELNS0_4arch9wavefront6targetE1EEEvSR_
	.p2align	8
	.type	_ZN7rocprim17ROCPRIM_400000_NS6detail17trampoline_kernelINS0_14default_configENS1_27lower_bound_config_selectorIiN6thrust23THRUST_200600_302600_NS6detail10any_assignEEEZNS1_14transform_implILb0ES3_S9_NS7_15normal_iteratorINS6_10device_ptrIiEEEENS6_16discard_iteratorINS6_11use_defaultEEEZNS1_13binary_searchIS3_S9_SE_SE_SH_NS1_21lower_bound_search_opENS7_16wrapped_functionINS0_4lessIvEEbEEEE10hipError_tPvRmT1_T2_T3_mmT4_T5_P12ihipStream_tbEUlRKiE_EESO_SS_ST_mSU_SX_bEUlT_E_NS1_11comp_targetILNS1_3genE2ELNS1_11target_archE906ELNS1_3gpuE6ELNS1_3repE0EEENS1_30default_config_static_selectorELNS0_4arch9wavefront6targetE1EEEvSR_,@function
_ZN7rocprim17ROCPRIM_400000_NS6detail17trampoline_kernelINS0_14default_configENS1_27lower_bound_config_selectorIiN6thrust23THRUST_200600_302600_NS6detail10any_assignEEEZNS1_14transform_implILb0ES3_S9_NS7_15normal_iteratorINS6_10device_ptrIiEEEENS6_16discard_iteratorINS6_11use_defaultEEEZNS1_13binary_searchIS3_S9_SE_SE_SH_NS1_21lower_bound_search_opENS7_16wrapped_functionINS0_4lessIvEEbEEEE10hipError_tPvRmT1_T2_T3_mmT4_T5_P12ihipStream_tbEUlRKiE_EESO_SS_ST_mSU_SX_bEUlT_E_NS1_11comp_targetILNS1_3genE2ELNS1_11target_archE906ELNS1_3gpuE6ELNS1_3repE0EEENS1_30default_config_static_selectorELNS0_4arch9wavefront6targetE1EEEvSR_: ; @_ZN7rocprim17ROCPRIM_400000_NS6detail17trampoline_kernelINS0_14default_configENS1_27lower_bound_config_selectorIiN6thrust23THRUST_200600_302600_NS6detail10any_assignEEEZNS1_14transform_implILb0ES3_S9_NS7_15normal_iteratorINS6_10device_ptrIiEEEENS6_16discard_iteratorINS6_11use_defaultEEEZNS1_13binary_searchIS3_S9_SE_SE_SH_NS1_21lower_bound_search_opENS7_16wrapped_functionINS0_4lessIvEEbEEEE10hipError_tPvRmT1_T2_T3_mmT4_T5_P12ihipStream_tbEUlRKiE_EESO_SS_ST_mSU_SX_bEUlT_E_NS1_11comp_targetILNS1_3genE2ELNS1_11target_archE906ELNS1_3gpuE6ELNS1_3repE0EEENS1_30default_config_static_selectorELNS0_4arch9wavefront6targetE1EEEvSR_
; %bb.0:
	.section	.rodata,"a",@progbits
	.p2align	6, 0x0
	.amdhsa_kernel _ZN7rocprim17ROCPRIM_400000_NS6detail17trampoline_kernelINS0_14default_configENS1_27lower_bound_config_selectorIiN6thrust23THRUST_200600_302600_NS6detail10any_assignEEEZNS1_14transform_implILb0ES3_S9_NS7_15normal_iteratorINS6_10device_ptrIiEEEENS6_16discard_iteratorINS6_11use_defaultEEEZNS1_13binary_searchIS3_S9_SE_SE_SH_NS1_21lower_bound_search_opENS7_16wrapped_functionINS0_4lessIvEEbEEEE10hipError_tPvRmT1_T2_T3_mmT4_T5_P12ihipStream_tbEUlRKiE_EESO_SS_ST_mSU_SX_bEUlT_E_NS1_11comp_targetILNS1_3genE2ELNS1_11target_archE906ELNS1_3gpuE6ELNS1_3repE0EEENS1_30default_config_static_selectorELNS0_4arch9wavefront6targetE1EEEvSR_
		.amdhsa_group_segment_fixed_size 0
		.amdhsa_private_segment_fixed_size 0
		.amdhsa_kernarg_size 64
		.amdhsa_user_sgpr_count 6
		.amdhsa_user_sgpr_private_segment_buffer 1
		.amdhsa_user_sgpr_dispatch_ptr 0
		.amdhsa_user_sgpr_queue_ptr 0
		.amdhsa_user_sgpr_kernarg_segment_ptr 1
		.amdhsa_user_sgpr_dispatch_id 0
		.amdhsa_user_sgpr_flat_scratch_init 0
		.amdhsa_user_sgpr_kernarg_preload_length 0
		.amdhsa_user_sgpr_kernarg_preload_offset 0
		.amdhsa_user_sgpr_private_segment_size 0
		.amdhsa_uses_dynamic_stack 0
		.amdhsa_system_sgpr_private_segment_wavefront_offset 0
		.amdhsa_system_sgpr_workgroup_id_x 1
		.amdhsa_system_sgpr_workgroup_id_y 0
		.amdhsa_system_sgpr_workgroup_id_z 0
		.amdhsa_system_sgpr_workgroup_info 0
		.amdhsa_system_vgpr_workitem_id 0
		.amdhsa_next_free_vgpr 1
		.amdhsa_next_free_sgpr 0
		.amdhsa_accum_offset 4
		.amdhsa_reserve_vcc 0
		.amdhsa_reserve_flat_scratch 0
		.amdhsa_float_round_mode_32 0
		.amdhsa_float_round_mode_16_64 0
		.amdhsa_float_denorm_mode_32 3
		.amdhsa_float_denorm_mode_16_64 3
		.amdhsa_dx10_clamp 1
		.amdhsa_ieee_mode 1
		.amdhsa_fp16_overflow 0
		.amdhsa_tg_split 0
		.amdhsa_exception_fp_ieee_invalid_op 0
		.amdhsa_exception_fp_denorm_src 0
		.amdhsa_exception_fp_ieee_div_zero 0
		.amdhsa_exception_fp_ieee_overflow 0
		.amdhsa_exception_fp_ieee_underflow 0
		.amdhsa_exception_fp_ieee_inexact 0
		.amdhsa_exception_int_div_zero 0
	.end_amdhsa_kernel
	.section	.text._ZN7rocprim17ROCPRIM_400000_NS6detail17trampoline_kernelINS0_14default_configENS1_27lower_bound_config_selectorIiN6thrust23THRUST_200600_302600_NS6detail10any_assignEEEZNS1_14transform_implILb0ES3_S9_NS7_15normal_iteratorINS6_10device_ptrIiEEEENS6_16discard_iteratorINS6_11use_defaultEEEZNS1_13binary_searchIS3_S9_SE_SE_SH_NS1_21lower_bound_search_opENS7_16wrapped_functionINS0_4lessIvEEbEEEE10hipError_tPvRmT1_T2_T3_mmT4_T5_P12ihipStream_tbEUlRKiE_EESO_SS_ST_mSU_SX_bEUlT_E_NS1_11comp_targetILNS1_3genE2ELNS1_11target_archE906ELNS1_3gpuE6ELNS1_3repE0EEENS1_30default_config_static_selectorELNS0_4arch9wavefront6targetE1EEEvSR_,"axG",@progbits,_ZN7rocprim17ROCPRIM_400000_NS6detail17trampoline_kernelINS0_14default_configENS1_27lower_bound_config_selectorIiN6thrust23THRUST_200600_302600_NS6detail10any_assignEEEZNS1_14transform_implILb0ES3_S9_NS7_15normal_iteratorINS6_10device_ptrIiEEEENS6_16discard_iteratorINS6_11use_defaultEEEZNS1_13binary_searchIS3_S9_SE_SE_SH_NS1_21lower_bound_search_opENS7_16wrapped_functionINS0_4lessIvEEbEEEE10hipError_tPvRmT1_T2_T3_mmT4_T5_P12ihipStream_tbEUlRKiE_EESO_SS_ST_mSU_SX_bEUlT_E_NS1_11comp_targetILNS1_3genE2ELNS1_11target_archE906ELNS1_3gpuE6ELNS1_3repE0EEENS1_30default_config_static_selectorELNS0_4arch9wavefront6targetE1EEEvSR_,comdat
.Lfunc_end559:
	.size	_ZN7rocprim17ROCPRIM_400000_NS6detail17trampoline_kernelINS0_14default_configENS1_27lower_bound_config_selectorIiN6thrust23THRUST_200600_302600_NS6detail10any_assignEEEZNS1_14transform_implILb0ES3_S9_NS7_15normal_iteratorINS6_10device_ptrIiEEEENS6_16discard_iteratorINS6_11use_defaultEEEZNS1_13binary_searchIS3_S9_SE_SE_SH_NS1_21lower_bound_search_opENS7_16wrapped_functionINS0_4lessIvEEbEEEE10hipError_tPvRmT1_T2_T3_mmT4_T5_P12ihipStream_tbEUlRKiE_EESO_SS_ST_mSU_SX_bEUlT_E_NS1_11comp_targetILNS1_3genE2ELNS1_11target_archE906ELNS1_3gpuE6ELNS1_3repE0EEENS1_30default_config_static_selectorELNS0_4arch9wavefront6targetE1EEEvSR_, .Lfunc_end559-_ZN7rocprim17ROCPRIM_400000_NS6detail17trampoline_kernelINS0_14default_configENS1_27lower_bound_config_selectorIiN6thrust23THRUST_200600_302600_NS6detail10any_assignEEEZNS1_14transform_implILb0ES3_S9_NS7_15normal_iteratorINS6_10device_ptrIiEEEENS6_16discard_iteratorINS6_11use_defaultEEEZNS1_13binary_searchIS3_S9_SE_SE_SH_NS1_21lower_bound_search_opENS7_16wrapped_functionINS0_4lessIvEEbEEEE10hipError_tPvRmT1_T2_T3_mmT4_T5_P12ihipStream_tbEUlRKiE_EESO_SS_ST_mSU_SX_bEUlT_E_NS1_11comp_targetILNS1_3genE2ELNS1_11target_archE906ELNS1_3gpuE6ELNS1_3repE0EEENS1_30default_config_static_selectorELNS0_4arch9wavefront6targetE1EEEvSR_
                                        ; -- End function
	.section	.AMDGPU.csdata,"",@progbits
; Kernel info:
; codeLenInByte = 0
; NumSgprs: 4
; NumVgprs: 0
; NumAgprs: 0
; TotalNumVgprs: 0
; ScratchSize: 0
; MemoryBound: 0
; FloatMode: 240
; IeeeMode: 1
; LDSByteSize: 0 bytes/workgroup (compile time only)
; SGPRBlocks: 0
; VGPRBlocks: 0
; NumSGPRsForWavesPerEU: 4
; NumVGPRsForWavesPerEU: 1
; AccumOffset: 4
; Occupancy: 8
; WaveLimiterHint : 0
; COMPUTE_PGM_RSRC2:SCRATCH_EN: 0
; COMPUTE_PGM_RSRC2:USER_SGPR: 6
; COMPUTE_PGM_RSRC2:TRAP_HANDLER: 0
; COMPUTE_PGM_RSRC2:TGID_X_EN: 1
; COMPUTE_PGM_RSRC2:TGID_Y_EN: 0
; COMPUTE_PGM_RSRC2:TGID_Z_EN: 0
; COMPUTE_PGM_RSRC2:TIDIG_COMP_CNT: 0
; COMPUTE_PGM_RSRC3_GFX90A:ACCUM_OFFSET: 0
; COMPUTE_PGM_RSRC3_GFX90A:TG_SPLIT: 0
	.section	.text._ZN7rocprim17ROCPRIM_400000_NS6detail17trampoline_kernelINS0_14default_configENS1_27lower_bound_config_selectorIiN6thrust23THRUST_200600_302600_NS6detail10any_assignEEEZNS1_14transform_implILb0ES3_S9_NS7_15normal_iteratorINS6_10device_ptrIiEEEENS6_16discard_iteratorINS6_11use_defaultEEEZNS1_13binary_searchIS3_S9_SE_SE_SH_NS1_21lower_bound_search_opENS7_16wrapped_functionINS0_4lessIvEEbEEEE10hipError_tPvRmT1_T2_T3_mmT4_T5_P12ihipStream_tbEUlRKiE_EESO_SS_ST_mSU_SX_bEUlT_E_NS1_11comp_targetILNS1_3genE10ELNS1_11target_archE1201ELNS1_3gpuE5ELNS1_3repE0EEENS1_30default_config_static_selectorELNS0_4arch9wavefront6targetE1EEEvSR_,"axG",@progbits,_ZN7rocprim17ROCPRIM_400000_NS6detail17trampoline_kernelINS0_14default_configENS1_27lower_bound_config_selectorIiN6thrust23THRUST_200600_302600_NS6detail10any_assignEEEZNS1_14transform_implILb0ES3_S9_NS7_15normal_iteratorINS6_10device_ptrIiEEEENS6_16discard_iteratorINS6_11use_defaultEEEZNS1_13binary_searchIS3_S9_SE_SE_SH_NS1_21lower_bound_search_opENS7_16wrapped_functionINS0_4lessIvEEbEEEE10hipError_tPvRmT1_T2_T3_mmT4_T5_P12ihipStream_tbEUlRKiE_EESO_SS_ST_mSU_SX_bEUlT_E_NS1_11comp_targetILNS1_3genE10ELNS1_11target_archE1201ELNS1_3gpuE5ELNS1_3repE0EEENS1_30default_config_static_selectorELNS0_4arch9wavefront6targetE1EEEvSR_,comdat
	.protected	_ZN7rocprim17ROCPRIM_400000_NS6detail17trampoline_kernelINS0_14default_configENS1_27lower_bound_config_selectorIiN6thrust23THRUST_200600_302600_NS6detail10any_assignEEEZNS1_14transform_implILb0ES3_S9_NS7_15normal_iteratorINS6_10device_ptrIiEEEENS6_16discard_iteratorINS6_11use_defaultEEEZNS1_13binary_searchIS3_S9_SE_SE_SH_NS1_21lower_bound_search_opENS7_16wrapped_functionINS0_4lessIvEEbEEEE10hipError_tPvRmT1_T2_T3_mmT4_T5_P12ihipStream_tbEUlRKiE_EESO_SS_ST_mSU_SX_bEUlT_E_NS1_11comp_targetILNS1_3genE10ELNS1_11target_archE1201ELNS1_3gpuE5ELNS1_3repE0EEENS1_30default_config_static_selectorELNS0_4arch9wavefront6targetE1EEEvSR_ ; -- Begin function _ZN7rocprim17ROCPRIM_400000_NS6detail17trampoline_kernelINS0_14default_configENS1_27lower_bound_config_selectorIiN6thrust23THRUST_200600_302600_NS6detail10any_assignEEEZNS1_14transform_implILb0ES3_S9_NS7_15normal_iteratorINS6_10device_ptrIiEEEENS6_16discard_iteratorINS6_11use_defaultEEEZNS1_13binary_searchIS3_S9_SE_SE_SH_NS1_21lower_bound_search_opENS7_16wrapped_functionINS0_4lessIvEEbEEEE10hipError_tPvRmT1_T2_T3_mmT4_T5_P12ihipStream_tbEUlRKiE_EESO_SS_ST_mSU_SX_bEUlT_E_NS1_11comp_targetILNS1_3genE10ELNS1_11target_archE1201ELNS1_3gpuE5ELNS1_3repE0EEENS1_30default_config_static_selectorELNS0_4arch9wavefront6targetE1EEEvSR_
	.globl	_ZN7rocprim17ROCPRIM_400000_NS6detail17trampoline_kernelINS0_14default_configENS1_27lower_bound_config_selectorIiN6thrust23THRUST_200600_302600_NS6detail10any_assignEEEZNS1_14transform_implILb0ES3_S9_NS7_15normal_iteratorINS6_10device_ptrIiEEEENS6_16discard_iteratorINS6_11use_defaultEEEZNS1_13binary_searchIS3_S9_SE_SE_SH_NS1_21lower_bound_search_opENS7_16wrapped_functionINS0_4lessIvEEbEEEE10hipError_tPvRmT1_T2_T3_mmT4_T5_P12ihipStream_tbEUlRKiE_EESO_SS_ST_mSU_SX_bEUlT_E_NS1_11comp_targetILNS1_3genE10ELNS1_11target_archE1201ELNS1_3gpuE5ELNS1_3repE0EEENS1_30default_config_static_selectorELNS0_4arch9wavefront6targetE1EEEvSR_
	.p2align	8
	.type	_ZN7rocprim17ROCPRIM_400000_NS6detail17trampoline_kernelINS0_14default_configENS1_27lower_bound_config_selectorIiN6thrust23THRUST_200600_302600_NS6detail10any_assignEEEZNS1_14transform_implILb0ES3_S9_NS7_15normal_iteratorINS6_10device_ptrIiEEEENS6_16discard_iteratorINS6_11use_defaultEEEZNS1_13binary_searchIS3_S9_SE_SE_SH_NS1_21lower_bound_search_opENS7_16wrapped_functionINS0_4lessIvEEbEEEE10hipError_tPvRmT1_T2_T3_mmT4_T5_P12ihipStream_tbEUlRKiE_EESO_SS_ST_mSU_SX_bEUlT_E_NS1_11comp_targetILNS1_3genE10ELNS1_11target_archE1201ELNS1_3gpuE5ELNS1_3repE0EEENS1_30default_config_static_selectorELNS0_4arch9wavefront6targetE1EEEvSR_,@function
_ZN7rocprim17ROCPRIM_400000_NS6detail17trampoline_kernelINS0_14default_configENS1_27lower_bound_config_selectorIiN6thrust23THRUST_200600_302600_NS6detail10any_assignEEEZNS1_14transform_implILb0ES3_S9_NS7_15normal_iteratorINS6_10device_ptrIiEEEENS6_16discard_iteratorINS6_11use_defaultEEEZNS1_13binary_searchIS3_S9_SE_SE_SH_NS1_21lower_bound_search_opENS7_16wrapped_functionINS0_4lessIvEEbEEEE10hipError_tPvRmT1_T2_T3_mmT4_T5_P12ihipStream_tbEUlRKiE_EESO_SS_ST_mSU_SX_bEUlT_E_NS1_11comp_targetILNS1_3genE10ELNS1_11target_archE1201ELNS1_3gpuE5ELNS1_3repE0EEENS1_30default_config_static_selectorELNS0_4arch9wavefront6targetE1EEEvSR_: ; @_ZN7rocprim17ROCPRIM_400000_NS6detail17trampoline_kernelINS0_14default_configENS1_27lower_bound_config_selectorIiN6thrust23THRUST_200600_302600_NS6detail10any_assignEEEZNS1_14transform_implILb0ES3_S9_NS7_15normal_iteratorINS6_10device_ptrIiEEEENS6_16discard_iteratorINS6_11use_defaultEEEZNS1_13binary_searchIS3_S9_SE_SE_SH_NS1_21lower_bound_search_opENS7_16wrapped_functionINS0_4lessIvEEbEEEE10hipError_tPvRmT1_T2_T3_mmT4_T5_P12ihipStream_tbEUlRKiE_EESO_SS_ST_mSU_SX_bEUlT_E_NS1_11comp_targetILNS1_3genE10ELNS1_11target_archE1201ELNS1_3gpuE5ELNS1_3repE0EEENS1_30default_config_static_selectorELNS0_4arch9wavefront6targetE1EEEvSR_
; %bb.0:
	.section	.rodata,"a",@progbits
	.p2align	6, 0x0
	.amdhsa_kernel _ZN7rocprim17ROCPRIM_400000_NS6detail17trampoline_kernelINS0_14default_configENS1_27lower_bound_config_selectorIiN6thrust23THRUST_200600_302600_NS6detail10any_assignEEEZNS1_14transform_implILb0ES3_S9_NS7_15normal_iteratorINS6_10device_ptrIiEEEENS6_16discard_iteratorINS6_11use_defaultEEEZNS1_13binary_searchIS3_S9_SE_SE_SH_NS1_21lower_bound_search_opENS7_16wrapped_functionINS0_4lessIvEEbEEEE10hipError_tPvRmT1_T2_T3_mmT4_T5_P12ihipStream_tbEUlRKiE_EESO_SS_ST_mSU_SX_bEUlT_E_NS1_11comp_targetILNS1_3genE10ELNS1_11target_archE1201ELNS1_3gpuE5ELNS1_3repE0EEENS1_30default_config_static_selectorELNS0_4arch9wavefront6targetE1EEEvSR_
		.amdhsa_group_segment_fixed_size 0
		.amdhsa_private_segment_fixed_size 0
		.amdhsa_kernarg_size 64
		.amdhsa_user_sgpr_count 6
		.amdhsa_user_sgpr_private_segment_buffer 1
		.amdhsa_user_sgpr_dispatch_ptr 0
		.amdhsa_user_sgpr_queue_ptr 0
		.amdhsa_user_sgpr_kernarg_segment_ptr 1
		.amdhsa_user_sgpr_dispatch_id 0
		.amdhsa_user_sgpr_flat_scratch_init 0
		.amdhsa_user_sgpr_kernarg_preload_length 0
		.amdhsa_user_sgpr_kernarg_preload_offset 0
		.amdhsa_user_sgpr_private_segment_size 0
		.amdhsa_uses_dynamic_stack 0
		.amdhsa_system_sgpr_private_segment_wavefront_offset 0
		.amdhsa_system_sgpr_workgroup_id_x 1
		.amdhsa_system_sgpr_workgroup_id_y 0
		.amdhsa_system_sgpr_workgroup_id_z 0
		.amdhsa_system_sgpr_workgroup_info 0
		.amdhsa_system_vgpr_workitem_id 0
		.amdhsa_next_free_vgpr 1
		.amdhsa_next_free_sgpr 0
		.amdhsa_accum_offset 4
		.amdhsa_reserve_vcc 0
		.amdhsa_reserve_flat_scratch 0
		.amdhsa_float_round_mode_32 0
		.amdhsa_float_round_mode_16_64 0
		.amdhsa_float_denorm_mode_32 3
		.amdhsa_float_denorm_mode_16_64 3
		.amdhsa_dx10_clamp 1
		.amdhsa_ieee_mode 1
		.amdhsa_fp16_overflow 0
		.amdhsa_tg_split 0
		.amdhsa_exception_fp_ieee_invalid_op 0
		.amdhsa_exception_fp_denorm_src 0
		.amdhsa_exception_fp_ieee_div_zero 0
		.amdhsa_exception_fp_ieee_overflow 0
		.amdhsa_exception_fp_ieee_underflow 0
		.amdhsa_exception_fp_ieee_inexact 0
		.amdhsa_exception_int_div_zero 0
	.end_amdhsa_kernel
	.section	.text._ZN7rocprim17ROCPRIM_400000_NS6detail17trampoline_kernelINS0_14default_configENS1_27lower_bound_config_selectorIiN6thrust23THRUST_200600_302600_NS6detail10any_assignEEEZNS1_14transform_implILb0ES3_S9_NS7_15normal_iteratorINS6_10device_ptrIiEEEENS6_16discard_iteratorINS6_11use_defaultEEEZNS1_13binary_searchIS3_S9_SE_SE_SH_NS1_21lower_bound_search_opENS7_16wrapped_functionINS0_4lessIvEEbEEEE10hipError_tPvRmT1_T2_T3_mmT4_T5_P12ihipStream_tbEUlRKiE_EESO_SS_ST_mSU_SX_bEUlT_E_NS1_11comp_targetILNS1_3genE10ELNS1_11target_archE1201ELNS1_3gpuE5ELNS1_3repE0EEENS1_30default_config_static_selectorELNS0_4arch9wavefront6targetE1EEEvSR_,"axG",@progbits,_ZN7rocprim17ROCPRIM_400000_NS6detail17trampoline_kernelINS0_14default_configENS1_27lower_bound_config_selectorIiN6thrust23THRUST_200600_302600_NS6detail10any_assignEEEZNS1_14transform_implILb0ES3_S9_NS7_15normal_iteratorINS6_10device_ptrIiEEEENS6_16discard_iteratorINS6_11use_defaultEEEZNS1_13binary_searchIS3_S9_SE_SE_SH_NS1_21lower_bound_search_opENS7_16wrapped_functionINS0_4lessIvEEbEEEE10hipError_tPvRmT1_T2_T3_mmT4_T5_P12ihipStream_tbEUlRKiE_EESO_SS_ST_mSU_SX_bEUlT_E_NS1_11comp_targetILNS1_3genE10ELNS1_11target_archE1201ELNS1_3gpuE5ELNS1_3repE0EEENS1_30default_config_static_selectorELNS0_4arch9wavefront6targetE1EEEvSR_,comdat
.Lfunc_end560:
	.size	_ZN7rocprim17ROCPRIM_400000_NS6detail17trampoline_kernelINS0_14default_configENS1_27lower_bound_config_selectorIiN6thrust23THRUST_200600_302600_NS6detail10any_assignEEEZNS1_14transform_implILb0ES3_S9_NS7_15normal_iteratorINS6_10device_ptrIiEEEENS6_16discard_iteratorINS6_11use_defaultEEEZNS1_13binary_searchIS3_S9_SE_SE_SH_NS1_21lower_bound_search_opENS7_16wrapped_functionINS0_4lessIvEEbEEEE10hipError_tPvRmT1_T2_T3_mmT4_T5_P12ihipStream_tbEUlRKiE_EESO_SS_ST_mSU_SX_bEUlT_E_NS1_11comp_targetILNS1_3genE10ELNS1_11target_archE1201ELNS1_3gpuE5ELNS1_3repE0EEENS1_30default_config_static_selectorELNS0_4arch9wavefront6targetE1EEEvSR_, .Lfunc_end560-_ZN7rocprim17ROCPRIM_400000_NS6detail17trampoline_kernelINS0_14default_configENS1_27lower_bound_config_selectorIiN6thrust23THRUST_200600_302600_NS6detail10any_assignEEEZNS1_14transform_implILb0ES3_S9_NS7_15normal_iteratorINS6_10device_ptrIiEEEENS6_16discard_iteratorINS6_11use_defaultEEEZNS1_13binary_searchIS3_S9_SE_SE_SH_NS1_21lower_bound_search_opENS7_16wrapped_functionINS0_4lessIvEEbEEEE10hipError_tPvRmT1_T2_T3_mmT4_T5_P12ihipStream_tbEUlRKiE_EESO_SS_ST_mSU_SX_bEUlT_E_NS1_11comp_targetILNS1_3genE10ELNS1_11target_archE1201ELNS1_3gpuE5ELNS1_3repE0EEENS1_30default_config_static_selectorELNS0_4arch9wavefront6targetE1EEEvSR_
                                        ; -- End function
	.section	.AMDGPU.csdata,"",@progbits
; Kernel info:
; codeLenInByte = 0
; NumSgprs: 4
; NumVgprs: 0
; NumAgprs: 0
; TotalNumVgprs: 0
; ScratchSize: 0
; MemoryBound: 0
; FloatMode: 240
; IeeeMode: 1
; LDSByteSize: 0 bytes/workgroup (compile time only)
; SGPRBlocks: 0
; VGPRBlocks: 0
; NumSGPRsForWavesPerEU: 4
; NumVGPRsForWavesPerEU: 1
; AccumOffset: 4
; Occupancy: 8
; WaveLimiterHint : 0
; COMPUTE_PGM_RSRC2:SCRATCH_EN: 0
; COMPUTE_PGM_RSRC2:USER_SGPR: 6
; COMPUTE_PGM_RSRC2:TRAP_HANDLER: 0
; COMPUTE_PGM_RSRC2:TGID_X_EN: 1
; COMPUTE_PGM_RSRC2:TGID_Y_EN: 0
; COMPUTE_PGM_RSRC2:TGID_Z_EN: 0
; COMPUTE_PGM_RSRC2:TIDIG_COMP_CNT: 0
; COMPUTE_PGM_RSRC3_GFX90A:ACCUM_OFFSET: 0
; COMPUTE_PGM_RSRC3_GFX90A:TG_SPLIT: 0
	.section	.text._ZN7rocprim17ROCPRIM_400000_NS6detail17trampoline_kernelINS0_14default_configENS1_27lower_bound_config_selectorIiN6thrust23THRUST_200600_302600_NS6detail10any_assignEEEZNS1_14transform_implILb0ES3_S9_NS7_15normal_iteratorINS6_10device_ptrIiEEEENS6_16discard_iteratorINS6_11use_defaultEEEZNS1_13binary_searchIS3_S9_SE_SE_SH_NS1_21lower_bound_search_opENS7_16wrapped_functionINS0_4lessIvEEbEEEE10hipError_tPvRmT1_T2_T3_mmT4_T5_P12ihipStream_tbEUlRKiE_EESO_SS_ST_mSU_SX_bEUlT_E_NS1_11comp_targetILNS1_3genE10ELNS1_11target_archE1200ELNS1_3gpuE4ELNS1_3repE0EEENS1_30default_config_static_selectorELNS0_4arch9wavefront6targetE1EEEvSR_,"axG",@progbits,_ZN7rocprim17ROCPRIM_400000_NS6detail17trampoline_kernelINS0_14default_configENS1_27lower_bound_config_selectorIiN6thrust23THRUST_200600_302600_NS6detail10any_assignEEEZNS1_14transform_implILb0ES3_S9_NS7_15normal_iteratorINS6_10device_ptrIiEEEENS6_16discard_iteratorINS6_11use_defaultEEEZNS1_13binary_searchIS3_S9_SE_SE_SH_NS1_21lower_bound_search_opENS7_16wrapped_functionINS0_4lessIvEEbEEEE10hipError_tPvRmT1_T2_T3_mmT4_T5_P12ihipStream_tbEUlRKiE_EESO_SS_ST_mSU_SX_bEUlT_E_NS1_11comp_targetILNS1_3genE10ELNS1_11target_archE1200ELNS1_3gpuE4ELNS1_3repE0EEENS1_30default_config_static_selectorELNS0_4arch9wavefront6targetE1EEEvSR_,comdat
	.protected	_ZN7rocprim17ROCPRIM_400000_NS6detail17trampoline_kernelINS0_14default_configENS1_27lower_bound_config_selectorIiN6thrust23THRUST_200600_302600_NS6detail10any_assignEEEZNS1_14transform_implILb0ES3_S9_NS7_15normal_iteratorINS6_10device_ptrIiEEEENS6_16discard_iteratorINS6_11use_defaultEEEZNS1_13binary_searchIS3_S9_SE_SE_SH_NS1_21lower_bound_search_opENS7_16wrapped_functionINS0_4lessIvEEbEEEE10hipError_tPvRmT1_T2_T3_mmT4_T5_P12ihipStream_tbEUlRKiE_EESO_SS_ST_mSU_SX_bEUlT_E_NS1_11comp_targetILNS1_3genE10ELNS1_11target_archE1200ELNS1_3gpuE4ELNS1_3repE0EEENS1_30default_config_static_selectorELNS0_4arch9wavefront6targetE1EEEvSR_ ; -- Begin function _ZN7rocprim17ROCPRIM_400000_NS6detail17trampoline_kernelINS0_14default_configENS1_27lower_bound_config_selectorIiN6thrust23THRUST_200600_302600_NS6detail10any_assignEEEZNS1_14transform_implILb0ES3_S9_NS7_15normal_iteratorINS6_10device_ptrIiEEEENS6_16discard_iteratorINS6_11use_defaultEEEZNS1_13binary_searchIS3_S9_SE_SE_SH_NS1_21lower_bound_search_opENS7_16wrapped_functionINS0_4lessIvEEbEEEE10hipError_tPvRmT1_T2_T3_mmT4_T5_P12ihipStream_tbEUlRKiE_EESO_SS_ST_mSU_SX_bEUlT_E_NS1_11comp_targetILNS1_3genE10ELNS1_11target_archE1200ELNS1_3gpuE4ELNS1_3repE0EEENS1_30default_config_static_selectorELNS0_4arch9wavefront6targetE1EEEvSR_
	.globl	_ZN7rocprim17ROCPRIM_400000_NS6detail17trampoline_kernelINS0_14default_configENS1_27lower_bound_config_selectorIiN6thrust23THRUST_200600_302600_NS6detail10any_assignEEEZNS1_14transform_implILb0ES3_S9_NS7_15normal_iteratorINS6_10device_ptrIiEEEENS6_16discard_iteratorINS6_11use_defaultEEEZNS1_13binary_searchIS3_S9_SE_SE_SH_NS1_21lower_bound_search_opENS7_16wrapped_functionINS0_4lessIvEEbEEEE10hipError_tPvRmT1_T2_T3_mmT4_T5_P12ihipStream_tbEUlRKiE_EESO_SS_ST_mSU_SX_bEUlT_E_NS1_11comp_targetILNS1_3genE10ELNS1_11target_archE1200ELNS1_3gpuE4ELNS1_3repE0EEENS1_30default_config_static_selectorELNS0_4arch9wavefront6targetE1EEEvSR_
	.p2align	8
	.type	_ZN7rocprim17ROCPRIM_400000_NS6detail17trampoline_kernelINS0_14default_configENS1_27lower_bound_config_selectorIiN6thrust23THRUST_200600_302600_NS6detail10any_assignEEEZNS1_14transform_implILb0ES3_S9_NS7_15normal_iteratorINS6_10device_ptrIiEEEENS6_16discard_iteratorINS6_11use_defaultEEEZNS1_13binary_searchIS3_S9_SE_SE_SH_NS1_21lower_bound_search_opENS7_16wrapped_functionINS0_4lessIvEEbEEEE10hipError_tPvRmT1_T2_T3_mmT4_T5_P12ihipStream_tbEUlRKiE_EESO_SS_ST_mSU_SX_bEUlT_E_NS1_11comp_targetILNS1_3genE10ELNS1_11target_archE1200ELNS1_3gpuE4ELNS1_3repE0EEENS1_30default_config_static_selectorELNS0_4arch9wavefront6targetE1EEEvSR_,@function
_ZN7rocprim17ROCPRIM_400000_NS6detail17trampoline_kernelINS0_14default_configENS1_27lower_bound_config_selectorIiN6thrust23THRUST_200600_302600_NS6detail10any_assignEEEZNS1_14transform_implILb0ES3_S9_NS7_15normal_iteratorINS6_10device_ptrIiEEEENS6_16discard_iteratorINS6_11use_defaultEEEZNS1_13binary_searchIS3_S9_SE_SE_SH_NS1_21lower_bound_search_opENS7_16wrapped_functionINS0_4lessIvEEbEEEE10hipError_tPvRmT1_T2_T3_mmT4_T5_P12ihipStream_tbEUlRKiE_EESO_SS_ST_mSU_SX_bEUlT_E_NS1_11comp_targetILNS1_3genE10ELNS1_11target_archE1200ELNS1_3gpuE4ELNS1_3repE0EEENS1_30default_config_static_selectorELNS0_4arch9wavefront6targetE1EEEvSR_: ; @_ZN7rocprim17ROCPRIM_400000_NS6detail17trampoline_kernelINS0_14default_configENS1_27lower_bound_config_selectorIiN6thrust23THRUST_200600_302600_NS6detail10any_assignEEEZNS1_14transform_implILb0ES3_S9_NS7_15normal_iteratorINS6_10device_ptrIiEEEENS6_16discard_iteratorINS6_11use_defaultEEEZNS1_13binary_searchIS3_S9_SE_SE_SH_NS1_21lower_bound_search_opENS7_16wrapped_functionINS0_4lessIvEEbEEEE10hipError_tPvRmT1_T2_T3_mmT4_T5_P12ihipStream_tbEUlRKiE_EESO_SS_ST_mSU_SX_bEUlT_E_NS1_11comp_targetILNS1_3genE10ELNS1_11target_archE1200ELNS1_3gpuE4ELNS1_3repE0EEENS1_30default_config_static_selectorELNS0_4arch9wavefront6targetE1EEEvSR_
; %bb.0:
	.section	.rodata,"a",@progbits
	.p2align	6, 0x0
	.amdhsa_kernel _ZN7rocprim17ROCPRIM_400000_NS6detail17trampoline_kernelINS0_14default_configENS1_27lower_bound_config_selectorIiN6thrust23THRUST_200600_302600_NS6detail10any_assignEEEZNS1_14transform_implILb0ES3_S9_NS7_15normal_iteratorINS6_10device_ptrIiEEEENS6_16discard_iteratorINS6_11use_defaultEEEZNS1_13binary_searchIS3_S9_SE_SE_SH_NS1_21lower_bound_search_opENS7_16wrapped_functionINS0_4lessIvEEbEEEE10hipError_tPvRmT1_T2_T3_mmT4_T5_P12ihipStream_tbEUlRKiE_EESO_SS_ST_mSU_SX_bEUlT_E_NS1_11comp_targetILNS1_3genE10ELNS1_11target_archE1200ELNS1_3gpuE4ELNS1_3repE0EEENS1_30default_config_static_selectorELNS0_4arch9wavefront6targetE1EEEvSR_
		.amdhsa_group_segment_fixed_size 0
		.amdhsa_private_segment_fixed_size 0
		.amdhsa_kernarg_size 64
		.amdhsa_user_sgpr_count 6
		.amdhsa_user_sgpr_private_segment_buffer 1
		.amdhsa_user_sgpr_dispatch_ptr 0
		.amdhsa_user_sgpr_queue_ptr 0
		.amdhsa_user_sgpr_kernarg_segment_ptr 1
		.amdhsa_user_sgpr_dispatch_id 0
		.amdhsa_user_sgpr_flat_scratch_init 0
		.amdhsa_user_sgpr_kernarg_preload_length 0
		.amdhsa_user_sgpr_kernarg_preload_offset 0
		.amdhsa_user_sgpr_private_segment_size 0
		.amdhsa_uses_dynamic_stack 0
		.amdhsa_system_sgpr_private_segment_wavefront_offset 0
		.amdhsa_system_sgpr_workgroup_id_x 1
		.amdhsa_system_sgpr_workgroup_id_y 0
		.amdhsa_system_sgpr_workgroup_id_z 0
		.amdhsa_system_sgpr_workgroup_info 0
		.amdhsa_system_vgpr_workitem_id 0
		.amdhsa_next_free_vgpr 1
		.amdhsa_next_free_sgpr 0
		.amdhsa_accum_offset 4
		.amdhsa_reserve_vcc 0
		.amdhsa_reserve_flat_scratch 0
		.amdhsa_float_round_mode_32 0
		.amdhsa_float_round_mode_16_64 0
		.amdhsa_float_denorm_mode_32 3
		.amdhsa_float_denorm_mode_16_64 3
		.amdhsa_dx10_clamp 1
		.amdhsa_ieee_mode 1
		.amdhsa_fp16_overflow 0
		.amdhsa_tg_split 0
		.amdhsa_exception_fp_ieee_invalid_op 0
		.amdhsa_exception_fp_denorm_src 0
		.amdhsa_exception_fp_ieee_div_zero 0
		.amdhsa_exception_fp_ieee_overflow 0
		.amdhsa_exception_fp_ieee_underflow 0
		.amdhsa_exception_fp_ieee_inexact 0
		.amdhsa_exception_int_div_zero 0
	.end_amdhsa_kernel
	.section	.text._ZN7rocprim17ROCPRIM_400000_NS6detail17trampoline_kernelINS0_14default_configENS1_27lower_bound_config_selectorIiN6thrust23THRUST_200600_302600_NS6detail10any_assignEEEZNS1_14transform_implILb0ES3_S9_NS7_15normal_iteratorINS6_10device_ptrIiEEEENS6_16discard_iteratorINS6_11use_defaultEEEZNS1_13binary_searchIS3_S9_SE_SE_SH_NS1_21lower_bound_search_opENS7_16wrapped_functionINS0_4lessIvEEbEEEE10hipError_tPvRmT1_T2_T3_mmT4_T5_P12ihipStream_tbEUlRKiE_EESO_SS_ST_mSU_SX_bEUlT_E_NS1_11comp_targetILNS1_3genE10ELNS1_11target_archE1200ELNS1_3gpuE4ELNS1_3repE0EEENS1_30default_config_static_selectorELNS0_4arch9wavefront6targetE1EEEvSR_,"axG",@progbits,_ZN7rocprim17ROCPRIM_400000_NS6detail17trampoline_kernelINS0_14default_configENS1_27lower_bound_config_selectorIiN6thrust23THRUST_200600_302600_NS6detail10any_assignEEEZNS1_14transform_implILb0ES3_S9_NS7_15normal_iteratorINS6_10device_ptrIiEEEENS6_16discard_iteratorINS6_11use_defaultEEEZNS1_13binary_searchIS3_S9_SE_SE_SH_NS1_21lower_bound_search_opENS7_16wrapped_functionINS0_4lessIvEEbEEEE10hipError_tPvRmT1_T2_T3_mmT4_T5_P12ihipStream_tbEUlRKiE_EESO_SS_ST_mSU_SX_bEUlT_E_NS1_11comp_targetILNS1_3genE10ELNS1_11target_archE1200ELNS1_3gpuE4ELNS1_3repE0EEENS1_30default_config_static_selectorELNS0_4arch9wavefront6targetE1EEEvSR_,comdat
.Lfunc_end561:
	.size	_ZN7rocprim17ROCPRIM_400000_NS6detail17trampoline_kernelINS0_14default_configENS1_27lower_bound_config_selectorIiN6thrust23THRUST_200600_302600_NS6detail10any_assignEEEZNS1_14transform_implILb0ES3_S9_NS7_15normal_iteratorINS6_10device_ptrIiEEEENS6_16discard_iteratorINS6_11use_defaultEEEZNS1_13binary_searchIS3_S9_SE_SE_SH_NS1_21lower_bound_search_opENS7_16wrapped_functionINS0_4lessIvEEbEEEE10hipError_tPvRmT1_T2_T3_mmT4_T5_P12ihipStream_tbEUlRKiE_EESO_SS_ST_mSU_SX_bEUlT_E_NS1_11comp_targetILNS1_3genE10ELNS1_11target_archE1200ELNS1_3gpuE4ELNS1_3repE0EEENS1_30default_config_static_selectorELNS0_4arch9wavefront6targetE1EEEvSR_, .Lfunc_end561-_ZN7rocprim17ROCPRIM_400000_NS6detail17trampoline_kernelINS0_14default_configENS1_27lower_bound_config_selectorIiN6thrust23THRUST_200600_302600_NS6detail10any_assignEEEZNS1_14transform_implILb0ES3_S9_NS7_15normal_iteratorINS6_10device_ptrIiEEEENS6_16discard_iteratorINS6_11use_defaultEEEZNS1_13binary_searchIS3_S9_SE_SE_SH_NS1_21lower_bound_search_opENS7_16wrapped_functionINS0_4lessIvEEbEEEE10hipError_tPvRmT1_T2_T3_mmT4_T5_P12ihipStream_tbEUlRKiE_EESO_SS_ST_mSU_SX_bEUlT_E_NS1_11comp_targetILNS1_3genE10ELNS1_11target_archE1200ELNS1_3gpuE4ELNS1_3repE0EEENS1_30default_config_static_selectorELNS0_4arch9wavefront6targetE1EEEvSR_
                                        ; -- End function
	.section	.AMDGPU.csdata,"",@progbits
; Kernel info:
; codeLenInByte = 0
; NumSgprs: 4
; NumVgprs: 0
; NumAgprs: 0
; TotalNumVgprs: 0
; ScratchSize: 0
; MemoryBound: 0
; FloatMode: 240
; IeeeMode: 1
; LDSByteSize: 0 bytes/workgroup (compile time only)
; SGPRBlocks: 0
; VGPRBlocks: 0
; NumSGPRsForWavesPerEU: 4
; NumVGPRsForWavesPerEU: 1
; AccumOffset: 4
; Occupancy: 8
; WaveLimiterHint : 0
; COMPUTE_PGM_RSRC2:SCRATCH_EN: 0
; COMPUTE_PGM_RSRC2:USER_SGPR: 6
; COMPUTE_PGM_RSRC2:TRAP_HANDLER: 0
; COMPUTE_PGM_RSRC2:TGID_X_EN: 1
; COMPUTE_PGM_RSRC2:TGID_Y_EN: 0
; COMPUTE_PGM_RSRC2:TGID_Z_EN: 0
; COMPUTE_PGM_RSRC2:TIDIG_COMP_CNT: 0
; COMPUTE_PGM_RSRC3_GFX90A:ACCUM_OFFSET: 0
; COMPUTE_PGM_RSRC3_GFX90A:TG_SPLIT: 0
	.section	.text._ZN7rocprim17ROCPRIM_400000_NS6detail17trampoline_kernelINS0_14default_configENS1_27lower_bound_config_selectorIiN6thrust23THRUST_200600_302600_NS6detail10any_assignEEEZNS1_14transform_implILb0ES3_S9_NS7_15normal_iteratorINS6_10device_ptrIiEEEENS6_16discard_iteratorINS6_11use_defaultEEEZNS1_13binary_searchIS3_S9_SE_SE_SH_NS1_21lower_bound_search_opENS7_16wrapped_functionINS0_4lessIvEEbEEEE10hipError_tPvRmT1_T2_T3_mmT4_T5_P12ihipStream_tbEUlRKiE_EESO_SS_ST_mSU_SX_bEUlT_E_NS1_11comp_targetILNS1_3genE9ELNS1_11target_archE1100ELNS1_3gpuE3ELNS1_3repE0EEENS1_30default_config_static_selectorELNS0_4arch9wavefront6targetE1EEEvSR_,"axG",@progbits,_ZN7rocprim17ROCPRIM_400000_NS6detail17trampoline_kernelINS0_14default_configENS1_27lower_bound_config_selectorIiN6thrust23THRUST_200600_302600_NS6detail10any_assignEEEZNS1_14transform_implILb0ES3_S9_NS7_15normal_iteratorINS6_10device_ptrIiEEEENS6_16discard_iteratorINS6_11use_defaultEEEZNS1_13binary_searchIS3_S9_SE_SE_SH_NS1_21lower_bound_search_opENS7_16wrapped_functionINS0_4lessIvEEbEEEE10hipError_tPvRmT1_T2_T3_mmT4_T5_P12ihipStream_tbEUlRKiE_EESO_SS_ST_mSU_SX_bEUlT_E_NS1_11comp_targetILNS1_3genE9ELNS1_11target_archE1100ELNS1_3gpuE3ELNS1_3repE0EEENS1_30default_config_static_selectorELNS0_4arch9wavefront6targetE1EEEvSR_,comdat
	.protected	_ZN7rocprim17ROCPRIM_400000_NS6detail17trampoline_kernelINS0_14default_configENS1_27lower_bound_config_selectorIiN6thrust23THRUST_200600_302600_NS6detail10any_assignEEEZNS1_14transform_implILb0ES3_S9_NS7_15normal_iteratorINS6_10device_ptrIiEEEENS6_16discard_iteratorINS6_11use_defaultEEEZNS1_13binary_searchIS3_S9_SE_SE_SH_NS1_21lower_bound_search_opENS7_16wrapped_functionINS0_4lessIvEEbEEEE10hipError_tPvRmT1_T2_T3_mmT4_T5_P12ihipStream_tbEUlRKiE_EESO_SS_ST_mSU_SX_bEUlT_E_NS1_11comp_targetILNS1_3genE9ELNS1_11target_archE1100ELNS1_3gpuE3ELNS1_3repE0EEENS1_30default_config_static_selectorELNS0_4arch9wavefront6targetE1EEEvSR_ ; -- Begin function _ZN7rocprim17ROCPRIM_400000_NS6detail17trampoline_kernelINS0_14default_configENS1_27lower_bound_config_selectorIiN6thrust23THRUST_200600_302600_NS6detail10any_assignEEEZNS1_14transform_implILb0ES3_S9_NS7_15normal_iteratorINS6_10device_ptrIiEEEENS6_16discard_iteratorINS6_11use_defaultEEEZNS1_13binary_searchIS3_S9_SE_SE_SH_NS1_21lower_bound_search_opENS7_16wrapped_functionINS0_4lessIvEEbEEEE10hipError_tPvRmT1_T2_T3_mmT4_T5_P12ihipStream_tbEUlRKiE_EESO_SS_ST_mSU_SX_bEUlT_E_NS1_11comp_targetILNS1_3genE9ELNS1_11target_archE1100ELNS1_3gpuE3ELNS1_3repE0EEENS1_30default_config_static_selectorELNS0_4arch9wavefront6targetE1EEEvSR_
	.globl	_ZN7rocprim17ROCPRIM_400000_NS6detail17trampoline_kernelINS0_14default_configENS1_27lower_bound_config_selectorIiN6thrust23THRUST_200600_302600_NS6detail10any_assignEEEZNS1_14transform_implILb0ES3_S9_NS7_15normal_iteratorINS6_10device_ptrIiEEEENS6_16discard_iteratorINS6_11use_defaultEEEZNS1_13binary_searchIS3_S9_SE_SE_SH_NS1_21lower_bound_search_opENS7_16wrapped_functionINS0_4lessIvEEbEEEE10hipError_tPvRmT1_T2_T3_mmT4_T5_P12ihipStream_tbEUlRKiE_EESO_SS_ST_mSU_SX_bEUlT_E_NS1_11comp_targetILNS1_3genE9ELNS1_11target_archE1100ELNS1_3gpuE3ELNS1_3repE0EEENS1_30default_config_static_selectorELNS0_4arch9wavefront6targetE1EEEvSR_
	.p2align	8
	.type	_ZN7rocprim17ROCPRIM_400000_NS6detail17trampoline_kernelINS0_14default_configENS1_27lower_bound_config_selectorIiN6thrust23THRUST_200600_302600_NS6detail10any_assignEEEZNS1_14transform_implILb0ES3_S9_NS7_15normal_iteratorINS6_10device_ptrIiEEEENS6_16discard_iteratorINS6_11use_defaultEEEZNS1_13binary_searchIS3_S9_SE_SE_SH_NS1_21lower_bound_search_opENS7_16wrapped_functionINS0_4lessIvEEbEEEE10hipError_tPvRmT1_T2_T3_mmT4_T5_P12ihipStream_tbEUlRKiE_EESO_SS_ST_mSU_SX_bEUlT_E_NS1_11comp_targetILNS1_3genE9ELNS1_11target_archE1100ELNS1_3gpuE3ELNS1_3repE0EEENS1_30default_config_static_selectorELNS0_4arch9wavefront6targetE1EEEvSR_,@function
_ZN7rocprim17ROCPRIM_400000_NS6detail17trampoline_kernelINS0_14default_configENS1_27lower_bound_config_selectorIiN6thrust23THRUST_200600_302600_NS6detail10any_assignEEEZNS1_14transform_implILb0ES3_S9_NS7_15normal_iteratorINS6_10device_ptrIiEEEENS6_16discard_iteratorINS6_11use_defaultEEEZNS1_13binary_searchIS3_S9_SE_SE_SH_NS1_21lower_bound_search_opENS7_16wrapped_functionINS0_4lessIvEEbEEEE10hipError_tPvRmT1_T2_T3_mmT4_T5_P12ihipStream_tbEUlRKiE_EESO_SS_ST_mSU_SX_bEUlT_E_NS1_11comp_targetILNS1_3genE9ELNS1_11target_archE1100ELNS1_3gpuE3ELNS1_3repE0EEENS1_30default_config_static_selectorELNS0_4arch9wavefront6targetE1EEEvSR_: ; @_ZN7rocprim17ROCPRIM_400000_NS6detail17trampoline_kernelINS0_14default_configENS1_27lower_bound_config_selectorIiN6thrust23THRUST_200600_302600_NS6detail10any_assignEEEZNS1_14transform_implILb0ES3_S9_NS7_15normal_iteratorINS6_10device_ptrIiEEEENS6_16discard_iteratorINS6_11use_defaultEEEZNS1_13binary_searchIS3_S9_SE_SE_SH_NS1_21lower_bound_search_opENS7_16wrapped_functionINS0_4lessIvEEbEEEE10hipError_tPvRmT1_T2_T3_mmT4_T5_P12ihipStream_tbEUlRKiE_EESO_SS_ST_mSU_SX_bEUlT_E_NS1_11comp_targetILNS1_3genE9ELNS1_11target_archE1100ELNS1_3gpuE3ELNS1_3repE0EEENS1_30default_config_static_selectorELNS0_4arch9wavefront6targetE1EEEvSR_
; %bb.0:
	.section	.rodata,"a",@progbits
	.p2align	6, 0x0
	.amdhsa_kernel _ZN7rocprim17ROCPRIM_400000_NS6detail17trampoline_kernelINS0_14default_configENS1_27lower_bound_config_selectorIiN6thrust23THRUST_200600_302600_NS6detail10any_assignEEEZNS1_14transform_implILb0ES3_S9_NS7_15normal_iteratorINS6_10device_ptrIiEEEENS6_16discard_iteratorINS6_11use_defaultEEEZNS1_13binary_searchIS3_S9_SE_SE_SH_NS1_21lower_bound_search_opENS7_16wrapped_functionINS0_4lessIvEEbEEEE10hipError_tPvRmT1_T2_T3_mmT4_T5_P12ihipStream_tbEUlRKiE_EESO_SS_ST_mSU_SX_bEUlT_E_NS1_11comp_targetILNS1_3genE9ELNS1_11target_archE1100ELNS1_3gpuE3ELNS1_3repE0EEENS1_30default_config_static_selectorELNS0_4arch9wavefront6targetE1EEEvSR_
		.amdhsa_group_segment_fixed_size 0
		.amdhsa_private_segment_fixed_size 0
		.amdhsa_kernarg_size 64
		.amdhsa_user_sgpr_count 6
		.amdhsa_user_sgpr_private_segment_buffer 1
		.amdhsa_user_sgpr_dispatch_ptr 0
		.amdhsa_user_sgpr_queue_ptr 0
		.amdhsa_user_sgpr_kernarg_segment_ptr 1
		.amdhsa_user_sgpr_dispatch_id 0
		.amdhsa_user_sgpr_flat_scratch_init 0
		.amdhsa_user_sgpr_kernarg_preload_length 0
		.amdhsa_user_sgpr_kernarg_preload_offset 0
		.amdhsa_user_sgpr_private_segment_size 0
		.amdhsa_uses_dynamic_stack 0
		.amdhsa_system_sgpr_private_segment_wavefront_offset 0
		.amdhsa_system_sgpr_workgroup_id_x 1
		.amdhsa_system_sgpr_workgroup_id_y 0
		.amdhsa_system_sgpr_workgroup_id_z 0
		.amdhsa_system_sgpr_workgroup_info 0
		.amdhsa_system_vgpr_workitem_id 0
		.amdhsa_next_free_vgpr 1
		.amdhsa_next_free_sgpr 0
		.amdhsa_accum_offset 4
		.amdhsa_reserve_vcc 0
		.amdhsa_reserve_flat_scratch 0
		.amdhsa_float_round_mode_32 0
		.amdhsa_float_round_mode_16_64 0
		.amdhsa_float_denorm_mode_32 3
		.amdhsa_float_denorm_mode_16_64 3
		.amdhsa_dx10_clamp 1
		.amdhsa_ieee_mode 1
		.amdhsa_fp16_overflow 0
		.amdhsa_tg_split 0
		.amdhsa_exception_fp_ieee_invalid_op 0
		.amdhsa_exception_fp_denorm_src 0
		.amdhsa_exception_fp_ieee_div_zero 0
		.amdhsa_exception_fp_ieee_overflow 0
		.amdhsa_exception_fp_ieee_underflow 0
		.amdhsa_exception_fp_ieee_inexact 0
		.amdhsa_exception_int_div_zero 0
	.end_amdhsa_kernel
	.section	.text._ZN7rocprim17ROCPRIM_400000_NS6detail17trampoline_kernelINS0_14default_configENS1_27lower_bound_config_selectorIiN6thrust23THRUST_200600_302600_NS6detail10any_assignEEEZNS1_14transform_implILb0ES3_S9_NS7_15normal_iteratorINS6_10device_ptrIiEEEENS6_16discard_iteratorINS6_11use_defaultEEEZNS1_13binary_searchIS3_S9_SE_SE_SH_NS1_21lower_bound_search_opENS7_16wrapped_functionINS0_4lessIvEEbEEEE10hipError_tPvRmT1_T2_T3_mmT4_T5_P12ihipStream_tbEUlRKiE_EESO_SS_ST_mSU_SX_bEUlT_E_NS1_11comp_targetILNS1_3genE9ELNS1_11target_archE1100ELNS1_3gpuE3ELNS1_3repE0EEENS1_30default_config_static_selectorELNS0_4arch9wavefront6targetE1EEEvSR_,"axG",@progbits,_ZN7rocprim17ROCPRIM_400000_NS6detail17trampoline_kernelINS0_14default_configENS1_27lower_bound_config_selectorIiN6thrust23THRUST_200600_302600_NS6detail10any_assignEEEZNS1_14transform_implILb0ES3_S9_NS7_15normal_iteratorINS6_10device_ptrIiEEEENS6_16discard_iteratorINS6_11use_defaultEEEZNS1_13binary_searchIS3_S9_SE_SE_SH_NS1_21lower_bound_search_opENS7_16wrapped_functionINS0_4lessIvEEbEEEE10hipError_tPvRmT1_T2_T3_mmT4_T5_P12ihipStream_tbEUlRKiE_EESO_SS_ST_mSU_SX_bEUlT_E_NS1_11comp_targetILNS1_3genE9ELNS1_11target_archE1100ELNS1_3gpuE3ELNS1_3repE0EEENS1_30default_config_static_selectorELNS0_4arch9wavefront6targetE1EEEvSR_,comdat
.Lfunc_end562:
	.size	_ZN7rocprim17ROCPRIM_400000_NS6detail17trampoline_kernelINS0_14default_configENS1_27lower_bound_config_selectorIiN6thrust23THRUST_200600_302600_NS6detail10any_assignEEEZNS1_14transform_implILb0ES3_S9_NS7_15normal_iteratorINS6_10device_ptrIiEEEENS6_16discard_iteratorINS6_11use_defaultEEEZNS1_13binary_searchIS3_S9_SE_SE_SH_NS1_21lower_bound_search_opENS7_16wrapped_functionINS0_4lessIvEEbEEEE10hipError_tPvRmT1_T2_T3_mmT4_T5_P12ihipStream_tbEUlRKiE_EESO_SS_ST_mSU_SX_bEUlT_E_NS1_11comp_targetILNS1_3genE9ELNS1_11target_archE1100ELNS1_3gpuE3ELNS1_3repE0EEENS1_30default_config_static_selectorELNS0_4arch9wavefront6targetE1EEEvSR_, .Lfunc_end562-_ZN7rocprim17ROCPRIM_400000_NS6detail17trampoline_kernelINS0_14default_configENS1_27lower_bound_config_selectorIiN6thrust23THRUST_200600_302600_NS6detail10any_assignEEEZNS1_14transform_implILb0ES3_S9_NS7_15normal_iteratorINS6_10device_ptrIiEEEENS6_16discard_iteratorINS6_11use_defaultEEEZNS1_13binary_searchIS3_S9_SE_SE_SH_NS1_21lower_bound_search_opENS7_16wrapped_functionINS0_4lessIvEEbEEEE10hipError_tPvRmT1_T2_T3_mmT4_T5_P12ihipStream_tbEUlRKiE_EESO_SS_ST_mSU_SX_bEUlT_E_NS1_11comp_targetILNS1_3genE9ELNS1_11target_archE1100ELNS1_3gpuE3ELNS1_3repE0EEENS1_30default_config_static_selectorELNS0_4arch9wavefront6targetE1EEEvSR_
                                        ; -- End function
	.section	.AMDGPU.csdata,"",@progbits
; Kernel info:
; codeLenInByte = 0
; NumSgprs: 4
; NumVgprs: 0
; NumAgprs: 0
; TotalNumVgprs: 0
; ScratchSize: 0
; MemoryBound: 0
; FloatMode: 240
; IeeeMode: 1
; LDSByteSize: 0 bytes/workgroup (compile time only)
; SGPRBlocks: 0
; VGPRBlocks: 0
; NumSGPRsForWavesPerEU: 4
; NumVGPRsForWavesPerEU: 1
; AccumOffset: 4
; Occupancy: 8
; WaveLimiterHint : 0
; COMPUTE_PGM_RSRC2:SCRATCH_EN: 0
; COMPUTE_PGM_RSRC2:USER_SGPR: 6
; COMPUTE_PGM_RSRC2:TRAP_HANDLER: 0
; COMPUTE_PGM_RSRC2:TGID_X_EN: 1
; COMPUTE_PGM_RSRC2:TGID_Y_EN: 0
; COMPUTE_PGM_RSRC2:TGID_Z_EN: 0
; COMPUTE_PGM_RSRC2:TIDIG_COMP_CNT: 0
; COMPUTE_PGM_RSRC3_GFX90A:ACCUM_OFFSET: 0
; COMPUTE_PGM_RSRC3_GFX90A:TG_SPLIT: 0
	.section	.text._ZN7rocprim17ROCPRIM_400000_NS6detail17trampoline_kernelINS0_14default_configENS1_27lower_bound_config_selectorIiN6thrust23THRUST_200600_302600_NS6detail10any_assignEEEZNS1_14transform_implILb0ES3_S9_NS7_15normal_iteratorINS6_10device_ptrIiEEEENS6_16discard_iteratorINS6_11use_defaultEEEZNS1_13binary_searchIS3_S9_SE_SE_SH_NS1_21lower_bound_search_opENS7_16wrapped_functionINS0_4lessIvEEbEEEE10hipError_tPvRmT1_T2_T3_mmT4_T5_P12ihipStream_tbEUlRKiE_EESO_SS_ST_mSU_SX_bEUlT_E_NS1_11comp_targetILNS1_3genE8ELNS1_11target_archE1030ELNS1_3gpuE2ELNS1_3repE0EEENS1_30default_config_static_selectorELNS0_4arch9wavefront6targetE1EEEvSR_,"axG",@progbits,_ZN7rocprim17ROCPRIM_400000_NS6detail17trampoline_kernelINS0_14default_configENS1_27lower_bound_config_selectorIiN6thrust23THRUST_200600_302600_NS6detail10any_assignEEEZNS1_14transform_implILb0ES3_S9_NS7_15normal_iteratorINS6_10device_ptrIiEEEENS6_16discard_iteratorINS6_11use_defaultEEEZNS1_13binary_searchIS3_S9_SE_SE_SH_NS1_21lower_bound_search_opENS7_16wrapped_functionINS0_4lessIvEEbEEEE10hipError_tPvRmT1_T2_T3_mmT4_T5_P12ihipStream_tbEUlRKiE_EESO_SS_ST_mSU_SX_bEUlT_E_NS1_11comp_targetILNS1_3genE8ELNS1_11target_archE1030ELNS1_3gpuE2ELNS1_3repE0EEENS1_30default_config_static_selectorELNS0_4arch9wavefront6targetE1EEEvSR_,comdat
	.protected	_ZN7rocprim17ROCPRIM_400000_NS6detail17trampoline_kernelINS0_14default_configENS1_27lower_bound_config_selectorIiN6thrust23THRUST_200600_302600_NS6detail10any_assignEEEZNS1_14transform_implILb0ES3_S9_NS7_15normal_iteratorINS6_10device_ptrIiEEEENS6_16discard_iteratorINS6_11use_defaultEEEZNS1_13binary_searchIS3_S9_SE_SE_SH_NS1_21lower_bound_search_opENS7_16wrapped_functionINS0_4lessIvEEbEEEE10hipError_tPvRmT1_T2_T3_mmT4_T5_P12ihipStream_tbEUlRKiE_EESO_SS_ST_mSU_SX_bEUlT_E_NS1_11comp_targetILNS1_3genE8ELNS1_11target_archE1030ELNS1_3gpuE2ELNS1_3repE0EEENS1_30default_config_static_selectorELNS0_4arch9wavefront6targetE1EEEvSR_ ; -- Begin function _ZN7rocprim17ROCPRIM_400000_NS6detail17trampoline_kernelINS0_14default_configENS1_27lower_bound_config_selectorIiN6thrust23THRUST_200600_302600_NS6detail10any_assignEEEZNS1_14transform_implILb0ES3_S9_NS7_15normal_iteratorINS6_10device_ptrIiEEEENS6_16discard_iteratorINS6_11use_defaultEEEZNS1_13binary_searchIS3_S9_SE_SE_SH_NS1_21lower_bound_search_opENS7_16wrapped_functionINS0_4lessIvEEbEEEE10hipError_tPvRmT1_T2_T3_mmT4_T5_P12ihipStream_tbEUlRKiE_EESO_SS_ST_mSU_SX_bEUlT_E_NS1_11comp_targetILNS1_3genE8ELNS1_11target_archE1030ELNS1_3gpuE2ELNS1_3repE0EEENS1_30default_config_static_selectorELNS0_4arch9wavefront6targetE1EEEvSR_
	.globl	_ZN7rocprim17ROCPRIM_400000_NS6detail17trampoline_kernelINS0_14default_configENS1_27lower_bound_config_selectorIiN6thrust23THRUST_200600_302600_NS6detail10any_assignEEEZNS1_14transform_implILb0ES3_S9_NS7_15normal_iteratorINS6_10device_ptrIiEEEENS6_16discard_iteratorINS6_11use_defaultEEEZNS1_13binary_searchIS3_S9_SE_SE_SH_NS1_21lower_bound_search_opENS7_16wrapped_functionINS0_4lessIvEEbEEEE10hipError_tPvRmT1_T2_T3_mmT4_T5_P12ihipStream_tbEUlRKiE_EESO_SS_ST_mSU_SX_bEUlT_E_NS1_11comp_targetILNS1_3genE8ELNS1_11target_archE1030ELNS1_3gpuE2ELNS1_3repE0EEENS1_30default_config_static_selectorELNS0_4arch9wavefront6targetE1EEEvSR_
	.p2align	8
	.type	_ZN7rocprim17ROCPRIM_400000_NS6detail17trampoline_kernelINS0_14default_configENS1_27lower_bound_config_selectorIiN6thrust23THRUST_200600_302600_NS6detail10any_assignEEEZNS1_14transform_implILb0ES3_S9_NS7_15normal_iteratorINS6_10device_ptrIiEEEENS6_16discard_iteratorINS6_11use_defaultEEEZNS1_13binary_searchIS3_S9_SE_SE_SH_NS1_21lower_bound_search_opENS7_16wrapped_functionINS0_4lessIvEEbEEEE10hipError_tPvRmT1_T2_T3_mmT4_T5_P12ihipStream_tbEUlRKiE_EESO_SS_ST_mSU_SX_bEUlT_E_NS1_11comp_targetILNS1_3genE8ELNS1_11target_archE1030ELNS1_3gpuE2ELNS1_3repE0EEENS1_30default_config_static_selectorELNS0_4arch9wavefront6targetE1EEEvSR_,@function
_ZN7rocprim17ROCPRIM_400000_NS6detail17trampoline_kernelINS0_14default_configENS1_27lower_bound_config_selectorIiN6thrust23THRUST_200600_302600_NS6detail10any_assignEEEZNS1_14transform_implILb0ES3_S9_NS7_15normal_iteratorINS6_10device_ptrIiEEEENS6_16discard_iteratorINS6_11use_defaultEEEZNS1_13binary_searchIS3_S9_SE_SE_SH_NS1_21lower_bound_search_opENS7_16wrapped_functionINS0_4lessIvEEbEEEE10hipError_tPvRmT1_T2_T3_mmT4_T5_P12ihipStream_tbEUlRKiE_EESO_SS_ST_mSU_SX_bEUlT_E_NS1_11comp_targetILNS1_3genE8ELNS1_11target_archE1030ELNS1_3gpuE2ELNS1_3repE0EEENS1_30default_config_static_selectorELNS0_4arch9wavefront6targetE1EEEvSR_: ; @_ZN7rocprim17ROCPRIM_400000_NS6detail17trampoline_kernelINS0_14default_configENS1_27lower_bound_config_selectorIiN6thrust23THRUST_200600_302600_NS6detail10any_assignEEEZNS1_14transform_implILb0ES3_S9_NS7_15normal_iteratorINS6_10device_ptrIiEEEENS6_16discard_iteratorINS6_11use_defaultEEEZNS1_13binary_searchIS3_S9_SE_SE_SH_NS1_21lower_bound_search_opENS7_16wrapped_functionINS0_4lessIvEEbEEEE10hipError_tPvRmT1_T2_T3_mmT4_T5_P12ihipStream_tbEUlRKiE_EESO_SS_ST_mSU_SX_bEUlT_E_NS1_11comp_targetILNS1_3genE8ELNS1_11target_archE1030ELNS1_3gpuE2ELNS1_3repE0EEENS1_30default_config_static_selectorELNS0_4arch9wavefront6targetE1EEEvSR_
; %bb.0:
	.section	.rodata,"a",@progbits
	.p2align	6, 0x0
	.amdhsa_kernel _ZN7rocprim17ROCPRIM_400000_NS6detail17trampoline_kernelINS0_14default_configENS1_27lower_bound_config_selectorIiN6thrust23THRUST_200600_302600_NS6detail10any_assignEEEZNS1_14transform_implILb0ES3_S9_NS7_15normal_iteratorINS6_10device_ptrIiEEEENS6_16discard_iteratorINS6_11use_defaultEEEZNS1_13binary_searchIS3_S9_SE_SE_SH_NS1_21lower_bound_search_opENS7_16wrapped_functionINS0_4lessIvEEbEEEE10hipError_tPvRmT1_T2_T3_mmT4_T5_P12ihipStream_tbEUlRKiE_EESO_SS_ST_mSU_SX_bEUlT_E_NS1_11comp_targetILNS1_3genE8ELNS1_11target_archE1030ELNS1_3gpuE2ELNS1_3repE0EEENS1_30default_config_static_selectorELNS0_4arch9wavefront6targetE1EEEvSR_
		.amdhsa_group_segment_fixed_size 0
		.amdhsa_private_segment_fixed_size 0
		.amdhsa_kernarg_size 64
		.amdhsa_user_sgpr_count 6
		.amdhsa_user_sgpr_private_segment_buffer 1
		.amdhsa_user_sgpr_dispatch_ptr 0
		.amdhsa_user_sgpr_queue_ptr 0
		.amdhsa_user_sgpr_kernarg_segment_ptr 1
		.amdhsa_user_sgpr_dispatch_id 0
		.amdhsa_user_sgpr_flat_scratch_init 0
		.amdhsa_user_sgpr_kernarg_preload_length 0
		.amdhsa_user_sgpr_kernarg_preload_offset 0
		.amdhsa_user_sgpr_private_segment_size 0
		.amdhsa_uses_dynamic_stack 0
		.amdhsa_system_sgpr_private_segment_wavefront_offset 0
		.amdhsa_system_sgpr_workgroup_id_x 1
		.amdhsa_system_sgpr_workgroup_id_y 0
		.amdhsa_system_sgpr_workgroup_id_z 0
		.amdhsa_system_sgpr_workgroup_info 0
		.amdhsa_system_vgpr_workitem_id 0
		.amdhsa_next_free_vgpr 1
		.amdhsa_next_free_sgpr 0
		.amdhsa_accum_offset 4
		.amdhsa_reserve_vcc 0
		.amdhsa_reserve_flat_scratch 0
		.amdhsa_float_round_mode_32 0
		.amdhsa_float_round_mode_16_64 0
		.amdhsa_float_denorm_mode_32 3
		.amdhsa_float_denorm_mode_16_64 3
		.amdhsa_dx10_clamp 1
		.amdhsa_ieee_mode 1
		.amdhsa_fp16_overflow 0
		.amdhsa_tg_split 0
		.amdhsa_exception_fp_ieee_invalid_op 0
		.amdhsa_exception_fp_denorm_src 0
		.amdhsa_exception_fp_ieee_div_zero 0
		.amdhsa_exception_fp_ieee_overflow 0
		.amdhsa_exception_fp_ieee_underflow 0
		.amdhsa_exception_fp_ieee_inexact 0
		.amdhsa_exception_int_div_zero 0
	.end_amdhsa_kernel
	.section	.text._ZN7rocprim17ROCPRIM_400000_NS6detail17trampoline_kernelINS0_14default_configENS1_27lower_bound_config_selectorIiN6thrust23THRUST_200600_302600_NS6detail10any_assignEEEZNS1_14transform_implILb0ES3_S9_NS7_15normal_iteratorINS6_10device_ptrIiEEEENS6_16discard_iteratorINS6_11use_defaultEEEZNS1_13binary_searchIS3_S9_SE_SE_SH_NS1_21lower_bound_search_opENS7_16wrapped_functionINS0_4lessIvEEbEEEE10hipError_tPvRmT1_T2_T3_mmT4_T5_P12ihipStream_tbEUlRKiE_EESO_SS_ST_mSU_SX_bEUlT_E_NS1_11comp_targetILNS1_3genE8ELNS1_11target_archE1030ELNS1_3gpuE2ELNS1_3repE0EEENS1_30default_config_static_selectorELNS0_4arch9wavefront6targetE1EEEvSR_,"axG",@progbits,_ZN7rocprim17ROCPRIM_400000_NS6detail17trampoline_kernelINS0_14default_configENS1_27lower_bound_config_selectorIiN6thrust23THRUST_200600_302600_NS6detail10any_assignEEEZNS1_14transform_implILb0ES3_S9_NS7_15normal_iteratorINS6_10device_ptrIiEEEENS6_16discard_iteratorINS6_11use_defaultEEEZNS1_13binary_searchIS3_S9_SE_SE_SH_NS1_21lower_bound_search_opENS7_16wrapped_functionINS0_4lessIvEEbEEEE10hipError_tPvRmT1_T2_T3_mmT4_T5_P12ihipStream_tbEUlRKiE_EESO_SS_ST_mSU_SX_bEUlT_E_NS1_11comp_targetILNS1_3genE8ELNS1_11target_archE1030ELNS1_3gpuE2ELNS1_3repE0EEENS1_30default_config_static_selectorELNS0_4arch9wavefront6targetE1EEEvSR_,comdat
.Lfunc_end563:
	.size	_ZN7rocprim17ROCPRIM_400000_NS6detail17trampoline_kernelINS0_14default_configENS1_27lower_bound_config_selectorIiN6thrust23THRUST_200600_302600_NS6detail10any_assignEEEZNS1_14transform_implILb0ES3_S9_NS7_15normal_iteratorINS6_10device_ptrIiEEEENS6_16discard_iteratorINS6_11use_defaultEEEZNS1_13binary_searchIS3_S9_SE_SE_SH_NS1_21lower_bound_search_opENS7_16wrapped_functionINS0_4lessIvEEbEEEE10hipError_tPvRmT1_T2_T3_mmT4_T5_P12ihipStream_tbEUlRKiE_EESO_SS_ST_mSU_SX_bEUlT_E_NS1_11comp_targetILNS1_3genE8ELNS1_11target_archE1030ELNS1_3gpuE2ELNS1_3repE0EEENS1_30default_config_static_selectorELNS0_4arch9wavefront6targetE1EEEvSR_, .Lfunc_end563-_ZN7rocprim17ROCPRIM_400000_NS6detail17trampoline_kernelINS0_14default_configENS1_27lower_bound_config_selectorIiN6thrust23THRUST_200600_302600_NS6detail10any_assignEEEZNS1_14transform_implILb0ES3_S9_NS7_15normal_iteratorINS6_10device_ptrIiEEEENS6_16discard_iteratorINS6_11use_defaultEEEZNS1_13binary_searchIS3_S9_SE_SE_SH_NS1_21lower_bound_search_opENS7_16wrapped_functionINS0_4lessIvEEbEEEE10hipError_tPvRmT1_T2_T3_mmT4_T5_P12ihipStream_tbEUlRKiE_EESO_SS_ST_mSU_SX_bEUlT_E_NS1_11comp_targetILNS1_3genE8ELNS1_11target_archE1030ELNS1_3gpuE2ELNS1_3repE0EEENS1_30default_config_static_selectorELNS0_4arch9wavefront6targetE1EEEvSR_
                                        ; -- End function
	.section	.AMDGPU.csdata,"",@progbits
; Kernel info:
; codeLenInByte = 0
; NumSgprs: 4
; NumVgprs: 0
; NumAgprs: 0
; TotalNumVgprs: 0
; ScratchSize: 0
; MemoryBound: 0
; FloatMode: 240
; IeeeMode: 1
; LDSByteSize: 0 bytes/workgroup (compile time only)
; SGPRBlocks: 0
; VGPRBlocks: 0
; NumSGPRsForWavesPerEU: 4
; NumVGPRsForWavesPerEU: 1
; AccumOffset: 4
; Occupancy: 8
; WaveLimiterHint : 0
; COMPUTE_PGM_RSRC2:SCRATCH_EN: 0
; COMPUTE_PGM_RSRC2:USER_SGPR: 6
; COMPUTE_PGM_RSRC2:TRAP_HANDLER: 0
; COMPUTE_PGM_RSRC2:TGID_X_EN: 1
; COMPUTE_PGM_RSRC2:TGID_Y_EN: 0
; COMPUTE_PGM_RSRC2:TGID_Z_EN: 0
; COMPUTE_PGM_RSRC2:TIDIG_COMP_CNT: 0
; COMPUTE_PGM_RSRC3_GFX90A:ACCUM_OFFSET: 0
; COMPUTE_PGM_RSRC3_GFX90A:TG_SPLIT: 0
	.section	.text._ZN7rocprim17ROCPRIM_400000_NS6detail17trampoline_kernelINS0_14default_configENS1_27lower_bound_config_selectorIsN6thrust23THRUST_200600_302600_NS6detail10any_assignEEEZNS1_14transform_implILb0ES3_S9_NS7_15normal_iteratorINS6_10device_ptrIsEEEENS6_16discard_iteratorINS6_11use_defaultEEEZNS1_13binary_searchIS3_S9_SE_SE_SH_NS1_21lower_bound_search_opENS7_16wrapped_functionINS0_4lessIvEEbEEEE10hipError_tPvRmT1_T2_T3_mmT4_T5_P12ihipStream_tbEUlRKsE_EESO_SS_ST_mSU_SX_bEUlT_E_NS1_11comp_targetILNS1_3genE0ELNS1_11target_archE4294967295ELNS1_3gpuE0ELNS1_3repE0EEENS1_30default_config_static_selectorELNS0_4arch9wavefront6targetE1EEEvSR_,"axG",@progbits,_ZN7rocprim17ROCPRIM_400000_NS6detail17trampoline_kernelINS0_14default_configENS1_27lower_bound_config_selectorIsN6thrust23THRUST_200600_302600_NS6detail10any_assignEEEZNS1_14transform_implILb0ES3_S9_NS7_15normal_iteratorINS6_10device_ptrIsEEEENS6_16discard_iteratorINS6_11use_defaultEEEZNS1_13binary_searchIS3_S9_SE_SE_SH_NS1_21lower_bound_search_opENS7_16wrapped_functionINS0_4lessIvEEbEEEE10hipError_tPvRmT1_T2_T3_mmT4_T5_P12ihipStream_tbEUlRKsE_EESO_SS_ST_mSU_SX_bEUlT_E_NS1_11comp_targetILNS1_3genE0ELNS1_11target_archE4294967295ELNS1_3gpuE0ELNS1_3repE0EEENS1_30default_config_static_selectorELNS0_4arch9wavefront6targetE1EEEvSR_,comdat
	.protected	_ZN7rocprim17ROCPRIM_400000_NS6detail17trampoline_kernelINS0_14default_configENS1_27lower_bound_config_selectorIsN6thrust23THRUST_200600_302600_NS6detail10any_assignEEEZNS1_14transform_implILb0ES3_S9_NS7_15normal_iteratorINS6_10device_ptrIsEEEENS6_16discard_iteratorINS6_11use_defaultEEEZNS1_13binary_searchIS3_S9_SE_SE_SH_NS1_21lower_bound_search_opENS7_16wrapped_functionINS0_4lessIvEEbEEEE10hipError_tPvRmT1_T2_T3_mmT4_T5_P12ihipStream_tbEUlRKsE_EESO_SS_ST_mSU_SX_bEUlT_E_NS1_11comp_targetILNS1_3genE0ELNS1_11target_archE4294967295ELNS1_3gpuE0ELNS1_3repE0EEENS1_30default_config_static_selectorELNS0_4arch9wavefront6targetE1EEEvSR_ ; -- Begin function _ZN7rocprim17ROCPRIM_400000_NS6detail17trampoline_kernelINS0_14default_configENS1_27lower_bound_config_selectorIsN6thrust23THRUST_200600_302600_NS6detail10any_assignEEEZNS1_14transform_implILb0ES3_S9_NS7_15normal_iteratorINS6_10device_ptrIsEEEENS6_16discard_iteratorINS6_11use_defaultEEEZNS1_13binary_searchIS3_S9_SE_SE_SH_NS1_21lower_bound_search_opENS7_16wrapped_functionINS0_4lessIvEEbEEEE10hipError_tPvRmT1_T2_T3_mmT4_T5_P12ihipStream_tbEUlRKsE_EESO_SS_ST_mSU_SX_bEUlT_E_NS1_11comp_targetILNS1_3genE0ELNS1_11target_archE4294967295ELNS1_3gpuE0ELNS1_3repE0EEENS1_30default_config_static_selectorELNS0_4arch9wavefront6targetE1EEEvSR_
	.globl	_ZN7rocprim17ROCPRIM_400000_NS6detail17trampoline_kernelINS0_14default_configENS1_27lower_bound_config_selectorIsN6thrust23THRUST_200600_302600_NS6detail10any_assignEEEZNS1_14transform_implILb0ES3_S9_NS7_15normal_iteratorINS6_10device_ptrIsEEEENS6_16discard_iteratorINS6_11use_defaultEEEZNS1_13binary_searchIS3_S9_SE_SE_SH_NS1_21lower_bound_search_opENS7_16wrapped_functionINS0_4lessIvEEbEEEE10hipError_tPvRmT1_T2_T3_mmT4_T5_P12ihipStream_tbEUlRKsE_EESO_SS_ST_mSU_SX_bEUlT_E_NS1_11comp_targetILNS1_3genE0ELNS1_11target_archE4294967295ELNS1_3gpuE0ELNS1_3repE0EEENS1_30default_config_static_selectorELNS0_4arch9wavefront6targetE1EEEvSR_
	.p2align	8
	.type	_ZN7rocprim17ROCPRIM_400000_NS6detail17trampoline_kernelINS0_14default_configENS1_27lower_bound_config_selectorIsN6thrust23THRUST_200600_302600_NS6detail10any_assignEEEZNS1_14transform_implILb0ES3_S9_NS7_15normal_iteratorINS6_10device_ptrIsEEEENS6_16discard_iteratorINS6_11use_defaultEEEZNS1_13binary_searchIS3_S9_SE_SE_SH_NS1_21lower_bound_search_opENS7_16wrapped_functionINS0_4lessIvEEbEEEE10hipError_tPvRmT1_T2_T3_mmT4_T5_P12ihipStream_tbEUlRKsE_EESO_SS_ST_mSU_SX_bEUlT_E_NS1_11comp_targetILNS1_3genE0ELNS1_11target_archE4294967295ELNS1_3gpuE0ELNS1_3repE0EEENS1_30default_config_static_selectorELNS0_4arch9wavefront6targetE1EEEvSR_,@function
_ZN7rocprim17ROCPRIM_400000_NS6detail17trampoline_kernelINS0_14default_configENS1_27lower_bound_config_selectorIsN6thrust23THRUST_200600_302600_NS6detail10any_assignEEEZNS1_14transform_implILb0ES3_S9_NS7_15normal_iteratorINS6_10device_ptrIsEEEENS6_16discard_iteratorINS6_11use_defaultEEEZNS1_13binary_searchIS3_S9_SE_SE_SH_NS1_21lower_bound_search_opENS7_16wrapped_functionINS0_4lessIvEEbEEEE10hipError_tPvRmT1_T2_T3_mmT4_T5_P12ihipStream_tbEUlRKsE_EESO_SS_ST_mSU_SX_bEUlT_E_NS1_11comp_targetILNS1_3genE0ELNS1_11target_archE4294967295ELNS1_3gpuE0ELNS1_3repE0EEENS1_30default_config_static_selectorELNS0_4arch9wavefront6targetE1EEEvSR_: ; @_ZN7rocprim17ROCPRIM_400000_NS6detail17trampoline_kernelINS0_14default_configENS1_27lower_bound_config_selectorIsN6thrust23THRUST_200600_302600_NS6detail10any_assignEEEZNS1_14transform_implILb0ES3_S9_NS7_15normal_iteratorINS6_10device_ptrIsEEEENS6_16discard_iteratorINS6_11use_defaultEEEZNS1_13binary_searchIS3_S9_SE_SE_SH_NS1_21lower_bound_search_opENS7_16wrapped_functionINS0_4lessIvEEbEEEE10hipError_tPvRmT1_T2_T3_mmT4_T5_P12ihipStream_tbEUlRKsE_EESO_SS_ST_mSU_SX_bEUlT_E_NS1_11comp_targetILNS1_3genE0ELNS1_11target_archE4294967295ELNS1_3gpuE0ELNS1_3repE0EEENS1_30default_config_static_selectorELNS0_4arch9wavefront6targetE1EEEvSR_
; %bb.0:
	.section	.rodata,"a",@progbits
	.p2align	6, 0x0
	.amdhsa_kernel _ZN7rocprim17ROCPRIM_400000_NS6detail17trampoline_kernelINS0_14default_configENS1_27lower_bound_config_selectorIsN6thrust23THRUST_200600_302600_NS6detail10any_assignEEEZNS1_14transform_implILb0ES3_S9_NS7_15normal_iteratorINS6_10device_ptrIsEEEENS6_16discard_iteratorINS6_11use_defaultEEEZNS1_13binary_searchIS3_S9_SE_SE_SH_NS1_21lower_bound_search_opENS7_16wrapped_functionINS0_4lessIvEEbEEEE10hipError_tPvRmT1_T2_T3_mmT4_T5_P12ihipStream_tbEUlRKsE_EESO_SS_ST_mSU_SX_bEUlT_E_NS1_11comp_targetILNS1_3genE0ELNS1_11target_archE4294967295ELNS1_3gpuE0ELNS1_3repE0EEENS1_30default_config_static_selectorELNS0_4arch9wavefront6targetE1EEEvSR_
		.amdhsa_group_segment_fixed_size 0
		.amdhsa_private_segment_fixed_size 0
		.amdhsa_kernarg_size 64
		.amdhsa_user_sgpr_count 6
		.amdhsa_user_sgpr_private_segment_buffer 1
		.amdhsa_user_sgpr_dispatch_ptr 0
		.amdhsa_user_sgpr_queue_ptr 0
		.amdhsa_user_sgpr_kernarg_segment_ptr 1
		.amdhsa_user_sgpr_dispatch_id 0
		.amdhsa_user_sgpr_flat_scratch_init 0
		.amdhsa_user_sgpr_kernarg_preload_length 0
		.amdhsa_user_sgpr_kernarg_preload_offset 0
		.amdhsa_user_sgpr_private_segment_size 0
		.amdhsa_uses_dynamic_stack 0
		.amdhsa_system_sgpr_private_segment_wavefront_offset 0
		.amdhsa_system_sgpr_workgroup_id_x 1
		.amdhsa_system_sgpr_workgroup_id_y 0
		.amdhsa_system_sgpr_workgroup_id_z 0
		.amdhsa_system_sgpr_workgroup_info 0
		.amdhsa_system_vgpr_workitem_id 0
		.amdhsa_next_free_vgpr 1
		.amdhsa_next_free_sgpr 0
		.amdhsa_accum_offset 4
		.amdhsa_reserve_vcc 0
		.amdhsa_reserve_flat_scratch 0
		.amdhsa_float_round_mode_32 0
		.amdhsa_float_round_mode_16_64 0
		.amdhsa_float_denorm_mode_32 3
		.amdhsa_float_denorm_mode_16_64 3
		.amdhsa_dx10_clamp 1
		.amdhsa_ieee_mode 1
		.amdhsa_fp16_overflow 0
		.amdhsa_tg_split 0
		.amdhsa_exception_fp_ieee_invalid_op 0
		.amdhsa_exception_fp_denorm_src 0
		.amdhsa_exception_fp_ieee_div_zero 0
		.amdhsa_exception_fp_ieee_overflow 0
		.amdhsa_exception_fp_ieee_underflow 0
		.amdhsa_exception_fp_ieee_inexact 0
		.amdhsa_exception_int_div_zero 0
	.end_amdhsa_kernel
	.section	.text._ZN7rocprim17ROCPRIM_400000_NS6detail17trampoline_kernelINS0_14default_configENS1_27lower_bound_config_selectorIsN6thrust23THRUST_200600_302600_NS6detail10any_assignEEEZNS1_14transform_implILb0ES3_S9_NS7_15normal_iteratorINS6_10device_ptrIsEEEENS6_16discard_iteratorINS6_11use_defaultEEEZNS1_13binary_searchIS3_S9_SE_SE_SH_NS1_21lower_bound_search_opENS7_16wrapped_functionINS0_4lessIvEEbEEEE10hipError_tPvRmT1_T2_T3_mmT4_T5_P12ihipStream_tbEUlRKsE_EESO_SS_ST_mSU_SX_bEUlT_E_NS1_11comp_targetILNS1_3genE0ELNS1_11target_archE4294967295ELNS1_3gpuE0ELNS1_3repE0EEENS1_30default_config_static_selectorELNS0_4arch9wavefront6targetE1EEEvSR_,"axG",@progbits,_ZN7rocprim17ROCPRIM_400000_NS6detail17trampoline_kernelINS0_14default_configENS1_27lower_bound_config_selectorIsN6thrust23THRUST_200600_302600_NS6detail10any_assignEEEZNS1_14transform_implILb0ES3_S9_NS7_15normal_iteratorINS6_10device_ptrIsEEEENS6_16discard_iteratorINS6_11use_defaultEEEZNS1_13binary_searchIS3_S9_SE_SE_SH_NS1_21lower_bound_search_opENS7_16wrapped_functionINS0_4lessIvEEbEEEE10hipError_tPvRmT1_T2_T3_mmT4_T5_P12ihipStream_tbEUlRKsE_EESO_SS_ST_mSU_SX_bEUlT_E_NS1_11comp_targetILNS1_3genE0ELNS1_11target_archE4294967295ELNS1_3gpuE0ELNS1_3repE0EEENS1_30default_config_static_selectorELNS0_4arch9wavefront6targetE1EEEvSR_,comdat
.Lfunc_end564:
	.size	_ZN7rocprim17ROCPRIM_400000_NS6detail17trampoline_kernelINS0_14default_configENS1_27lower_bound_config_selectorIsN6thrust23THRUST_200600_302600_NS6detail10any_assignEEEZNS1_14transform_implILb0ES3_S9_NS7_15normal_iteratorINS6_10device_ptrIsEEEENS6_16discard_iteratorINS6_11use_defaultEEEZNS1_13binary_searchIS3_S9_SE_SE_SH_NS1_21lower_bound_search_opENS7_16wrapped_functionINS0_4lessIvEEbEEEE10hipError_tPvRmT1_T2_T3_mmT4_T5_P12ihipStream_tbEUlRKsE_EESO_SS_ST_mSU_SX_bEUlT_E_NS1_11comp_targetILNS1_3genE0ELNS1_11target_archE4294967295ELNS1_3gpuE0ELNS1_3repE0EEENS1_30default_config_static_selectorELNS0_4arch9wavefront6targetE1EEEvSR_, .Lfunc_end564-_ZN7rocprim17ROCPRIM_400000_NS6detail17trampoline_kernelINS0_14default_configENS1_27lower_bound_config_selectorIsN6thrust23THRUST_200600_302600_NS6detail10any_assignEEEZNS1_14transform_implILb0ES3_S9_NS7_15normal_iteratorINS6_10device_ptrIsEEEENS6_16discard_iteratorINS6_11use_defaultEEEZNS1_13binary_searchIS3_S9_SE_SE_SH_NS1_21lower_bound_search_opENS7_16wrapped_functionINS0_4lessIvEEbEEEE10hipError_tPvRmT1_T2_T3_mmT4_T5_P12ihipStream_tbEUlRKsE_EESO_SS_ST_mSU_SX_bEUlT_E_NS1_11comp_targetILNS1_3genE0ELNS1_11target_archE4294967295ELNS1_3gpuE0ELNS1_3repE0EEENS1_30default_config_static_selectorELNS0_4arch9wavefront6targetE1EEEvSR_
                                        ; -- End function
	.section	.AMDGPU.csdata,"",@progbits
; Kernel info:
; codeLenInByte = 0
; NumSgprs: 4
; NumVgprs: 0
; NumAgprs: 0
; TotalNumVgprs: 0
; ScratchSize: 0
; MemoryBound: 0
; FloatMode: 240
; IeeeMode: 1
; LDSByteSize: 0 bytes/workgroup (compile time only)
; SGPRBlocks: 0
; VGPRBlocks: 0
; NumSGPRsForWavesPerEU: 4
; NumVGPRsForWavesPerEU: 1
; AccumOffset: 4
; Occupancy: 8
; WaveLimiterHint : 0
; COMPUTE_PGM_RSRC2:SCRATCH_EN: 0
; COMPUTE_PGM_RSRC2:USER_SGPR: 6
; COMPUTE_PGM_RSRC2:TRAP_HANDLER: 0
; COMPUTE_PGM_RSRC2:TGID_X_EN: 1
; COMPUTE_PGM_RSRC2:TGID_Y_EN: 0
; COMPUTE_PGM_RSRC2:TGID_Z_EN: 0
; COMPUTE_PGM_RSRC2:TIDIG_COMP_CNT: 0
; COMPUTE_PGM_RSRC3_GFX90A:ACCUM_OFFSET: 0
; COMPUTE_PGM_RSRC3_GFX90A:TG_SPLIT: 0
	.section	.text._ZN7rocprim17ROCPRIM_400000_NS6detail17trampoline_kernelINS0_14default_configENS1_27lower_bound_config_selectorIsN6thrust23THRUST_200600_302600_NS6detail10any_assignEEEZNS1_14transform_implILb0ES3_S9_NS7_15normal_iteratorINS6_10device_ptrIsEEEENS6_16discard_iteratorINS6_11use_defaultEEEZNS1_13binary_searchIS3_S9_SE_SE_SH_NS1_21lower_bound_search_opENS7_16wrapped_functionINS0_4lessIvEEbEEEE10hipError_tPvRmT1_T2_T3_mmT4_T5_P12ihipStream_tbEUlRKsE_EESO_SS_ST_mSU_SX_bEUlT_E_NS1_11comp_targetILNS1_3genE5ELNS1_11target_archE942ELNS1_3gpuE9ELNS1_3repE0EEENS1_30default_config_static_selectorELNS0_4arch9wavefront6targetE1EEEvSR_,"axG",@progbits,_ZN7rocprim17ROCPRIM_400000_NS6detail17trampoline_kernelINS0_14default_configENS1_27lower_bound_config_selectorIsN6thrust23THRUST_200600_302600_NS6detail10any_assignEEEZNS1_14transform_implILb0ES3_S9_NS7_15normal_iteratorINS6_10device_ptrIsEEEENS6_16discard_iteratorINS6_11use_defaultEEEZNS1_13binary_searchIS3_S9_SE_SE_SH_NS1_21lower_bound_search_opENS7_16wrapped_functionINS0_4lessIvEEbEEEE10hipError_tPvRmT1_T2_T3_mmT4_T5_P12ihipStream_tbEUlRKsE_EESO_SS_ST_mSU_SX_bEUlT_E_NS1_11comp_targetILNS1_3genE5ELNS1_11target_archE942ELNS1_3gpuE9ELNS1_3repE0EEENS1_30default_config_static_selectorELNS0_4arch9wavefront6targetE1EEEvSR_,comdat
	.protected	_ZN7rocprim17ROCPRIM_400000_NS6detail17trampoline_kernelINS0_14default_configENS1_27lower_bound_config_selectorIsN6thrust23THRUST_200600_302600_NS6detail10any_assignEEEZNS1_14transform_implILb0ES3_S9_NS7_15normal_iteratorINS6_10device_ptrIsEEEENS6_16discard_iteratorINS6_11use_defaultEEEZNS1_13binary_searchIS3_S9_SE_SE_SH_NS1_21lower_bound_search_opENS7_16wrapped_functionINS0_4lessIvEEbEEEE10hipError_tPvRmT1_T2_T3_mmT4_T5_P12ihipStream_tbEUlRKsE_EESO_SS_ST_mSU_SX_bEUlT_E_NS1_11comp_targetILNS1_3genE5ELNS1_11target_archE942ELNS1_3gpuE9ELNS1_3repE0EEENS1_30default_config_static_selectorELNS0_4arch9wavefront6targetE1EEEvSR_ ; -- Begin function _ZN7rocprim17ROCPRIM_400000_NS6detail17trampoline_kernelINS0_14default_configENS1_27lower_bound_config_selectorIsN6thrust23THRUST_200600_302600_NS6detail10any_assignEEEZNS1_14transform_implILb0ES3_S9_NS7_15normal_iteratorINS6_10device_ptrIsEEEENS6_16discard_iteratorINS6_11use_defaultEEEZNS1_13binary_searchIS3_S9_SE_SE_SH_NS1_21lower_bound_search_opENS7_16wrapped_functionINS0_4lessIvEEbEEEE10hipError_tPvRmT1_T2_T3_mmT4_T5_P12ihipStream_tbEUlRKsE_EESO_SS_ST_mSU_SX_bEUlT_E_NS1_11comp_targetILNS1_3genE5ELNS1_11target_archE942ELNS1_3gpuE9ELNS1_3repE0EEENS1_30default_config_static_selectorELNS0_4arch9wavefront6targetE1EEEvSR_
	.globl	_ZN7rocprim17ROCPRIM_400000_NS6detail17trampoline_kernelINS0_14default_configENS1_27lower_bound_config_selectorIsN6thrust23THRUST_200600_302600_NS6detail10any_assignEEEZNS1_14transform_implILb0ES3_S9_NS7_15normal_iteratorINS6_10device_ptrIsEEEENS6_16discard_iteratorINS6_11use_defaultEEEZNS1_13binary_searchIS3_S9_SE_SE_SH_NS1_21lower_bound_search_opENS7_16wrapped_functionINS0_4lessIvEEbEEEE10hipError_tPvRmT1_T2_T3_mmT4_T5_P12ihipStream_tbEUlRKsE_EESO_SS_ST_mSU_SX_bEUlT_E_NS1_11comp_targetILNS1_3genE5ELNS1_11target_archE942ELNS1_3gpuE9ELNS1_3repE0EEENS1_30default_config_static_selectorELNS0_4arch9wavefront6targetE1EEEvSR_
	.p2align	8
	.type	_ZN7rocprim17ROCPRIM_400000_NS6detail17trampoline_kernelINS0_14default_configENS1_27lower_bound_config_selectorIsN6thrust23THRUST_200600_302600_NS6detail10any_assignEEEZNS1_14transform_implILb0ES3_S9_NS7_15normal_iteratorINS6_10device_ptrIsEEEENS6_16discard_iteratorINS6_11use_defaultEEEZNS1_13binary_searchIS3_S9_SE_SE_SH_NS1_21lower_bound_search_opENS7_16wrapped_functionINS0_4lessIvEEbEEEE10hipError_tPvRmT1_T2_T3_mmT4_T5_P12ihipStream_tbEUlRKsE_EESO_SS_ST_mSU_SX_bEUlT_E_NS1_11comp_targetILNS1_3genE5ELNS1_11target_archE942ELNS1_3gpuE9ELNS1_3repE0EEENS1_30default_config_static_selectorELNS0_4arch9wavefront6targetE1EEEvSR_,@function
_ZN7rocprim17ROCPRIM_400000_NS6detail17trampoline_kernelINS0_14default_configENS1_27lower_bound_config_selectorIsN6thrust23THRUST_200600_302600_NS6detail10any_assignEEEZNS1_14transform_implILb0ES3_S9_NS7_15normal_iteratorINS6_10device_ptrIsEEEENS6_16discard_iteratorINS6_11use_defaultEEEZNS1_13binary_searchIS3_S9_SE_SE_SH_NS1_21lower_bound_search_opENS7_16wrapped_functionINS0_4lessIvEEbEEEE10hipError_tPvRmT1_T2_T3_mmT4_T5_P12ihipStream_tbEUlRKsE_EESO_SS_ST_mSU_SX_bEUlT_E_NS1_11comp_targetILNS1_3genE5ELNS1_11target_archE942ELNS1_3gpuE9ELNS1_3repE0EEENS1_30default_config_static_selectorELNS0_4arch9wavefront6targetE1EEEvSR_: ; @_ZN7rocprim17ROCPRIM_400000_NS6detail17trampoline_kernelINS0_14default_configENS1_27lower_bound_config_selectorIsN6thrust23THRUST_200600_302600_NS6detail10any_assignEEEZNS1_14transform_implILb0ES3_S9_NS7_15normal_iteratorINS6_10device_ptrIsEEEENS6_16discard_iteratorINS6_11use_defaultEEEZNS1_13binary_searchIS3_S9_SE_SE_SH_NS1_21lower_bound_search_opENS7_16wrapped_functionINS0_4lessIvEEbEEEE10hipError_tPvRmT1_T2_T3_mmT4_T5_P12ihipStream_tbEUlRKsE_EESO_SS_ST_mSU_SX_bEUlT_E_NS1_11comp_targetILNS1_3genE5ELNS1_11target_archE942ELNS1_3gpuE9ELNS1_3repE0EEENS1_30default_config_static_selectorELNS0_4arch9wavefront6targetE1EEEvSR_
; %bb.0:
	.section	.rodata,"a",@progbits
	.p2align	6, 0x0
	.amdhsa_kernel _ZN7rocprim17ROCPRIM_400000_NS6detail17trampoline_kernelINS0_14default_configENS1_27lower_bound_config_selectorIsN6thrust23THRUST_200600_302600_NS6detail10any_assignEEEZNS1_14transform_implILb0ES3_S9_NS7_15normal_iteratorINS6_10device_ptrIsEEEENS6_16discard_iteratorINS6_11use_defaultEEEZNS1_13binary_searchIS3_S9_SE_SE_SH_NS1_21lower_bound_search_opENS7_16wrapped_functionINS0_4lessIvEEbEEEE10hipError_tPvRmT1_T2_T3_mmT4_T5_P12ihipStream_tbEUlRKsE_EESO_SS_ST_mSU_SX_bEUlT_E_NS1_11comp_targetILNS1_3genE5ELNS1_11target_archE942ELNS1_3gpuE9ELNS1_3repE0EEENS1_30default_config_static_selectorELNS0_4arch9wavefront6targetE1EEEvSR_
		.amdhsa_group_segment_fixed_size 0
		.amdhsa_private_segment_fixed_size 0
		.amdhsa_kernarg_size 64
		.amdhsa_user_sgpr_count 6
		.amdhsa_user_sgpr_private_segment_buffer 1
		.amdhsa_user_sgpr_dispatch_ptr 0
		.amdhsa_user_sgpr_queue_ptr 0
		.amdhsa_user_sgpr_kernarg_segment_ptr 1
		.amdhsa_user_sgpr_dispatch_id 0
		.amdhsa_user_sgpr_flat_scratch_init 0
		.amdhsa_user_sgpr_kernarg_preload_length 0
		.amdhsa_user_sgpr_kernarg_preload_offset 0
		.amdhsa_user_sgpr_private_segment_size 0
		.amdhsa_uses_dynamic_stack 0
		.amdhsa_system_sgpr_private_segment_wavefront_offset 0
		.amdhsa_system_sgpr_workgroup_id_x 1
		.amdhsa_system_sgpr_workgroup_id_y 0
		.amdhsa_system_sgpr_workgroup_id_z 0
		.amdhsa_system_sgpr_workgroup_info 0
		.amdhsa_system_vgpr_workitem_id 0
		.amdhsa_next_free_vgpr 1
		.amdhsa_next_free_sgpr 0
		.amdhsa_accum_offset 4
		.amdhsa_reserve_vcc 0
		.amdhsa_reserve_flat_scratch 0
		.amdhsa_float_round_mode_32 0
		.amdhsa_float_round_mode_16_64 0
		.amdhsa_float_denorm_mode_32 3
		.amdhsa_float_denorm_mode_16_64 3
		.amdhsa_dx10_clamp 1
		.amdhsa_ieee_mode 1
		.amdhsa_fp16_overflow 0
		.amdhsa_tg_split 0
		.amdhsa_exception_fp_ieee_invalid_op 0
		.amdhsa_exception_fp_denorm_src 0
		.amdhsa_exception_fp_ieee_div_zero 0
		.amdhsa_exception_fp_ieee_overflow 0
		.amdhsa_exception_fp_ieee_underflow 0
		.amdhsa_exception_fp_ieee_inexact 0
		.amdhsa_exception_int_div_zero 0
	.end_amdhsa_kernel
	.section	.text._ZN7rocprim17ROCPRIM_400000_NS6detail17trampoline_kernelINS0_14default_configENS1_27lower_bound_config_selectorIsN6thrust23THRUST_200600_302600_NS6detail10any_assignEEEZNS1_14transform_implILb0ES3_S9_NS7_15normal_iteratorINS6_10device_ptrIsEEEENS6_16discard_iteratorINS6_11use_defaultEEEZNS1_13binary_searchIS3_S9_SE_SE_SH_NS1_21lower_bound_search_opENS7_16wrapped_functionINS0_4lessIvEEbEEEE10hipError_tPvRmT1_T2_T3_mmT4_T5_P12ihipStream_tbEUlRKsE_EESO_SS_ST_mSU_SX_bEUlT_E_NS1_11comp_targetILNS1_3genE5ELNS1_11target_archE942ELNS1_3gpuE9ELNS1_3repE0EEENS1_30default_config_static_selectorELNS0_4arch9wavefront6targetE1EEEvSR_,"axG",@progbits,_ZN7rocprim17ROCPRIM_400000_NS6detail17trampoline_kernelINS0_14default_configENS1_27lower_bound_config_selectorIsN6thrust23THRUST_200600_302600_NS6detail10any_assignEEEZNS1_14transform_implILb0ES3_S9_NS7_15normal_iteratorINS6_10device_ptrIsEEEENS6_16discard_iteratorINS6_11use_defaultEEEZNS1_13binary_searchIS3_S9_SE_SE_SH_NS1_21lower_bound_search_opENS7_16wrapped_functionINS0_4lessIvEEbEEEE10hipError_tPvRmT1_T2_T3_mmT4_T5_P12ihipStream_tbEUlRKsE_EESO_SS_ST_mSU_SX_bEUlT_E_NS1_11comp_targetILNS1_3genE5ELNS1_11target_archE942ELNS1_3gpuE9ELNS1_3repE0EEENS1_30default_config_static_selectorELNS0_4arch9wavefront6targetE1EEEvSR_,comdat
.Lfunc_end565:
	.size	_ZN7rocprim17ROCPRIM_400000_NS6detail17trampoline_kernelINS0_14default_configENS1_27lower_bound_config_selectorIsN6thrust23THRUST_200600_302600_NS6detail10any_assignEEEZNS1_14transform_implILb0ES3_S9_NS7_15normal_iteratorINS6_10device_ptrIsEEEENS6_16discard_iteratorINS6_11use_defaultEEEZNS1_13binary_searchIS3_S9_SE_SE_SH_NS1_21lower_bound_search_opENS7_16wrapped_functionINS0_4lessIvEEbEEEE10hipError_tPvRmT1_T2_T3_mmT4_T5_P12ihipStream_tbEUlRKsE_EESO_SS_ST_mSU_SX_bEUlT_E_NS1_11comp_targetILNS1_3genE5ELNS1_11target_archE942ELNS1_3gpuE9ELNS1_3repE0EEENS1_30default_config_static_selectorELNS0_4arch9wavefront6targetE1EEEvSR_, .Lfunc_end565-_ZN7rocprim17ROCPRIM_400000_NS6detail17trampoline_kernelINS0_14default_configENS1_27lower_bound_config_selectorIsN6thrust23THRUST_200600_302600_NS6detail10any_assignEEEZNS1_14transform_implILb0ES3_S9_NS7_15normal_iteratorINS6_10device_ptrIsEEEENS6_16discard_iteratorINS6_11use_defaultEEEZNS1_13binary_searchIS3_S9_SE_SE_SH_NS1_21lower_bound_search_opENS7_16wrapped_functionINS0_4lessIvEEbEEEE10hipError_tPvRmT1_T2_T3_mmT4_T5_P12ihipStream_tbEUlRKsE_EESO_SS_ST_mSU_SX_bEUlT_E_NS1_11comp_targetILNS1_3genE5ELNS1_11target_archE942ELNS1_3gpuE9ELNS1_3repE0EEENS1_30default_config_static_selectorELNS0_4arch9wavefront6targetE1EEEvSR_
                                        ; -- End function
	.section	.AMDGPU.csdata,"",@progbits
; Kernel info:
; codeLenInByte = 0
; NumSgprs: 4
; NumVgprs: 0
; NumAgprs: 0
; TotalNumVgprs: 0
; ScratchSize: 0
; MemoryBound: 0
; FloatMode: 240
; IeeeMode: 1
; LDSByteSize: 0 bytes/workgroup (compile time only)
; SGPRBlocks: 0
; VGPRBlocks: 0
; NumSGPRsForWavesPerEU: 4
; NumVGPRsForWavesPerEU: 1
; AccumOffset: 4
; Occupancy: 8
; WaveLimiterHint : 0
; COMPUTE_PGM_RSRC2:SCRATCH_EN: 0
; COMPUTE_PGM_RSRC2:USER_SGPR: 6
; COMPUTE_PGM_RSRC2:TRAP_HANDLER: 0
; COMPUTE_PGM_RSRC2:TGID_X_EN: 1
; COMPUTE_PGM_RSRC2:TGID_Y_EN: 0
; COMPUTE_PGM_RSRC2:TGID_Z_EN: 0
; COMPUTE_PGM_RSRC2:TIDIG_COMP_CNT: 0
; COMPUTE_PGM_RSRC3_GFX90A:ACCUM_OFFSET: 0
; COMPUTE_PGM_RSRC3_GFX90A:TG_SPLIT: 0
	.section	.text._ZN7rocprim17ROCPRIM_400000_NS6detail17trampoline_kernelINS0_14default_configENS1_27lower_bound_config_selectorIsN6thrust23THRUST_200600_302600_NS6detail10any_assignEEEZNS1_14transform_implILb0ES3_S9_NS7_15normal_iteratorINS6_10device_ptrIsEEEENS6_16discard_iteratorINS6_11use_defaultEEEZNS1_13binary_searchIS3_S9_SE_SE_SH_NS1_21lower_bound_search_opENS7_16wrapped_functionINS0_4lessIvEEbEEEE10hipError_tPvRmT1_T2_T3_mmT4_T5_P12ihipStream_tbEUlRKsE_EESO_SS_ST_mSU_SX_bEUlT_E_NS1_11comp_targetILNS1_3genE4ELNS1_11target_archE910ELNS1_3gpuE8ELNS1_3repE0EEENS1_30default_config_static_selectorELNS0_4arch9wavefront6targetE1EEEvSR_,"axG",@progbits,_ZN7rocprim17ROCPRIM_400000_NS6detail17trampoline_kernelINS0_14default_configENS1_27lower_bound_config_selectorIsN6thrust23THRUST_200600_302600_NS6detail10any_assignEEEZNS1_14transform_implILb0ES3_S9_NS7_15normal_iteratorINS6_10device_ptrIsEEEENS6_16discard_iteratorINS6_11use_defaultEEEZNS1_13binary_searchIS3_S9_SE_SE_SH_NS1_21lower_bound_search_opENS7_16wrapped_functionINS0_4lessIvEEbEEEE10hipError_tPvRmT1_T2_T3_mmT4_T5_P12ihipStream_tbEUlRKsE_EESO_SS_ST_mSU_SX_bEUlT_E_NS1_11comp_targetILNS1_3genE4ELNS1_11target_archE910ELNS1_3gpuE8ELNS1_3repE0EEENS1_30default_config_static_selectorELNS0_4arch9wavefront6targetE1EEEvSR_,comdat
	.protected	_ZN7rocprim17ROCPRIM_400000_NS6detail17trampoline_kernelINS0_14default_configENS1_27lower_bound_config_selectorIsN6thrust23THRUST_200600_302600_NS6detail10any_assignEEEZNS1_14transform_implILb0ES3_S9_NS7_15normal_iteratorINS6_10device_ptrIsEEEENS6_16discard_iteratorINS6_11use_defaultEEEZNS1_13binary_searchIS3_S9_SE_SE_SH_NS1_21lower_bound_search_opENS7_16wrapped_functionINS0_4lessIvEEbEEEE10hipError_tPvRmT1_T2_T3_mmT4_T5_P12ihipStream_tbEUlRKsE_EESO_SS_ST_mSU_SX_bEUlT_E_NS1_11comp_targetILNS1_3genE4ELNS1_11target_archE910ELNS1_3gpuE8ELNS1_3repE0EEENS1_30default_config_static_selectorELNS0_4arch9wavefront6targetE1EEEvSR_ ; -- Begin function _ZN7rocprim17ROCPRIM_400000_NS6detail17trampoline_kernelINS0_14default_configENS1_27lower_bound_config_selectorIsN6thrust23THRUST_200600_302600_NS6detail10any_assignEEEZNS1_14transform_implILb0ES3_S9_NS7_15normal_iteratorINS6_10device_ptrIsEEEENS6_16discard_iteratorINS6_11use_defaultEEEZNS1_13binary_searchIS3_S9_SE_SE_SH_NS1_21lower_bound_search_opENS7_16wrapped_functionINS0_4lessIvEEbEEEE10hipError_tPvRmT1_T2_T3_mmT4_T5_P12ihipStream_tbEUlRKsE_EESO_SS_ST_mSU_SX_bEUlT_E_NS1_11comp_targetILNS1_3genE4ELNS1_11target_archE910ELNS1_3gpuE8ELNS1_3repE0EEENS1_30default_config_static_selectorELNS0_4arch9wavefront6targetE1EEEvSR_
	.globl	_ZN7rocprim17ROCPRIM_400000_NS6detail17trampoline_kernelINS0_14default_configENS1_27lower_bound_config_selectorIsN6thrust23THRUST_200600_302600_NS6detail10any_assignEEEZNS1_14transform_implILb0ES3_S9_NS7_15normal_iteratorINS6_10device_ptrIsEEEENS6_16discard_iteratorINS6_11use_defaultEEEZNS1_13binary_searchIS3_S9_SE_SE_SH_NS1_21lower_bound_search_opENS7_16wrapped_functionINS0_4lessIvEEbEEEE10hipError_tPvRmT1_T2_T3_mmT4_T5_P12ihipStream_tbEUlRKsE_EESO_SS_ST_mSU_SX_bEUlT_E_NS1_11comp_targetILNS1_3genE4ELNS1_11target_archE910ELNS1_3gpuE8ELNS1_3repE0EEENS1_30default_config_static_selectorELNS0_4arch9wavefront6targetE1EEEvSR_
	.p2align	8
	.type	_ZN7rocprim17ROCPRIM_400000_NS6detail17trampoline_kernelINS0_14default_configENS1_27lower_bound_config_selectorIsN6thrust23THRUST_200600_302600_NS6detail10any_assignEEEZNS1_14transform_implILb0ES3_S9_NS7_15normal_iteratorINS6_10device_ptrIsEEEENS6_16discard_iteratorINS6_11use_defaultEEEZNS1_13binary_searchIS3_S9_SE_SE_SH_NS1_21lower_bound_search_opENS7_16wrapped_functionINS0_4lessIvEEbEEEE10hipError_tPvRmT1_T2_T3_mmT4_T5_P12ihipStream_tbEUlRKsE_EESO_SS_ST_mSU_SX_bEUlT_E_NS1_11comp_targetILNS1_3genE4ELNS1_11target_archE910ELNS1_3gpuE8ELNS1_3repE0EEENS1_30default_config_static_selectorELNS0_4arch9wavefront6targetE1EEEvSR_,@function
_ZN7rocprim17ROCPRIM_400000_NS6detail17trampoline_kernelINS0_14default_configENS1_27lower_bound_config_selectorIsN6thrust23THRUST_200600_302600_NS6detail10any_assignEEEZNS1_14transform_implILb0ES3_S9_NS7_15normal_iteratorINS6_10device_ptrIsEEEENS6_16discard_iteratorINS6_11use_defaultEEEZNS1_13binary_searchIS3_S9_SE_SE_SH_NS1_21lower_bound_search_opENS7_16wrapped_functionINS0_4lessIvEEbEEEE10hipError_tPvRmT1_T2_T3_mmT4_T5_P12ihipStream_tbEUlRKsE_EESO_SS_ST_mSU_SX_bEUlT_E_NS1_11comp_targetILNS1_3genE4ELNS1_11target_archE910ELNS1_3gpuE8ELNS1_3repE0EEENS1_30default_config_static_selectorELNS0_4arch9wavefront6targetE1EEEvSR_: ; @_ZN7rocprim17ROCPRIM_400000_NS6detail17trampoline_kernelINS0_14default_configENS1_27lower_bound_config_selectorIsN6thrust23THRUST_200600_302600_NS6detail10any_assignEEEZNS1_14transform_implILb0ES3_S9_NS7_15normal_iteratorINS6_10device_ptrIsEEEENS6_16discard_iteratorINS6_11use_defaultEEEZNS1_13binary_searchIS3_S9_SE_SE_SH_NS1_21lower_bound_search_opENS7_16wrapped_functionINS0_4lessIvEEbEEEE10hipError_tPvRmT1_T2_T3_mmT4_T5_P12ihipStream_tbEUlRKsE_EESO_SS_ST_mSU_SX_bEUlT_E_NS1_11comp_targetILNS1_3genE4ELNS1_11target_archE910ELNS1_3gpuE8ELNS1_3repE0EEENS1_30default_config_static_selectorELNS0_4arch9wavefront6targetE1EEEvSR_
; %bb.0:
	s_endpgm
	.section	.rodata,"a",@progbits
	.p2align	6, 0x0
	.amdhsa_kernel _ZN7rocprim17ROCPRIM_400000_NS6detail17trampoline_kernelINS0_14default_configENS1_27lower_bound_config_selectorIsN6thrust23THRUST_200600_302600_NS6detail10any_assignEEEZNS1_14transform_implILb0ES3_S9_NS7_15normal_iteratorINS6_10device_ptrIsEEEENS6_16discard_iteratorINS6_11use_defaultEEEZNS1_13binary_searchIS3_S9_SE_SE_SH_NS1_21lower_bound_search_opENS7_16wrapped_functionINS0_4lessIvEEbEEEE10hipError_tPvRmT1_T2_T3_mmT4_T5_P12ihipStream_tbEUlRKsE_EESO_SS_ST_mSU_SX_bEUlT_E_NS1_11comp_targetILNS1_3genE4ELNS1_11target_archE910ELNS1_3gpuE8ELNS1_3repE0EEENS1_30default_config_static_selectorELNS0_4arch9wavefront6targetE1EEEvSR_
		.amdhsa_group_segment_fixed_size 0
		.amdhsa_private_segment_fixed_size 0
		.amdhsa_kernarg_size 64
		.amdhsa_user_sgpr_count 6
		.amdhsa_user_sgpr_private_segment_buffer 1
		.amdhsa_user_sgpr_dispatch_ptr 0
		.amdhsa_user_sgpr_queue_ptr 0
		.amdhsa_user_sgpr_kernarg_segment_ptr 1
		.amdhsa_user_sgpr_dispatch_id 0
		.amdhsa_user_sgpr_flat_scratch_init 0
		.amdhsa_user_sgpr_kernarg_preload_length 0
		.amdhsa_user_sgpr_kernarg_preload_offset 0
		.amdhsa_user_sgpr_private_segment_size 0
		.amdhsa_uses_dynamic_stack 0
		.amdhsa_system_sgpr_private_segment_wavefront_offset 0
		.amdhsa_system_sgpr_workgroup_id_x 1
		.amdhsa_system_sgpr_workgroup_id_y 0
		.amdhsa_system_sgpr_workgroup_id_z 0
		.amdhsa_system_sgpr_workgroup_info 0
		.amdhsa_system_vgpr_workitem_id 0
		.amdhsa_next_free_vgpr 1
		.amdhsa_next_free_sgpr 0
		.amdhsa_accum_offset 4
		.amdhsa_reserve_vcc 0
		.amdhsa_reserve_flat_scratch 0
		.amdhsa_float_round_mode_32 0
		.amdhsa_float_round_mode_16_64 0
		.amdhsa_float_denorm_mode_32 3
		.amdhsa_float_denorm_mode_16_64 3
		.amdhsa_dx10_clamp 1
		.amdhsa_ieee_mode 1
		.amdhsa_fp16_overflow 0
		.amdhsa_tg_split 0
		.amdhsa_exception_fp_ieee_invalid_op 0
		.amdhsa_exception_fp_denorm_src 0
		.amdhsa_exception_fp_ieee_div_zero 0
		.amdhsa_exception_fp_ieee_overflow 0
		.amdhsa_exception_fp_ieee_underflow 0
		.amdhsa_exception_fp_ieee_inexact 0
		.amdhsa_exception_int_div_zero 0
	.end_amdhsa_kernel
	.section	.text._ZN7rocprim17ROCPRIM_400000_NS6detail17trampoline_kernelINS0_14default_configENS1_27lower_bound_config_selectorIsN6thrust23THRUST_200600_302600_NS6detail10any_assignEEEZNS1_14transform_implILb0ES3_S9_NS7_15normal_iteratorINS6_10device_ptrIsEEEENS6_16discard_iteratorINS6_11use_defaultEEEZNS1_13binary_searchIS3_S9_SE_SE_SH_NS1_21lower_bound_search_opENS7_16wrapped_functionINS0_4lessIvEEbEEEE10hipError_tPvRmT1_T2_T3_mmT4_T5_P12ihipStream_tbEUlRKsE_EESO_SS_ST_mSU_SX_bEUlT_E_NS1_11comp_targetILNS1_3genE4ELNS1_11target_archE910ELNS1_3gpuE8ELNS1_3repE0EEENS1_30default_config_static_selectorELNS0_4arch9wavefront6targetE1EEEvSR_,"axG",@progbits,_ZN7rocprim17ROCPRIM_400000_NS6detail17trampoline_kernelINS0_14default_configENS1_27lower_bound_config_selectorIsN6thrust23THRUST_200600_302600_NS6detail10any_assignEEEZNS1_14transform_implILb0ES3_S9_NS7_15normal_iteratorINS6_10device_ptrIsEEEENS6_16discard_iteratorINS6_11use_defaultEEEZNS1_13binary_searchIS3_S9_SE_SE_SH_NS1_21lower_bound_search_opENS7_16wrapped_functionINS0_4lessIvEEbEEEE10hipError_tPvRmT1_T2_T3_mmT4_T5_P12ihipStream_tbEUlRKsE_EESO_SS_ST_mSU_SX_bEUlT_E_NS1_11comp_targetILNS1_3genE4ELNS1_11target_archE910ELNS1_3gpuE8ELNS1_3repE0EEENS1_30default_config_static_selectorELNS0_4arch9wavefront6targetE1EEEvSR_,comdat
.Lfunc_end566:
	.size	_ZN7rocprim17ROCPRIM_400000_NS6detail17trampoline_kernelINS0_14default_configENS1_27lower_bound_config_selectorIsN6thrust23THRUST_200600_302600_NS6detail10any_assignEEEZNS1_14transform_implILb0ES3_S9_NS7_15normal_iteratorINS6_10device_ptrIsEEEENS6_16discard_iteratorINS6_11use_defaultEEEZNS1_13binary_searchIS3_S9_SE_SE_SH_NS1_21lower_bound_search_opENS7_16wrapped_functionINS0_4lessIvEEbEEEE10hipError_tPvRmT1_T2_T3_mmT4_T5_P12ihipStream_tbEUlRKsE_EESO_SS_ST_mSU_SX_bEUlT_E_NS1_11comp_targetILNS1_3genE4ELNS1_11target_archE910ELNS1_3gpuE8ELNS1_3repE0EEENS1_30default_config_static_selectorELNS0_4arch9wavefront6targetE1EEEvSR_, .Lfunc_end566-_ZN7rocprim17ROCPRIM_400000_NS6detail17trampoline_kernelINS0_14default_configENS1_27lower_bound_config_selectorIsN6thrust23THRUST_200600_302600_NS6detail10any_assignEEEZNS1_14transform_implILb0ES3_S9_NS7_15normal_iteratorINS6_10device_ptrIsEEEENS6_16discard_iteratorINS6_11use_defaultEEEZNS1_13binary_searchIS3_S9_SE_SE_SH_NS1_21lower_bound_search_opENS7_16wrapped_functionINS0_4lessIvEEbEEEE10hipError_tPvRmT1_T2_T3_mmT4_T5_P12ihipStream_tbEUlRKsE_EESO_SS_ST_mSU_SX_bEUlT_E_NS1_11comp_targetILNS1_3genE4ELNS1_11target_archE910ELNS1_3gpuE8ELNS1_3repE0EEENS1_30default_config_static_selectorELNS0_4arch9wavefront6targetE1EEEvSR_
                                        ; -- End function
	.section	.AMDGPU.csdata,"",@progbits
; Kernel info:
; codeLenInByte = 4
; NumSgprs: 4
; NumVgprs: 0
; NumAgprs: 0
; TotalNumVgprs: 0
; ScratchSize: 0
; MemoryBound: 0
; FloatMode: 240
; IeeeMode: 1
; LDSByteSize: 0 bytes/workgroup (compile time only)
; SGPRBlocks: 0
; VGPRBlocks: 0
; NumSGPRsForWavesPerEU: 4
; NumVGPRsForWavesPerEU: 1
; AccumOffset: 4
; Occupancy: 8
; WaveLimiterHint : 0
; COMPUTE_PGM_RSRC2:SCRATCH_EN: 0
; COMPUTE_PGM_RSRC2:USER_SGPR: 6
; COMPUTE_PGM_RSRC2:TRAP_HANDLER: 0
; COMPUTE_PGM_RSRC2:TGID_X_EN: 1
; COMPUTE_PGM_RSRC2:TGID_Y_EN: 0
; COMPUTE_PGM_RSRC2:TGID_Z_EN: 0
; COMPUTE_PGM_RSRC2:TIDIG_COMP_CNT: 0
; COMPUTE_PGM_RSRC3_GFX90A:ACCUM_OFFSET: 0
; COMPUTE_PGM_RSRC3_GFX90A:TG_SPLIT: 0
	.section	.text._ZN7rocprim17ROCPRIM_400000_NS6detail17trampoline_kernelINS0_14default_configENS1_27lower_bound_config_selectorIsN6thrust23THRUST_200600_302600_NS6detail10any_assignEEEZNS1_14transform_implILb0ES3_S9_NS7_15normal_iteratorINS6_10device_ptrIsEEEENS6_16discard_iteratorINS6_11use_defaultEEEZNS1_13binary_searchIS3_S9_SE_SE_SH_NS1_21lower_bound_search_opENS7_16wrapped_functionINS0_4lessIvEEbEEEE10hipError_tPvRmT1_T2_T3_mmT4_T5_P12ihipStream_tbEUlRKsE_EESO_SS_ST_mSU_SX_bEUlT_E_NS1_11comp_targetILNS1_3genE3ELNS1_11target_archE908ELNS1_3gpuE7ELNS1_3repE0EEENS1_30default_config_static_selectorELNS0_4arch9wavefront6targetE1EEEvSR_,"axG",@progbits,_ZN7rocprim17ROCPRIM_400000_NS6detail17trampoline_kernelINS0_14default_configENS1_27lower_bound_config_selectorIsN6thrust23THRUST_200600_302600_NS6detail10any_assignEEEZNS1_14transform_implILb0ES3_S9_NS7_15normal_iteratorINS6_10device_ptrIsEEEENS6_16discard_iteratorINS6_11use_defaultEEEZNS1_13binary_searchIS3_S9_SE_SE_SH_NS1_21lower_bound_search_opENS7_16wrapped_functionINS0_4lessIvEEbEEEE10hipError_tPvRmT1_T2_T3_mmT4_T5_P12ihipStream_tbEUlRKsE_EESO_SS_ST_mSU_SX_bEUlT_E_NS1_11comp_targetILNS1_3genE3ELNS1_11target_archE908ELNS1_3gpuE7ELNS1_3repE0EEENS1_30default_config_static_selectorELNS0_4arch9wavefront6targetE1EEEvSR_,comdat
	.protected	_ZN7rocprim17ROCPRIM_400000_NS6detail17trampoline_kernelINS0_14default_configENS1_27lower_bound_config_selectorIsN6thrust23THRUST_200600_302600_NS6detail10any_assignEEEZNS1_14transform_implILb0ES3_S9_NS7_15normal_iteratorINS6_10device_ptrIsEEEENS6_16discard_iteratorINS6_11use_defaultEEEZNS1_13binary_searchIS3_S9_SE_SE_SH_NS1_21lower_bound_search_opENS7_16wrapped_functionINS0_4lessIvEEbEEEE10hipError_tPvRmT1_T2_T3_mmT4_T5_P12ihipStream_tbEUlRKsE_EESO_SS_ST_mSU_SX_bEUlT_E_NS1_11comp_targetILNS1_3genE3ELNS1_11target_archE908ELNS1_3gpuE7ELNS1_3repE0EEENS1_30default_config_static_selectorELNS0_4arch9wavefront6targetE1EEEvSR_ ; -- Begin function _ZN7rocprim17ROCPRIM_400000_NS6detail17trampoline_kernelINS0_14default_configENS1_27lower_bound_config_selectorIsN6thrust23THRUST_200600_302600_NS6detail10any_assignEEEZNS1_14transform_implILb0ES3_S9_NS7_15normal_iteratorINS6_10device_ptrIsEEEENS6_16discard_iteratorINS6_11use_defaultEEEZNS1_13binary_searchIS3_S9_SE_SE_SH_NS1_21lower_bound_search_opENS7_16wrapped_functionINS0_4lessIvEEbEEEE10hipError_tPvRmT1_T2_T3_mmT4_T5_P12ihipStream_tbEUlRKsE_EESO_SS_ST_mSU_SX_bEUlT_E_NS1_11comp_targetILNS1_3genE3ELNS1_11target_archE908ELNS1_3gpuE7ELNS1_3repE0EEENS1_30default_config_static_selectorELNS0_4arch9wavefront6targetE1EEEvSR_
	.globl	_ZN7rocprim17ROCPRIM_400000_NS6detail17trampoline_kernelINS0_14default_configENS1_27lower_bound_config_selectorIsN6thrust23THRUST_200600_302600_NS6detail10any_assignEEEZNS1_14transform_implILb0ES3_S9_NS7_15normal_iteratorINS6_10device_ptrIsEEEENS6_16discard_iteratorINS6_11use_defaultEEEZNS1_13binary_searchIS3_S9_SE_SE_SH_NS1_21lower_bound_search_opENS7_16wrapped_functionINS0_4lessIvEEbEEEE10hipError_tPvRmT1_T2_T3_mmT4_T5_P12ihipStream_tbEUlRKsE_EESO_SS_ST_mSU_SX_bEUlT_E_NS1_11comp_targetILNS1_3genE3ELNS1_11target_archE908ELNS1_3gpuE7ELNS1_3repE0EEENS1_30default_config_static_selectorELNS0_4arch9wavefront6targetE1EEEvSR_
	.p2align	8
	.type	_ZN7rocprim17ROCPRIM_400000_NS6detail17trampoline_kernelINS0_14default_configENS1_27lower_bound_config_selectorIsN6thrust23THRUST_200600_302600_NS6detail10any_assignEEEZNS1_14transform_implILb0ES3_S9_NS7_15normal_iteratorINS6_10device_ptrIsEEEENS6_16discard_iteratorINS6_11use_defaultEEEZNS1_13binary_searchIS3_S9_SE_SE_SH_NS1_21lower_bound_search_opENS7_16wrapped_functionINS0_4lessIvEEbEEEE10hipError_tPvRmT1_T2_T3_mmT4_T5_P12ihipStream_tbEUlRKsE_EESO_SS_ST_mSU_SX_bEUlT_E_NS1_11comp_targetILNS1_3genE3ELNS1_11target_archE908ELNS1_3gpuE7ELNS1_3repE0EEENS1_30default_config_static_selectorELNS0_4arch9wavefront6targetE1EEEvSR_,@function
_ZN7rocprim17ROCPRIM_400000_NS6detail17trampoline_kernelINS0_14default_configENS1_27lower_bound_config_selectorIsN6thrust23THRUST_200600_302600_NS6detail10any_assignEEEZNS1_14transform_implILb0ES3_S9_NS7_15normal_iteratorINS6_10device_ptrIsEEEENS6_16discard_iteratorINS6_11use_defaultEEEZNS1_13binary_searchIS3_S9_SE_SE_SH_NS1_21lower_bound_search_opENS7_16wrapped_functionINS0_4lessIvEEbEEEE10hipError_tPvRmT1_T2_T3_mmT4_T5_P12ihipStream_tbEUlRKsE_EESO_SS_ST_mSU_SX_bEUlT_E_NS1_11comp_targetILNS1_3genE3ELNS1_11target_archE908ELNS1_3gpuE7ELNS1_3repE0EEENS1_30default_config_static_selectorELNS0_4arch9wavefront6targetE1EEEvSR_: ; @_ZN7rocprim17ROCPRIM_400000_NS6detail17trampoline_kernelINS0_14default_configENS1_27lower_bound_config_selectorIsN6thrust23THRUST_200600_302600_NS6detail10any_assignEEEZNS1_14transform_implILb0ES3_S9_NS7_15normal_iteratorINS6_10device_ptrIsEEEENS6_16discard_iteratorINS6_11use_defaultEEEZNS1_13binary_searchIS3_S9_SE_SE_SH_NS1_21lower_bound_search_opENS7_16wrapped_functionINS0_4lessIvEEbEEEE10hipError_tPvRmT1_T2_T3_mmT4_T5_P12ihipStream_tbEUlRKsE_EESO_SS_ST_mSU_SX_bEUlT_E_NS1_11comp_targetILNS1_3genE3ELNS1_11target_archE908ELNS1_3gpuE7ELNS1_3repE0EEENS1_30default_config_static_selectorELNS0_4arch9wavefront6targetE1EEEvSR_
; %bb.0:
	.section	.rodata,"a",@progbits
	.p2align	6, 0x0
	.amdhsa_kernel _ZN7rocprim17ROCPRIM_400000_NS6detail17trampoline_kernelINS0_14default_configENS1_27lower_bound_config_selectorIsN6thrust23THRUST_200600_302600_NS6detail10any_assignEEEZNS1_14transform_implILb0ES3_S9_NS7_15normal_iteratorINS6_10device_ptrIsEEEENS6_16discard_iteratorINS6_11use_defaultEEEZNS1_13binary_searchIS3_S9_SE_SE_SH_NS1_21lower_bound_search_opENS7_16wrapped_functionINS0_4lessIvEEbEEEE10hipError_tPvRmT1_T2_T3_mmT4_T5_P12ihipStream_tbEUlRKsE_EESO_SS_ST_mSU_SX_bEUlT_E_NS1_11comp_targetILNS1_3genE3ELNS1_11target_archE908ELNS1_3gpuE7ELNS1_3repE0EEENS1_30default_config_static_selectorELNS0_4arch9wavefront6targetE1EEEvSR_
		.amdhsa_group_segment_fixed_size 0
		.amdhsa_private_segment_fixed_size 0
		.amdhsa_kernarg_size 64
		.amdhsa_user_sgpr_count 6
		.amdhsa_user_sgpr_private_segment_buffer 1
		.amdhsa_user_sgpr_dispatch_ptr 0
		.amdhsa_user_sgpr_queue_ptr 0
		.amdhsa_user_sgpr_kernarg_segment_ptr 1
		.amdhsa_user_sgpr_dispatch_id 0
		.amdhsa_user_sgpr_flat_scratch_init 0
		.amdhsa_user_sgpr_kernarg_preload_length 0
		.amdhsa_user_sgpr_kernarg_preload_offset 0
		.amdhsa_user_sgpr_private_segment_size 0
		.amdhsa_uses_dynamic_stack 0
		.amdhsa_system_sgpr_private_segment_wavefront_offset 0
		.amdhsa_system_sgpr_workgroup_id_x 1
		.amdhsa_system_sgpr_workgroup_id_y 0
		.amdhsa_system_sgpr_workgroup_id_z 0
		.amdhsa_system_sgpr_workgroup_info 0
		.amdhsa_system_vgpr_workitem_id 0
		.amdhsa_next_free_vgpr 1
		.amdhsa_next_free_sgpr 0
		.amdhsa_accum_offset 4
		.amdhsa_reserve_vcc 0
		.amdhsa_reserve_flat_scratch 0
		.amdhsa_float_round_mode_32 0
		.amdhsa_float_round_mode_16_64 0
		.amdhsa_float_denorm_mode_32 3
		.amdhsa_float_denorm_mode_16_64 3
		.amdhsa_dx10_clamp 1
		.amdhsa_ieee_mode 1
		.amdhsa_fp16_overflow 0
		.amdhsa_tg_split 0
		.amdhsa_exception_fp_ieee_invalid_op 0
		.amdhsa_exception_fp_denorm_src 0
		.amdhsa_exception_fp_ieee_div_zero 0
		.amdhsa_exception_fp_ieee_overflow 0
		.amdhsa_exception_fp_ieee_underflow 0
		.amdhsa_exception_fp_ieee_inexact 0
		.amdhsa_exception_int_div_zero 0
	.end_amdhsa_kernel
	.section	.text._ZN7rocprim17ROCPRIM_400000_NS6detail17trampoline_kernelINS0_14default_configENS1_27lower_bound_config_selectorIsN6thrust23THRUST_200600_302600_NS6detail10any_assignEEEZNS1_14transform_implILb0ES3_S9_NS7_15normal_iteratorINS6_10device_ptrIsEEEENS6_16discard_iteratorINS6_11use_defaultEEEZNS1_13binary_searchIS3_S9_SE_SE_SH_NS1_21lower_bound_search_opENS7_16wrapped_functionINS0_4lessIvEEbEEEE10hipError_tPvRmT1_T2_T3_mmT4_T5_P12ihipStream_tbEUlRKsE_EESO_SS_ST_mSU_SX_bEUlT_E_NS1_11comp_targetILNS1_3genE3ELNS1_11target_archE908ELNS1_3gpuE7ELNS1_3repE0EEENS1_30default_config_static_selectorELNS0_4arch9wavefront6targetE1EEEvSR_,"axG",@progbits,_ZN7rocprim17ROCPRIM_400000_NS6detail17trampoline_kernelINS0_14default_configENS1_27lower_bound_config_selectorIsN6thrust23THRUST_200600_302600_NS6detail10any_assignEEEZNS1_14transform_implILb0ES3_S9_NS7_15normal_iteratorINS6_10device_ptrIsEEEENS6_16discard_iteratorINS6_11use_defaultEEEZNS1_13binary_searchIS3_S9_SE_SE_SH_NS1_21lower_bound_search_opENS7_16wrapped_functionINS0_4lessIvEEbEEEE10hipError_tPvRmT1_T2_T3_mmT4_T5_P12ihipStream_tbEUlRKsE_EESO_SS_ST_mSU_SX_bEUlT_E_NS1_11comp_targetILNS1_3genE3ELNS1_11target_archE908ELNS1_3gpuE7ELNS1_3repE0EEENS1_30default_config_static_selectorELNS0_4arch9wavefront6targetE1EEEvSR_,comdat
.Lfunc_end567:
	.size	_ZN7rocprim17ROCPRIM_400000_NS6detail17trampoline_kernelINS0_14default_configENS1_27lower_bound_config_selectorIsN6thrust23THRUST_200600_302600_NS6detail10any_assignEEEZNS1_14transform_implILb0ES3_S9_NS7_15normal_iteratorINS6_10device_ptrIsEEEENS6_16discard_iteratorINS6_11use_defaultEEEZNS1_13binary_searchIS3_S9_SE_SE_SH_NS1_21lower_bound_search_opENS7_16wrapped_functionINS0_4lessIvEEbEEEE10hipError_tPvRmT1_T2_T3_mmT4_T5_P12ihipStream_tbEUlRKsE_EESO_SS_ST_mSU_SX_bEUlT_E_NS1_11comp_targetILNS1_3genE3ELNS1_11target_archE908ELNS1_3gpuE7ELNS1_3repE0EEENS1_30default_config_static_selectorELNS0_4arch9wavefront6targetE1EEEvSR_, .Lfunc_end567-_ZN7rocprim17ROCPRIM_400000_NS6detail17trampoline_kernelINS0_14default_configENS1_27lower_bound_config_selectorIsN6thrust23THRUST_200600_302600_NS6detail10any_assignEEEZNS1_14transform_implILb0ES3_S9_NS7_15normal_iteratorINS6_10device_ptrIsEEEENS6_16discard_iteratorINS6_11use_defaultEEEZNS1_13binary_searchIS3_S9_SE_SE_SH_NS1_21lower_bound_search_opENS7_16wrapped_functionINS0_4lessIvEEbEEEE10hipError_tPvRmT1_T2_T3_mmT4_T5_P12ihipStream_tbEUlRKsE_EESO_SS_ST_mSU_SX_bEUlT_E_NS1_11comp_targetILNS1_3genE3ELNS1_11target_archE908ELNS1_3gpuE7ELNS1_3repE0EEENS1_30default_config_static_selectorELNS0_4arch9wavefront6targetE1EEEvSR_
                                        ; -- End function
	.section	.AMDGPU.csdata,"",@progbits
; Kernel info:
; codeLenInByte = 0
; NumSgprs: 4
; NumVgprs: 0
; NumAgprs: 0
; TotalNumVgprs: 0
; ScratchSize: 0
; MemoryBound: 0
; FloatMode: 240
; IeeeMode: 1
; LDSByteSize: 0 bytes/workgroup (compile time only)
; SGPRBlocks: 0
; VGPRBlocks: 0
; NumSGPRsForWavesPerEU: 4
; NumVGPRsForWavesPerEU: 1
; AccumOffset: 4
; Occupancy: 8
; WaveLimiterHint : 0
; COMPUTE_PGM_RSRC2:SCRATCH_EN: 0
; COMPUTE_PGM_RSRC2:USER_SGPR: 6
; COMPUTE_PGM_RSRC2:TRAP_HANDLER: 0
; COMPUTE_PGM_RSRC2:TGID_X_EN: 1
; COMPUTE_PGM_RSRC2:TGID_Y_EN: 0
; COMPUTE_PGM_RSRC2:TGID_Z_EN: 0
; COMPUTE_PGM_RSRC2:TIDIG_COMP_CNT: 0
; COMPUTE_PGM_RSRC3_GFX90A:ACCUM_OFFSET: 0
; COMPUTE_PGM_RSRC3_GFX90A:TG_SPLIT: 0
	.section	.text._ZN7rocprim17ROCPRIM_400000_NS6detail17trampoline_kernelINS0_14default_configENS1_27lower_bound_config_selectorIsN6thrust23THRUST_200600_302600_NS6detail10any_assignEEEZNS1_14transform_implILb0ES3_S9_NS7_15normal_iteratorINS6_10device_ptrIsEEEENS6_16discard_iteratorINS6_11use_defaultEEEZNS1_13binary_searchIS3_S9_SE_SE_SH_NS1_21lower_bound_search_opENS7_16wrapped_functionINS0_4lessIvEEbEEEE10hipError_tPvRmT1_T2_T3_mmT4_T5_P12ihipStream_tbEUlRKsE_EESO_SS_ST_mSU_SX_bEUlT_E_NS1_11comp_targetILNS1_3genE2ELNS1_11target_archE906ELNS1_3gpuE6ELNS1_3repE0EEENS1_30default_config_static_selectorELNS0_4arch9wavefront6targetE1EEEvSR_,"axG",@progbits,_ZN7rocprim17ROCPRIM_400000_NS6detail17trampoline_kernelINS0_14default_configENS1_27lower_bound_config_selectorIsN6thrust23THRUST_200600_302600_NS6detail10any_assignEEEZNS1_14transform_implILb0ES3_S9_NS7_15normal_iteratorINS6_10device_ptrIsEEEENS6_16discard_iteratorINS6_11use_defaultEEEZNS1_13binary_searchIS3_S9_SE_SE_SH_NS1_21lower_bound_search_opENS7_16wrapped_functionINS0_4lessIvEEbEEEE10hipError_tPvRmT1_T2_T3_mmT4_T5_P12ihipStream_tbEUlRKsE_EESO_SS_ST_mSU_SX_bEUlT_E_NS1_11comp_targetILNS1_3genE2ELNS1_11target_archE906ELNS1_3gpuE6ELNS1_3repE0EEENS1_30default_config_static_selectorELNS0_4arch9wavefront6targetE1EEEvSR_,comdat
	.protected	_ZN7rocprim17ROCPRIM_400000_NS6detail17trampoline_kernelINS0_14default_configENS1_27lower_bound_config_selectorIsN6thrust23THRUST_200600_302600_NS6detail10any_assignEEEZNS1_14transform_implILb0ES3_S9_NS7_15normal_iteratorINS6_10device_ptrIsEEEENS6_16discard_iteratorINS6_11use_defaultEEEZNS1_13binary_searchIS3_S9_SE_SE_SH_NS1_21lower_bound_search_opENS7_16wrapped_functionINS0_4lessIvEEbEEEE10hipError_tPvRmT1_T2_T3_mmT4_T5_P12ihipStream_tbEUlRKsE_EESO_SS_ST_mSU_SX_bEUlT_E_NS1_11comp_targetILNS1_3genE2ELNS1_11target_archE906ELNS1_3gpuE6ELNS1_3repE0EEENS1_30default_config_static_selectorELNS0_4arch9wavefront6targetE1EEEvSR_ ; -- Begin function _ZN7rocprim17ROCPRIM_400000_NS6detail17trampoline_kernelINS0_14default_configENS1_27lower_bound_config_selectorIsN6thrust23THRUST_200600_302600_NS6detail10any_assignEEEZNS1_14transform_implILb0ES3_S9_NS7_15normal_iteratorINS6_10device_ptrIsEEEENS6_16discard_iteratorINS6_11use_defaultEEEZNS1_13binary_searchIS3_S9_SE_SE_SH_NS1_21lower_bound_search_opENS7_16wrapped_functionINS0_4lessIvEEbEEEE10hipError_tPvRmT1_T2_T3_mmT4_T5_P12ihipStream_tbEUlRKsE_EESO_SS_ST_mSU_SX_bEUlT_E_NS1_11comp_targetILNS1_3genE2ELNS1_11target_archE906ELNS1_3gpuE6ELNS1_3repE0EEENS1_30default_config_static_selectorELNS0_4arch9wavefront6targetE1EEEvSR_
	.globl	_ZN7rocprim17ROCPRIM_400000_NS6detail17trampoline_kernelINS0_14default_configENS1_27lower_bound_config_selectorIsN6thrust23THRUST_200600_302600_NS6detail10any_assignEEEZNS1_14transform_implILb0ES3_S9_NS7_15normal_iteratorINS6_10device_ptrIsEEEENS6_16discard_iteratorINS6_11use_defaultEEEZNS1_13binary_searchIS3_S9_SE_SE_SH_NS1_21lower_bound_search_opENS7_16wrapped_functionINS0_4lessIvEEbEEEE10hipError_tPvRmT1_T2_T3_mmT4_T5_P12ihipStream_tbEUlRKsE_EESO_SS_ST_mSU_SX_bEUlT_E_NS1_11comp_targetILNS1_3genE2ELNS1_11target_archE906ELNS1_3gpuE6ELNS1_3repE0EEENS1_30default_config_static_selectorELNS0_4arch9wavefront6targetE1EEEvSR_
	.p2align	8
	.type	_ZN7rocprim17ROCPRIM_400000_NS6detail17trampoline_kernelINS0_14default_configENS1_27lower_bound_config_selectorIsN6thrust23THRUST_200600_302600_NS6detail10any_assignEEEZNS1_14transform_implILb0ES3_S9_NS7_15normal_iteratorINS6_10device_ptrIsEEEENS6_16discard_iteratorINS6_11use_defaultEEEZNS1_13binary_searchIS3_S9_SE_SE_SH_NS1_21lower_bound_search_opENS7_16wrapped_functionINS0_4lessIvEEbEEEE10hipError_tPvRmT1_T2_T3_mmT4_T5_P12ihipStream_tbEUlRKsE_EESO_SS_ST_mSU_SX_bEUlT_E_NS1_11comp_targetILNS1_3genE2ELNS1_11target_archE906ELNS1_3gpuE6ELNS1_3repE0EEENS1_30default_config_static_selectorELNS0_4arch9wavefront6targetE1EEEvSR_,@function
_ZN7rocprim17ROCPRIM_400000_NS6detail17trampoline_kernelINS0_14default_configENS1_27lower_bound_config_selectorIsN6thrust23THRUST_200600_302600_NS6detail10any_assignEEEZNS1_14transform_implILb0ES3_S9_NS7_15normal_iteratorINS6_10device_ptrIsEEEENS6_16discard_iteratorINS6_11use_defaultEEEZNS1_13binary_searchIS3_S9_SE_SE_SH_NS1_21lower_bound_search_opENS7_16wrapped_functionINS0_4lessIvEEbEEEE10hipError_tPvRmT1_T2_T3_mmT4_T5_P12ihipStream_tbEUlRKsE_EESO_SS_ST_mSU_SX_bEUlT_E_NS1_11comp_targetILNS1_3genE2ELNS1_11target_archE906ELNS1_3gpuE6ELNS1_3repE0EEENS1_30default_config_static_selectorELNS0_4arch9wavefront6targetE1EEEvSR_: ; @_ZN7rocprim17ROCPRIM_400000_NS6detail17trampoline_kernelINS0_14default_configENS1_27lower_bound_config_selectorIsN6thrust23THRUST_200600_302600_NS6detail10any_assignEEEZNS1_14transform_implILb0ES3_S9_NS7_15normal_iteratorINS6_10device_ptrIsEEEENS6_16discard_iteratorINS6_11use_defaultEEEZNS1_13binary_searchIS3_S9_SE_SE_SH_NS1_21lower_bound_search_opENS7_16wrapped_functionINS0_4lessIvEEbEEEE10hipError_tPvRmT1_T2_T3_mmT4_T5_P12ihipStream_tbEUlRKsE_EESO_SS_ST_mSU_SX_bEUlT_E_NS1_11comp_targetILNS1_3genE2ELNS1_11target_archE906ELNS1_3gpuE6ELNS1_3repE0EEENS1_30default_config_static_selectorELNS0_4arch9wavefront6targetE1EEEvSR_
; %bb.0:
	.section	.rodata,"a",@progbits
	.p2align	6, 0x0
	.amdhsa_kernel _ZN7rocprim17ROCPRIM_400000_NS6detail17trampoline_kernelINS0_14default_configENS1_27lower_bound_config_selectorIsN6thrust23THRUST_200600_302600_NS6detail10any_assignEEEZNS1_14transform_implILb0ES3_S9_NS7_15normal_iteratorINS6_10device_ptrIsEEEENS6_16discard_iteratorINS6_11use_defaultEEEZNS1_13binary_searchIS3_S9_SE_SE_SH_NS1_21lower_bound_search_opENS7_16wrapped_functionINS0_4lessIvEEbEEEE10hipError_tPvRmT1_T2_T3_mmT4_T5_P12ihipStream_tbEUlRKsE_EESO_SS_ST_mSU_SX_bEUlT_E_NS1_11comp_targetILNS1_3genE2ELNS1_11target_archE906ELNS1_3gpuE6ELNS1_3repE0EEENS1_30default_config_static_selectorELNS0_4arch9wavefront6targetE1EEEvSR_
		.amdhsa_group_segment_fixed_size 0
		.amdhsa_private_segment_fixed_size 0
		.amdhsa_kernarg_size 64
		.amdhsa_user_sgpr_count 6
		.amdhsa_user_sgpr_private_segment_buffer 1
		.amdhsa_user_sgpr_dispatch_ptr 0
		.amdhsa_user_sgpr_queue_ptr 0
		.amdhsa_user_sgpr_kernarg_segment_ptr 1
		.amdhsa_user_sgpr_dispatch_id 0
		.amdhsa_user_sgpr_flat_scratch_init 0
		.amdhsa_user_sgpr_kernarg_preload_length 0
		.amdhsa_user_sgpr_kernarg_preload_offset 0
		.amdhsa_user_sgpr_private_segment_size 0
		.amdhsa_uses_dynamic_stack 0
		.amdhsa_system_sgpr_private_segment_wavefront_offset 0
		.amdhsa_system_sgpr_workgroup_id_x 1
		.amdhsa_system_sgpr_workgroup_id_y 0
		.amdhsa_system_sgpr_workgroup_id_z 0
		.amdhsa_system_sgpr_workgroup_info 0
		.amdhsa_system_vgpr_workitem_id 0
		.amdhsa_next_free_vgpr 1
		.amdhsa_next_free_sgpr 0
		.amdhsa_accum_offset 4
		.amdhsa_reserve_vcc 0
		.amdhsa_reserve_flat_scratch 0
		.amdhsa_float_round_mode_32 0
		.amdhsa_float_round_mode_16_64 0
		.amdhsa_float_denorm_mode_32 3
		.amdhsa_float_denorm_mode_16_64 3
		.amdhsa_dx10_clamp 1
		.amdhsa_ieee_mode 1
		.amdhsa_fp16_overflow 0
		.amdhsa_tg_split 0
		.amdhsa_exception_fp_ieee_invalid_op 0
		.amdhsa_exception_fp_denorm_src 0
		.amdhsa_exception_fp_ieee_div_zero 0
		.amdhsa_exception_fp_ieee_overflow 0
		.amdhsa_exception_fp_ieee_underflow 0
		.amdhsa_exception_fp_ieee_inexact 0
		.amdhsa_exception_int_div_zero 0
	.end_amdhsa_kernel
	.section	.text._ZN7rocprim17ROCPRIM_400000_NS6detail17trampoline_kernelINS0_14default_configENS1_27lower_bound_config_selectorIsN6thrust23THRUST_200600_302600_NS6detail10any_assignEEEZNS1_14transform_implILb0ES3_S9_NS7_15normal_iteratorINS6_10device_ptrIsEEEENS6_16discard_iteratorINS6_11use_defaultEEEZNS1_13binary_searchIS3_S9_SE_SE_SH_NS1_21lower_bound_search_opENS7_16wrapped_functionINS0_4lessIvEEbEEEE10hipError_tPvRmT1_T2_T3_mmT4_T5_P12ihipStream_tbEUlRKsE_EESO_SS_ST_mSU_SX_bEUlT_E_NS1_11comp_targetILNS1_3genE2ELNS1_11target_archE906ELNS1_3gpuE6ELNS1_3repE0EEENS1_30default_config_static_selectorELNS0_4arch9wavefront6targetE1EEEvSR_,"axG",@progbits,_ZN7rocprim17ROCPRIM_400000_NS6detail17trampoline_kernelINS0_14default_configENS1_27lower_bound_config_selectorIsN6thrust23THRUST_200600_302600_NS6detail10any_assignEEEZNS1_14transform_implILb0ES3_S9_NS7_15normal_iteratorINS6_10device_ptrIsEEEENS6_16discard_iteratorINS6_11use_defaultEEEZNS1_13binary_searchIS3_S9_SE_SE_SH_NS1_21lower_bound_search_opENS7_16wrapped_functionINS0_4lessIvEEbEEEE10hipError_tPvRmT1_T2_T3_mmT4_T5_P12ihipStream_tbEUlRKsE_EESO_SS_ST_mSU_SX_bEUlT_E_NS1_11comp_targetILNS1_3genE2ELNS1_11target_archE906ELNS1_3gpuE6ELNS1_3repE0EEENS1_30default_config_static_selectorELNS0_4arch9wavefront6targetE1EEEvSR_,comdat
.Lfunc_end568:
	.size	_ZN7rocprim17ROCPRIM_400000_NS6detail17trampoline_kernelINS0_14default_configENS1_27lower_bound_config_selectorIsN6thrust23THRUST_200600_302600_NS6detail10any_assignEEEZNS1_14transform_implILb0ES3_S9_NS7_15normal_iteratorINS6_10device_ptrIsEEEENS6_16discard_iteratorINS6_11use_defaultEEEZNS1_13binary_searchIS3_S9_SE_SE_SH_NS1_21lower_bound_search_opENS7_16wrapped_functionINS0_4lessIvEEbEEEE10hipError_tPvRmT1_T2_T3_mmT4_T5_P12ihipStream_tbEUlRKsE_EESO_SS_ST_mSU_SX_bEUlT_E_NS1_11comp_targetILNS1_3genE2ELNS1_11target_archE906ELNS1_3gpuE6ELNS1_3repE0EEENS1_30default_config_static_selectorELNS0_4arch9wavefront6targetE1EEEvSR_, .Lfunc_end568-_ZN7rocprim17ROCPRIM_400000_NS6detail17trampoline_kernelINS0_14default_configENS1_27lower_bound_config_selectorIsN6thrust23THRUST_200600_302600_NS6detail10any_assignEEEZNS1_14transform_implILb0ES3_S9_NS7_15normal_iteratorINS6_10device_ptrIsEEEENS6_16discard_iteratorINS6_11use_defaultEEEZNS1_13binary_searchIS3_S9_SE_SE_SH_NS1_21lower_bound_search_opENS7_16wrapped_functionINS0_4lessIvEEbEEEE10hipError_tPvRmT1_T2_T3_mmT4_T5_P12ihipStream_tbEUlRKsE_EESO_SS_ST_mSU_SX_bEUlT_E_NS1_11comp_targetILNS1_3genE2ELNS1_11target_archE906ELNS1_3gpuE6ELNS1_3repE0EEENS1_30default_config_static_selectorELNS0_4arch9wavefront6targetE1EEEvSR_
                                        ; -- End function
	.section	.AMDGPU.csdata,"",@progbits
; Kernel info:
; codeLenInByte = 0
; NumSgprs: 4
; NumVgprs: 0
; NumAgprs: 0
; TotalNumVgprs: 0
; ScratchSize: 0
; MemoryBound: 0
; FloatMode: 240
; IeeeMode: 1
; LDSByteSize: 0 bytes/workgroup (compile time only)
; SGPRBlocks: 0
; VGPRBlocks: 0
; NumSGPRsForWavesPerEU: 4
; NumVGPRsForWavesPerEU: 1
; AccumOffset: 4
; Occupancy: 8
; WaveLimiterHint : 0
; COMPUTE_PGM_RSRC2:SCRATCH_EN: 0
; COMPUTE_PGM_RSRC2:USER_SGPR: 6
; COMPUTE_PGM_RSRC2:TRAP_HANDLER: 0
; COMPUTE_PGM_RSRC2:TGID_X_EN: 1
; COMPUTE_PGM_RSRC2:TGID_Y_EN: 0
; COMPUTE_PGM_RSRC2:TGID_Z_EN: 0
; COMPUTE_PGM_RSRC2:TIDIG_COMP_CNT: 0
; COMPUTE_PGM_RSRC3_GFX90A:ACCUM_OFFSET: 0
; COMPUTE_PGM_RSRC3_GFX90A:TG_SPLIT: 0
	.section	.text._ZN7rocprim17ROCPRIM_400000_NS6detail17trampoline_kernelINS0_14default_configENS1_27lower_bound_config_selectorIsN6thrust23THRUST_200600_302600_NS6detail10any_assignEEEZNS1_14transform_implILb0ES3_S9_NS7_15normal_iteratorINS6_10device_ptrIsEEEENS6_16discard_iteratorINS6_11use_defaultEEEZNS1_13binary_searchIS3_S9_SE_SE_SH_NS1_21lower_bound_search_opENS7_16wrapped_functionINS0_4lessIvEEbEEEE10hipError_tPvRmT1_T2_T3_mmT4_T5_P12ihipStream_tbEUlRKsE_EESO_SS_ST_mSU_SX_bEUlT_E_NS1_11comp_targetILNS1_3genE10ELNS1_11target_archE1201ELNS1_3gpuE5ELNS1_3repE0EEENS1_30default_config_static_selectorELNS0_4arch9wavefront6targetE1EEEvSR_,"axG",@progbits,_ZN7rocprim17ROCPRIM_400000_NS6detail17trampoline_kernelINS0_14default_configENS1_27lower_bound_config_selectorIsN6thrust23THRUST_200600_302600_NS6detail10any_assignEEEZNS1_14transform_implILb0ES3_S9_NS7_15normal_iteratorINS6_10device_ptrIsEEEENS6_16discard_iteratorINS6_11use_defaultEEEZNS1_13binary_searchIS3_S9_SE_SE_SH_NS1_21lower_bound_search_opENS7_16wrapped_functionINS0_4lessIvEEbEEEE10hipError_tPvRmT1_T2_T3_mmT4_T5_P12ihipStream_tbEUlRKsE_EESO_SS_ST_mSU_SX_bEUlT_E_NS1_11comp_targetILNS1_3genE10ELNS1_11target_archE1201ELNS1_3gpuE5ELNS1_3repE0EEENS1_30default_config_static_selectorELNS0_4arch9wavefront6targetE1EEEvSR_,comdat
	.protected	_ZN7rocprim17ROCPRIM_400000_NS6detail17trampoline_kernelINS0_14default_configENS1_27lower_bound_config_selectorIsN6thrust23THRUST_200600_302600_NS6detail10any_assignEEEZNS1_14transform_implILb0ES3_S9_NS7_15normal_iteratorINS6_10device_ptrIsEEEENS6_16discard_iteratorINS6_11use_defaultEEEZNS1_13binary_searchIS3_S9_SE_SE_SH_NS1_21lower_bound_search_opENS7_16wrapped_functionINS0_4lessIvEEbEEEE10hipError_tPvRmT1_T2_T3_mmT4_T5_P12ihipStream_tbEUlRKsE_EESO_SS_ST_mSU_SX_bEUlT_E_NS1_11comp_targetILNS1_3genE10ELNS1_11target_archE1201ELNS1_3gpuE5ELNS1_3repE0EEENS1_30default_config_static_selectorELNS0_4arch9wavefront6targetE1EEEvSR_ ; -- Begin function _ZN7rocprim17ROCPRIM_400000_NS6detail17trampoline_kernelINS0_14default_configENS1_27lower_bound_config_selectorIsN6thrust23THRUST_200600_302600_NS6detail10any_assignEEEZNS1_14transform_implILb0ES3_S9_NS7_15normal_iteratorINS6_10device_ptrIsEEEENS6_16discard_iteratorINS6_11use_defaultEEEZNS1_13binary_searchIS3_S9_SE_SE_SH_NS1_21lower_bound_search_opENS7_16wrapped_functionINS0_4lessIvEEbEEEE10hipError_tPvRmT1_T2_T3_mmT4_T5_P12ihipStream_tbEUlRKsE_EESO_SS_ST_mSU_SX_bEUlT_E_NS1_11comp_targetILNS1_3genE10ELNS1_11target_archE1201ELNS1_3gpuE5ELNS1_3repE0EEENS1_30default_config_static_selectorELNS0_4arch9wavefront6targetE1EEEvSR_
	.globl	_ZN7rocprim17ROCPRIM_400000_NS6detail17trampoline_kernelINS0_14default_configENS1_27lower_bound_config_selectorIsN6thrust23THRUST_200600_302600_NS6detail10any_assignEEEZNS1_14transform_implILb0ES3_S9_NS7_15normal_iteratorINS6_10device_ptrIsEEEENS6_16discard_iteratorINS6_11use_defaultEEEZNS1_13binary_searchIS3_S9_SE_SE_SH_NS1_21lower_bound_search_opENS7_16wrapped_functionINS0_4lessIvEEbEEEE10hipError_tPvRmT1_T2_T3_mmT4_T5_P12ihipStream_tbEUlRKsE_EESO_SS_ST_mSU_SX_bEUlT_E_NS1_11comp_targetILNS1_3genE10ELNS1_11target_archE1201ELNS1_3gpuE5ELNS1_3repE0EEENS1_30default_config_static_selectorELNS0_4arch9wavefront6targetE1EEEvSR_
	.p2align	8
	.type	_ZN7rocprim17ROCPRIM_400000_NS6detail17trampoline_kernelINS0_14default_configENS1_27lower_bound_config_selectorIsN6thrust23THRUST_200600_302600_NS6detail10any_assignEEEZNS1_14transform_implILb0ES3_S9_NS7_15normal_iteratorINS6_10device_ptrIsEEEENS6_16discard_iteratorINS6_11use_defaultEEEZNS1_13binary_searchIS3_S9_SE_SE_SH_NS1_21lower_bound_search_opENS7_16wrapped_functionINS0_4lessIvEEbEEEE10hipError_tPvRmT1_T2_T3_mmT4_T5_P12ihipStream_tbEUlRKsE_EESO_SS_ST_mSU_SX_bEUlT_E_NS1_11comp_targetILNS1_3genE10ELNS1_11target_archE1201ELNS1_3gpuE5ELNS1_3repE0EEENS1_30default_config_static_selectorELNS0_4arch9wavefront6targetE1EEEvSR_,@function
_ZN7rocprim17ROCPRIM_400000_NS6detail17trampoline_kernelINS0_14default_configENS1_27lower_bound_config_selectorIsN6thrust23THRUST_200600_302600_NS6detail10any_assignEEEZNS1_14transform_implILb0ES3_S9_NS7_15normal_iteratorINS6_10device_ptrIsEEEENS6_16discard_iteratorINS6_11use_defaultEEEZNS1_13binary_searchIS3_S9_SE_SE_SH_NS1_21lower_bound_search_opENS7_16wrapped_functionINS0_4lessIvEEbEEEE10hipError_tPvRmT1_T2_T3_mmT4_T5_P12ihipStream_tbEUlRKsE_EESO_SS_ST_mSU_SX_bEUlT_E_NS1_11comp_targetILNS1_3genE10ELNS1_11target_archE1201ELNS1_3gpuE5ELNS1_3repE0EEENS1_30default_config_static_selectorELNS0_4arch9wavefront6targetE1EEEvSR_: ; @_ZN7rocprim17ROCPRIM_400000_NS6detail17trampoline_kernelINS0_14default_configENS1_27lower_bound_config_selectorIsN6thrust23THRUST_200600_302600_NS6detail10any_assignEEEZNS1_14transform_implILb0ES3_S9_NS7_15normal_iteratorINS6_10device_ptrIsEEEENS6_16discard_iteratorINS6_11use_defaultEEEZNS1_13binary_searchIS3_S9_SE_SE_SH_NS1_21lower_bound_search_opENS7_16wrapped_functionINS0_4lessIvEEbEEEE10hipError_tPvRmT1_T2_T3_mmT4_T5_P12ihipStream_tbEUlRKsE_EESO_SS_ST_mSU_SX_bEUlT_E_NS1_11comp_targetILNS1_3genE10ELNS1_11target_archE1201ELNS1_3gpuE5ELNS1_3repE0EEENS1_30default_config_static_selectorELNS0_4arch9wavefront6targetE1EEEvSR_
; %bb.0:
	.section	.rodata,"a",@progbits
	.p2align	6, 0x0
	.amdhsa_kernel _ZN7rocprim17ROCPRIM_400000_NS6detail17trampoline_kernelINS0_14default_configENS1_27lower_bound_config_selectorIsN6thrust23THRUST_200600_302600_NS6detail10any_assignEEEZNS1_14transform_implILb0ES3_S9_NS7_15normal_iteratorINS6_10device_ptrIsEEEENS6_16discard_iteratorINS6_11use_defaultEEEZNS1_13binary_searchIS3_S9_SE_SE_SH_NS1_21lower_bound_search_opENS7_16wrapped_functionINS0_4lessIvEEbEEEE10hipError_tPvRmT1_T2_T3_mmT4_T5_P12ihipStream_tbEUlRKsE_EESO_SS_ST_mSU_SX_bEUlT_E_NS1_11comp_targetILNS1_3genE10ELNS1_11target_archE1201ELNS1_3gpuE5ELNS1_3repE0EEENS1_30default_config_static_selectorELNS0_4arch9wavefront6targetE1EEEvSR_
		.amdhsa_group_segment_fixed_size 0
		.amdhsa_private_segment_fixed_size 0
		.amdhsa_kernarg_size 64
		.amdhsa_user_sgpr_count 6
		.amdhsa_user_sgpr_private_segment_buffer 1
		.amdhsa_user_sgpr_dispatch_ptr 0
		.amdhsa_user_sgpr_queue_ptr 0
		.amdhsa_user_sgpr_kernarg_segment_ptr 1
		.amdhsa_user_sgpr_dispatch_id 0
		.amdhsa_user_sgpr_flat_scratch_init 0
		.amdhsa_user_sgpr_kernarg_preload_length 0
		.amdhsa_user_sgpr_kernarg_preload_offset 0
		.amdhsa_user_sgpr_private_segment_size 0
		.amdhsa_uses_dynamic_stack 0
		.amdhsa_system_sgpr_private_segment_wavefront_offset 0
		.amdhsa_system_sgpr_workgroup_id_x 1
		.amdhsa_system_sgpr_workgroup_id_y 0
		.amdhsa_system_sgpr_workgroup_id_z 0
		.amdhsa_system_sgpr_workgroup_info 0
		.amdhsa_system_vgpr_workitem_id 0
		.amdhsa_next_free_vgpr 1
		.amdhsa_next_free_sgpr 0
		.amdhsa_accum_offset 4
		.amdhsa_reserve_vcc 0
		.amdhsa_reserve_flat_scratch 0
		.amdhsa_float_round_mode_32 0
		.amdhsa_float_round_mode_16_64 0
		.amdhsa_float_denorm_mode_32 3
		.amdhsa_float_denorm_mode_16_64 3
		.amdhsa_dx10_clamp 1
		.amdhsa_ieee_mode 1
		.amdhsa_fp16_overflow 0
		.amdhsa_tg_split 0
		.amdhsa_exception_fp_ieee_invalid_op 0
		.amdhsa_exception_fp_denorm_src 0
		.amdhsa_exception_fp_ieee_div_zero 0
		.amdhsa_exception_fp_ieee_overflow 0
		.amdhsa_exception_fp_ieee_underflow 0
		.amdhsa_exception_fp_ieee_inexact 0
		.amdhsa_exception_int_div_zero 0
	.end_amdhsa_kernel
	.section	.text._ZN7rocprim17ROCPRIM_400000_NS6detail17trampoline_kernelINS0_14default_configENS1_27lower_bound_config_selectorIsN6thrust23THRUST_200600_302600_NS6detail10any_assignEEEZNS1_14transform_implILb0ES3_S9_NS7_15normal_iteratorINS6_10device_ptrIsEEEENS6_16discard_iteratorINS6_11use_defaultEEEZNS1_13binary_searchIS3_S9_SE_SE_SH_NS1_21lower_bound_search_opENS7_16wrapped_functionINS0_4lessIvEEbEEEE10hipError_tPvRmT1_T2_T3_mmT4_T5_P12ihipStream_tbEUlRKsE_EESO_SS_ST_mSU_SX_bEUlT_E_NS1_11comp_targetILNS1_3genE10ELNS1_11target_archE1201ELNS1_3gpuE5ELNS1_3repE0EEENS1_30default_config_static_selectorELNS0_4arch9wavefront6targetE1EEEvSR_,"axG",@progbits,_ZN7rocprim17ROCPRIM_400000_NS6detail17trampoline_kernelINS0_14default_configENS1_27lower_bound_config_selectorIsN6thrust23THRUST_200600_302600_NS6detail10any_assignEEEZNS1_14transform_implILb0ES3_S9_NS7_15normal_iteratorINS6_10device_ptrIsEEEENS6_16discard_iteratorINS6_11use_defaultEEEZNS1_13binary_searchIS3_S9_SE_SE_SH_NS1_21lower_bound_search_opENS7_16wrapped_functionINS0_4lessIvEEbEEEE10hipError_tPvRmT1_T2_T3_mmT4_T5_P12ihipStream_tbEUlRKsE_EESO_SS_ST_mSU_SX_bEUlT_E_NS1_11comp_targetILNS1_3genE10ELNS1_11target_archE1201ELNS1_3gpuE5ELNS1_3repE0EEENS1_30default_config_static_selectorELNS0_4arch9wavefront6targetE1EEEvSR_,comdat
.Lfunc_end569:
	.size	_ZN7rocprim17ROCPRIM_400000_NS6detail17trampoline_kernelINS0_14default_configENS1_27lower_bound_config_selectorIsN6thrust23THRUST_200600_302600_NS6detail10any_assignEEEZNS1_14transform_implILb0ES3_S9_NS7_15normal_iteratorINS6_10device_ptrIsEEEENS6_16discard_iteratorINS6_11use_defaultEEEZNS1_13binary_searchIS3_S9_SE_SE_SH_NS1_21lower_bound_search_opENS7_16wrapped_functionINS0_4lessIvEEbEEEE10hipError_tPvRmT1_T2_T3_mmT4_T5_P12ihipStream_tbEUlRKsE_EESO_SS_ST_mSU_SX_bEUlT_E_NS1_11comp_targetILNS1_3genE10ELNS1_11target_archE1201ELNS1_3gpuE5ELNS1_3repE0EEENS1_30default_config_static_selectorELNS0_4arch9wavefront6targetE1EEEvSR_, .Lfunc_end569-_ZN7rocprim17ROCPRIM_400000_NS6detail17trampoline_kernelINS0_14default_configENS1_27lower_bound_config_selectorIsN6thrust23THRUST_200600_302600_NS6detail10any_assignEEEZNS1_14transform_implILb0ES3_S9_NS7_15normal_iteratorINS6_10device_ptrIsEEEENS6_16discard_iteratorINS6_11use_defaultEEEZNS1_13binary_searchIS3_S9_SE_SE_SH_NS1_21lower_bound_search_opENS7_16wrapped_functionINS0_4lessIvEEbEEEE10hipError_tPvRmT1_T2_T3_mmT4_T5_P12ihipStream_tbEUlRKsE_EESO_SS_ST_mSU_SX_bEUlT_E_NS1_11comp_targetILNS1_3genE10ELNS1_11target_archE1201ELNS1_3gpuE5ELNS1_3repE0EEENS1_30default_config_static_selectorELNS0_4arch9wavefront6targetE1EEEvSR_
                                        ; -- End function
	.section	.AMDGPU.csdata,"",@progbits
; Kernel info:
; codeLenInByte = 0
; NumSgprs: 4
; NumVgprs: 0
; NumAgprs: 0
; TotalNumVgprs: 0
; ScratchSize: 0
; MemoryBound: 0
; FloatMode: 240
; IeeeMode: 1
; LDSByteSize: 0 bytes/workgroup (compile time only)
; SGPRBlocks: 0
; VGPRBlocks: 0
; NumSGPRsForWavesPerEU: 4
; NumVGPRsForWavesPerEU: 1
; AccumOffset: 4
; Occupancy: 8
; WaveLimiterHint : 0
; COMPUTE_PGM_RSRC2:SCRATCH_EN: 0
; COMPUTE_PGM_RSRC2:USER_SGPR: 6
; COMPUTE_PGM_RSRC2:TRAP_HANDLER: 0
; COMPUTE_PGM_RSRC2:TGID_X_EN: 1
; COMPUTE_PGM_RSRC2:TGID_Y_EN: 0
; COMPUTE_PGM_RSRC2:TGID_Z_EN: 0
; COMPUTE_PGM_RSRC2:TIDIG_COMP_CNT: 0
; COMPUTE_PGM_RSRC3_GFX90A:ACCUM_OFFSET: 0
; COMPUTE_PGM_RSRC3_GFX90A:TG_SPLIT: 0
	.section	.text._ZN7rocprim17ROCPRIM_400000_NS6detail17trampoline_kernelINS0_14default_configENS1_27lower_bound_config_selectorIsN6thrust23THRUST_200600_302600_NS6detail10any_assignEEEZNS1_14transform_implILb0ES3_S9_NS7_15normal_iteratorINS6_10device_ptrIsEEEENS6_16discard_iteratorINS6_11use_defaultEEEZNS1_13binary_searchIS3_S9_SE_SE_SH_NS1_21lower_bound_search_opENS7_16wrapped_functionINS0_4lessIvEEbEEEE10hipError_tPvRmT1_T2_T3_mmT4_T5_P12ihipStream_tbEUlRKsE_EESO_SS_ST_mSU_SX_bEUlT_E_NS1_11comp_targetILNS1_3genE10ELNS1_11target_archE1200ELNS1_3gpuE4ELNS1_3repE0EEENS1_30default_config_static_selectorELNS0_4arch9wavefront6targetE1EEEvSR_,"axG",@progbits,_ZN7rocprim17ROCPRIM_400000_NS6detail17trampoline_kernelINS0_14default_configENS1_27lower_bound_config_selectorIsN6thrust23THRUST_200600_302600_NS6detail10any_assignEEEZNS1_14transform_implILb0ES3_S9_NS7_15normal_iteratorINS6_10device_ptrIsEEEENS6_16discard_iteratorINS6_11use_defaultEEEZNS1_13binary_searchIS3_S9_SE_SE_SH_NS1_21lower_bound_search_opENS7_16wrapped_functionINS0_4lessIvEEbEEEE10hipError_tPvRmT1_T2_T3_mmT4_T5_P12ihipStream_tbEUlRKsE_EESO_SS_ST_mSU_SX_bEUlT_E_NS1_11comp_targetILNS1_3genE10ELNS1_11target_archE1200ELNS1_3gpuE4ELNS1_3repE0EEENS1_30default_config_static_selectorELNS0_4arch9wavefront6targetE1EEEvSR_,comdat
	.protected	_ZN7rocprim17ROCPRIM_400000_NS6detail17trampoline_kernelINS0_14default_configENS1_27lower_bound_config_selectorIsN6thrust23THRUST_200600_302600_NS6detail10any_assignEEEZNS1_14transform_implILb0ES3_S9_NS7_15normal_iteratorINS6_10device_ptrIsEEEENS6_16discard_iteratorINS6_11use_defaultEEEZNS1_13binary_searchIS3_S9_SE_SE_SH_NS1_21lower_bound_search_opENS7_16wrapped_functionINS0_4lessIvEEbEEEE10hipError_tPvRmT1_T2_T3_mmT4_T5_P12ihipStream_tbEUlRKsE_EESO_SS_ST_mSU_SX_bEUlT_E_NS1_11comp_targetILNS1_3genE10ELNS1_11target_archE1200ELNS1_3gpuE4ELNS1_3repE0EEENS1_30default_config_static_selectorELNS0_4arch9wavefront6targetE1EEEvSR_ ; -- Begin function _ZN7rocprim17ROCPRIM_400000_NS6detail17trampoline_kernelINS0_14default_configENS1_27lower_bound_config_selectorIsN6thrust23THRUST_200600_302600_NS6detail10any_assignEEEZNS1_14transform_implILb0ES3_S9_NS7_15normal_iteratorINS6_10device_ptrIsEEEENS6_16discard_iteratorINS6_11use_defaultEEEZNS1_13binary_searchIS3_S9_SE_SE_SH_NS1_21lower_bound_search_opENS7_16wrapped_functionINS0_4lessIvEEbEEEE10hipError_tPvRmT1_T2_T3_mmT4_T5_P12ihipStream_tbEUlRKsE_EESO_SS_ST_mSU_SX_bEUlT_E_NS1_11comp_targetILNS1_3genE10ELNS1_11target_archE1200ELNS1_3gpuE4ELNS1_3repE0EEENS1_30default_config_static_selectorELNS0_4arch9wavefront6targetE1EEEvSR_
	.globl	_ZN7rocprim17ROCPRIM_400000_NS6detail17trampoline_kernelINS0_14default_configENS1_27lower_bound_config_selectorIsN6thrust23THRUST_200600_302600_NS6detail10any_assignEEEZNS1_14transform_implILb0ES3_S9_NS7_15normal_iteratorINS6_10device_ptrIsEEEENS6_16discard_iteratorINS6_11use_defaultEEEZNS1_13binary_searchIS3_S9_SE_SE_SH_NS1_21lower_bound_search_opENS7_16wrapped_functionINS0_4lessIvEEbEEEE10hipError_tPvRmT1_T2_T3_mmT4_T5_P12ihipStream_tbEUlRKsE_EESO_SS_ST_mSU_SX_bEUlT_E_NS1_11comp_targetILNS1_3genE10ELNS1_11target_archE1200ELNS1_3gpuE4ELNS1_3repE0EEENS1_30default_config_static_selectorELNS0_4arch9wavefront6targetE1EEEvSR_
	.p2align	8
	.type	_ZN7rocprim17ROCPRIM_400000_NS6detail17trampoline_kernelINS0_14default_configENS1_27lower_bound_config_selectorIsN6thrust23THRUST_200600_302600_NS6detail10any_assignEEEZNS1_14transform_implILb0ES3_S9_NS7_15normal_iteratorINS6_10device_ptrIsEEEENS6_16discard_iteratorINS6_11use_defaultEEEZNS1_13binary_searchIS3_S9_SE_SE_SH_NS1_21lower_bound_search_opENS7_16wrapped_functionINS0_4lessIvEEbEEEE10hipError_tPvRmT1_T2_T3_mmT4_T5_P12ihipStream_tbEUlRKsE_EESO_SS_ST_mSU_SX_bEUlT_E_NS1_11comp_targetILNS1_3genE10ELNS1_11target_archE1200ELNS1_3gpuE4ELNS1_3repE0EEENS1_30default_config_static_selectorELNS0_4arch9wavefront6targetE1EEEvSR_,@function
_ZN7rocprim17ROCPRIM_400000_NS6detail17trampoline_kernelINS0_14default_configENS1_27lower_bound_config_selectorIsN6thrust23THRUST_200600_302600_NS6detail10any_assignEEEZNS1_14transform_implILb0ES3_S9_NS7_15normal_iteratorINS6_10device_ptrIsEEEENS6_16discard_iteratorINS6_11use_defaultEEEZNS1_13binary_searchIS3_S9_SE_SE_SH_NS1_21lower_bound_search_opENS7_16wrapped_functionINS0_4lessIvEEbEEEE10hipError_tPvRmT1_T2_T3_mmT4_T5_P12ihipStream_tbEUlRKsE_EESO_SS_ST_mSU_SX_bEUlT_E_NS1_11comp_targetILNS1_3genE10ELNS1_11target_archE1200ELNS1_3gpuE4ELNS1_3repE0EEENS1_30default_config_static_selectorELNS0_4arch9wavefront6targetE1EEEvSR_: ; @_ZN7rocprim17ROCPRIM_400000_NS6detail17trampoline_kernelINS0_14default_configENS1_27lower_bound_config_selectorIsN6thrust23THRUST_200600_302600_NS6detail10any_assignEEEZNS1_14transform_implILb0ES3_S9_NS7_15normal_iteratorINS6_10device_ptrIsEEEENS6_16discard_iteratorINS6_11use_defaultEEEZNS1_13binary_searchIS3_S9_SE_SE_SH_NS1_21lower_bound_search_opENS7_16wrapped_functionINS0_4lessIvEEbEEEE10hipError_tPvRmT1_T2_T3_mmT4_T5_P12ihipStream_tbEUlRKsE_EESO_SS_ST_mSU_SX_bEUlT_E_NS1_11comp_targetILNS1_3genE10ELNS1_11target_archE1200ELNS1_3gpuE4ELNS1_3repE0EEENS1_30default_config_static_selectorELNS0_4arch9wavefront6targetE1EEEvSR_
; %bb.0:
	.section	.rodata,"a",@progbits
	.p2align	6, 0x0
	.amdhsa_kernel _ZN7rocprim17ROCPRIM_400000_NS6detail17trampoline_kernelINS0_14default_configENS1_27lower_bound_config_selectorIsN6thrust23THRUST_200600_302600_NS6detail10any_assignEEEZNS1_14transform_implILb0ES3_S9_NS7_15normal_iteratorINS6_10device_ptrIsEEEENS6_16discard_iteratorINS6_11use_defaultEEEZNS1_13binary_searchIS3_S9_SE_SE_SH_NS1_21lower_bound_search_opENS7_16wrapped_functionINS0_4lessIvEEbEEEE10hipError_tPvRmT1_T2_T3_mmT4_T5_P12ihipStream_tbEUlRKsE_EESO_SS_ST_mSU_SX_bEUlT_E_NS1_11comp_targetILNS1_3genE10ELNS1_11target_archE1200ELNS1_3gpuE4ELNS1_3repE0EEENS1_30default_config_static_selectorELNS0_4arch9wavefront6targetE1EEEvSR_
		.amdhsa_group_segment_fixed_size 0
		.amdhsa_private_segment_fixed_size 0
		.amdhsa_kernarg_size 64
		.amdhsa_user_sgpr_count 6
		.amdhsa_user_sgpr_private_segment_buffer 1
		.amdhsa_user_sgpr_dispatch_ptr 0
		.amdhsa_user_sgpr_queue_ptr 0
		.amdhsa_user_sgpr_kernarg_segment_ptr 1
		.amdhsa_user_sgpr_dispatch_id 0
		.amdhsa_user_sgpr_flat_scratch_init 0
		.amdhsa_user_sgpr_kernarg_preload_length 0
		.amdhsa_user_sgpr_kernarg_preload_offset 0
		.amdhsa_user_sgpr_private_segment_size 0
		.amdhsa_uses_dynamic_stack 0
		.amdhsa_system_sgpr_private_segment_wavefront_offset 0
		.amdhsa_system_sgpr_workgroup_id_x 1
		.amdhsa_system_sgpr_workgroup_id_y 0
		.amdhsa_system_sgpr_workgroup_id_z 0
		.amdhsa_system_sgpr_workgroup_info 0
		.amdhsa_system_vgpr_workitem_id 0
		.amdhsa_next_free_vgpr 1
		.amdhsa_next_free_sgpr 0
		.amdhsa_accum_offset 4
		.amdhsa_reserve_vcc 0
		.amdhsa_reserve_flat_scratch 0
		.amdhsa_float_round_mode_32 0
		.amdhsa_float_round_mode_16_64 0
		.amdhsa_float_denorm_mode_32 3
		.amdhsa_float_denorm_mode_16_64 3
		.amdhsa_dx10_clamp 1
		.amdhsa_ieee_mode 1
		.amdhsa_fp16_overflow 0
		.amdhsa_tg_split 0
		.amdhsa_exception_fp_ieee_invalid_op 0
		.amdhsa_exception_fp_denorm_src 0
		.amdhsa_exception_fp_ieee_div_zero 0
		.amdhsa_exception_fp_ieee_overflow 0
		.amdhsa_exception_fp_ieee_underflow 0
		.amdhsa_exception_fp_ieee_inexact 0
		.amdhsa_exception_int_div_zero 0
	.end_amdhsa_kernel
	.section	.text._ZN7rocprim17ROCPRIM_400000_NS6detail17trampoline_kernelINS0_14default_configENS1_27lower_bound_config_selectorIsN6thrust23THRUST_200600_302600_NS6detail10any_assignEEEZNS1_14transform_implILb0ES3_S9_NS7_15normal_iteratorINS6_10device_ptrIsEEEENS6_16discard_iteratorINS6_11use_defaultEEEZNS1_13binary_searchIS3_S9_SE_SE_SH_NS1_21lower_bound_search_opENS7_16wrapped_functionINS0_4lessIvEEbEEEE10hipError_tPvRmT1_T2_T3_mmT4_T5_P12ihipStream_tbEUlRKsE_EESO_SS_ST_mSU_SX_bEUlT_E_NS1_11comp_targetILNS1_3genE10ELNS1_11target_archE1200ELNS1_3gpuE4ELNS1_3repE0EEENS1_30default_config_static_selectorELNS0_4arch9wavefront6targetE1EEEvSR_,"axG",@progbits,_ZN7rocprim17ROCPRIM_400000_NS6detail17trampoline_kernelINS0_14default_configENS1_27lower_bound_config_selectorIsN6thrust23THRUST_200600_302600_NS6detail10any_assignEEEZNS1_14transform_implILb0ES3_S9_NS7_15normal_iteratorINS6_10device_ptrIsEEEENS6_16discard_iteratorINS6_11use_defaultEEEZNS1_13binary_searchIS3_S9_SE_SE_SH_NS1_21lower_bound_search_opENS7_16wrapped_functionINS0_4lessIvEEbEEEE10hipError_tPvRmT1_T2_T3_mmT4_T5_P12ihipStream_tbEUlRKsE_EESO_SS_ST_mSU_SX_bEUlT_E_NS1_11comp_targetILNS1_3genE10ELNS1_11target_archE1200ELNS1_3gpuE4ELNS1_3repE0EEENS1_30default_config_static_selectorELNS0_4arch9wavefront6targetE1EEEvSR_,comdat
.Lfunc_end570:
	.size	_ZN7rocprim17ROCPRIM_400000_NS6detail17trampoline_kernelINS0_14default_configENS1_27lower_bound_config_selectorIsN6thrust23THRUST_200600_302600_NS6detail10any_assignEEEZNS1_14transform_implILb0ES3_S9_NS7_15normal_iteratorINS6_10device_ptrIsEEEENS6_16discard_iteratorINS6_11use_defaultEEEZNS1_13binary_searchIS3_S9_SE_SE_SH_NS1_21lower_bound_search_opENS7_16wrapped_functionINS0_4lessIvEEbEEEE10hipError_tPvRmT1_T2_T3_mmT4_T5_P12ihipStream_tbEUlRKsE_EESO_SS_ST_mSU_SX_bEUlT_E_NS1_11comp_targetILNS1_3genE10ELNS1_11target_archE1200ELNS1_3gpuE4ELNS1_3repE0EEENS1_30default_config_static_selectorELNS0_4arch9wavefront6targetE1EEEvSR_, .Lfunc_end570-_ZN7rocprim17ROCPRIM_400000_NS6detail17trampoline_kernelINS0_14default_configENS1_27lower_bound_config_selectorIsN6thrust23THRUST_200600_302600_NS6detail10any_assignEEEZNS1_14transform_implILb0ES3_S9_NS7_15normal_iteratorINS6_10device_ptrIsEEEENS6_16discard_iteratorINS6_11use_defaultEEEZNS1_13binary_searchIS3_S9_SE_SE_SH_NS1_21lower_bound_search_opENS7_16wrapped_functionINS0_4lessIvEEbEEEE10hipError_tPvRmT1_T2_T3_mmT4_T5_P12ihipStream_tbEUlRKsE_EESO_SS_ST_mSU_SX_bEUlT_E_NS1_11comp_targetILNS1_3genE10ELNS1_11target_archE1200ELNS1_3gpuE4ELNS1_3repE0EEENS1_30default_config_static_selectorELNS0_4arch9wavefront6targetE1EEEvSR_
                                        ; -- End function
	.section	.AMDGPU.csdata,"",@progbits
; Kernel info:
; codeLenInByte = 0
; NumSgprs: 4
; NumVgprs: 0
; NumAgprs: 0
; TotalNumVgprs: 0
; ScratchSize: 0
; MemoryBound: 0
; FloatMode: 240
; IeeeMode: 1
; LDSByteSize: 0 bytes/workgroup (compile time only)
; SGPRBlocks: 0
; VGPRBlocks: 0
; NumSGPRsForWavesPerEU: 4
; NumVGPRsForWavesPerEU: 1
; AccumOffset: 4
; Occupancy: 8
; WaveLimiterHint : 0
; COMPUTE_PGM_RSRC2:SCRATCH_EN: 0
; COMPUTE_PGM_RSRC2:USER_SGPR: 6
; COMPUTE_PGM_RSRC2:TRAP_HANDLER: 0
; COMPUTE_PGM_RSRC2:TGID_X_EN: 1
; COMPUTE_PGM_RSRC2:TGID_Y_EN: 0
; COMPUTE_PGM_RSRC2:TGID_Z_EN: 0
; COMPUTE_PGM_RSRC2:TIDIG_COMP_CNT: 0
; COMPUTE_PGM_RSRC3_GFX90A:ACCUM_OFFSET: 0
; COMPUTE_PGM_RSRC3_GFX90A:TG_SPLIT: 0
	.section	.text._ZN7rocprim17ROCPRIM_400000_NS6detail17trampoline_kernelINS0_14default_configENS1_27lower_bound_config_selectorIsN6thrust23THRUST_200600_302600_NS6detail10any_assignEEEZNS1_14transform_implILb0ES3_S9_NS7_15normal_iteratorINS6_10device_ptrIsEEEENS6_16discard_iteratorINS6_11use_defaultEEEZNS1_13binary_searchIS3_S9_SE_SE_SH_NS1_21lower_bound_search_opENS7_16wrapped_functionINS0_4lessIvEEbEEEE10hipError_tPvRmT1_T2_T3_mmT4_T5_P12ihipStream_tbEUlRKsE_EESO_SS_ST_mSU_SX_bEUlT_E_NS1_11comp_targetILNS1_3genE9ELNS1_11target_archE1100ELNS1_3gpuE3ELNS1_3repE0EEENS1_30default_config_static_selectorELNS0_4arch9wavefront6targetE1EEEvSR_,"axG",@progbits,_ZN7rocprim17ROCPRIM_400000_NS6detail17trampoline_kernelINS0_14default_configENS1_27lower_bound_config_selectorIsN6thrust23THRUST_200600_302600_NS6detail10any_assignEEEZNS1_14transform_implILb0ES3_S9_NS7_15normal_iteratorINS6_10device_ptrIsEEEENS6_16discard_iteratorINS6_11use_defaultEEEZNS1_13binary_searchIS3_S9_SE_SE_SH_NS1_21lower_bound_search_opENS7_16wrapped_functionINS0_4lessIvEEbEEEE10hipError_tPvRmT1_T2_T3_mmT4_T5_P12ihipStream_tbEUlRKsE_EESO_SS_ST_mSU_SX_bEUlT_E_NS1_11comp_targetILNS1_3genE9ELNS1_11target_archE1100ELNS1_3gpuE3ELNS1_3repE0EEENS1_30default_config_static_selectorELNS0_4arch9wavefront6targetE1EEEvSR_,comdat
	.protected	_ZN7rocprim17ROCPRIM_400000_NS6detail17trampoline_kernelINS0_14default_configENS1_27lower_bound_config_selectorIsN6thrust23THRUST_200600_302600_NS6detail10any_assignEEEZNS1_14transform_implILb0ES3_S9_NS7_15normal_iteratorINS6_10device_ptrIsEEEENS6_16discard_iteratorINS6_11use_defaultEEEZNS1_13binary_searchIS3_S9_SE_SE_SH_NS1_21lower_bound_search_opENS7_16wrapped_functionINS0_4lessIvEEbEEEE10hipError_tPvRmT1_T2_T3_mmT4_T5_P12ihipStream_tbEUlRKsE_EESO_SS_ST_mSU_SX_bEUlT_E_NS1_11comp_targetILNS1_3genE9ELNS1_11target_archE1100ELNS1_3gpuE3ELNS1_3repE0EEENS1_30default_config_static_selectorELNS0_4arch9wavefront6targetE1EEEvSR_ ; -- Begin function _ZN7rocprim17ROCPRIM_400000_NS6detail17trampoline_kernelINS0_14default_configENS1_27lower_bound_config_selectorIsN6thrust23THRUST_200600_302600_NS6detail10any_assignEEEZNS1_14transform_implILb0ES3_S9_NS7_15normal_iteratorINS6_10device_ptrIsEEEENS6_16discard_iteratorINS6_11use_defaultEEEZNS1_13binary_searchIS3_S9_SE_SE_SH_NS1_21lower_bound_search_opENS7_16wrapped_functionINS0_4lessIvEEbEEEE10hipError_tPvRmT1_T2_T3_mmT4_T5_P12ihipStream_tbEUlRKsE_EESO_SS_ST_mSU_SX_bEUlT_E_NS1_11comp_targetILNS1_3genE9ELNS1_11target_archE1100ELNS1_3gpuE3ELNS1_3repE0EEENS1_30default_config_static_selectorELNS0_4arch9wavefront6targetE1EEEvSR_
	.globl	_ZN7rocprim17ROCPRIM_400000_NS6detail17trampoline_kernelINS0_14default_configENS1_27lower_bound_config_selectorIsN6thrust23THRUST_200600_302600_NS6detail10any_assignEEEZNS1_14transform_implILb0ES3_S9_NS7_15normal_iteratorINS6_10device_ptrIsEEEENS6_16discard_iteratorINS6_11use_defaultEEEZNS1_13binary_searchIS3_S9_SE_SE_SH_NS1_21lower_bound_search_opENS7_16wrapped_functionINS0_4lessIvEEbEEEE10hipError_tPvRmT1_T2_T3_mmT4_T5_P12ihipStream_tbEUlRKsE_EESO_SS_ST_mSU_SX_bEUlT_E_NS1_11comp_targetILNS1_3genE9ELNS1_11target_archE1100ELNS1_3gpuE3ELNS1_3repE0EEENS1_30default_config_static_selectorELNS0_4arch9wavefront6targetE1EEEvSR_
	.p2align	8
	.type	_ZN7rocprim17ROCPRIM_400000_NS6detail17trampoline_kernelINS0_14default_configENS1_27lower_bound_config_selectorIsN6thrust23THRUST_200600_302600_NS6detail10any_assignEEEZNS1_14transform_implILb0ES3_S9_NS7_15normal_iteratorINS6_10device_ptrIsEEEENS6_16discard_iteratorINS6_11use_defaultEEEZNS1_13binary_searchIS3_S9_SE_SE_SH_NS1_21lower_bound_search_opENS7_16wrapped_functionINS0_4lessIvEEbEEEE10hipError_tPvRmT1_T2_T3_mmT4_T5_P12ihipStream_tbEUlRKsE_EESO_SS_ST_mSU_SX_bEUlT_E_NS1_11comp_targetILNS1_3genE9ELNS1_11target_archE1100ELNS1_3gpuE3ELNS1_3repE0EEENS1_30default_config_static_selectorELNS0_4arch9wavefront6targetE1EEEvSR_,@function
_ZN7rocprim17ROCPRIM_400000_NS6detail17trampoline_kernelINS0_14default_configENS1_27lower_bound_config_selectorIsN6thrust23THRUST_200600_302600_NS6detail10any_assignEEEZNS1_14transform_implILb0ES3_S9_NS7_15normal_iteratorINS6_10device_ptrIsEEEENS6_16discard_iteratorINS6_11use_defaultEEEZNS1_13binary_searchIS3_S9_SE_SE_SH_NS1_21lower_bound_search_opENS7_16wrapped_functionINS0_4lessIvEEbEEEE10hipError_tPvRmT1_T2_T3_mmT4_T5_P12ihipStream_tbEUlRKsE_EESO_SS_ST_mSU_SX_bEUlT_E_NS1_11comp_targetILNS1_3genE9ELNS1_11target_archE1100ELNS1_3gpuE3ELNS1_3repE0EEENS1_30default_config_static_selectorELNS0_4arch9wavefront6targetE1EEEvSR_: ; @_ZN7rocprim17ROCPRIM_400000_NS6detail17trampoline_kernelINS0_14default_configENS1_27lower_bound_config_selectorIsN6thrust23THRUST_200600_302600_NS6detail10any_assignEEEZNS1_14transform_implILb0ES3_S9_NS7_15normal_iteratorINS6_10device_ptrIsEEEENS6_16discard_iteratorINS6_11use_defaultEEEZNS1_13binary_searchIS3_S9_SE_SE_SH_NS1_21lower_bound_search_opENS7_16wrapped_functionINS0_4lessIvEEbEEEE10hipError_tPvRmT1_T2_T3_mmT4_T5_P12ihipStream_tbEUlRKsE_EESO_SS_ST_mSU_SX_bEUlT_E_NS1_11comp_targetILNS1_3genE9ELNS1_11target_archE1100ELNS1_3gpuE3ELNS1_3repE0EEENS1_30default_config_static_selectorELNS0_4arch9wavefront6targetE1EEEvSR_
; %bb.0:
	.section	.rodata,"a",@progbits
	.p2align	6, 0x0
	.amdhsa_kernel _ZN7rocprim17ROCPRIM_400000_NS6detail17trampoline_kernelINS0_14default_configENS1_27lower_bound_config_selectorIsN6thrust23THRUST_200600_302600_NS6detail10any_assignEEEZNS1_14transform_implILb0ES3_S9_NS7_15normal_iteratorINS6_10device_ptrIsEEEENS6_16discard_iteratorINS6_11use_defaultEEEZNS1_13binary_searchIS3_S9_SE_SE_SH_NS1_21lower_bound_search_opENS7_16wrapped_functionINS0_4lessIvEEbEEEE10hipError_tPvRmT1_T2_T3_mmT4_T5_P12ihipStream_tbEUlRKsE_EESO_SS_ST_mSU_SX_bEUlT_E_NS1_11comp_targetILNS1_3genE9ELNS1_11target_archE1100ELNS1_3gpuE3ELNS1_3repE0EEENS1_30default_config_static_selectorELNS0_4arch9wavefront6targetE1EEEvSR_
		.amdhsa_group_segment_fixed_size 0
		.amdhsa_private_segment_fixed_size 0
		.amdhsa_kernarg_size 64
		.amdhsa_user_sgpr_count 6
		.amdhsa_user_sgpr_private_segment_buffer 1
		.amdhsa_user_sgpr_dispatch_ptr 0
		.amdhsa_user_sgpr_queue_ptr 0
		.amdhsa_user_sgpr_kernarg_segment_ptr 1
		.amdhsa_user_sgpr_dispatch_id 0
		.amdhsa_user_sgpr_flat_scratch_init 0
		.amdhsa_user_sgpr_kernarg_preload_length 0
		.amdhsa_user_sgpr_kernarg_preload_offset 0
		.amdhsa_user_sgpr_private_segment_size 0
		.amdhsa_uses_dynamic_stack 0
		.amdhsa_system_sgpr_private_segment_wavefront_offset 0
		.amdhsa_system_sgpr_workgroup_id_x 1
		.amdhsa_system_sgpr_workgroup_id_y 0
		.amdhsa_system_sgpr_workgroup_id_z 0
		.amdhsa_system_sgpr_workgroup_info 0
		.amdhsa_system_vgpr_workitem_id 0
		.amdhsa_next_free_vgpr 1
		.amdhsa_next_free_sgpr 0
		.amdhsa_accum_offset 4
		.amdhsa_reserve_vcc 0
		.amdhsa_reserve_flat_scratch 0
		.amdhsa_float_round_mode_32 0
		.amdhsa_float_round_mode_16_64 0
		.amdhsa_float_denorm_mode_32 3
		.amdhsa_float_denorm_mode_16_64 3
		.amdhsa_dx10_clamp 1
		.amdhsa_ieee_mode 1
		.amdhsa_fp16_overflow 0
		.amdhsa_tg_split 0
		.amdhsa_exception_fp_ieee_invalid_op 0
		.amdhsa_exception_fp_denorm_src 0
		.amdhsa_exception_fp_ieee_div_zero 0
		.amdhsa_exception_fp_ieee_overflow 0
		.amdhsa_exception_fp_ieee_underflow 0
		.amdhsa_exception_fp_ieee_inexact 0
		.amdhsa_exception_int_div_zero 0
	.end_amdhsa_kernel
	.section	.text._ZN7rocprim17ROCPRIM_400000_NS6detail17trampoline_kernelINS0_14default_configENS1_27lower_bound_config_selectorIsN6thrust23THRUST_200600_302600_NS6detail10any_assignEEEZNS1_14transform_implILb0ES3_S9_NS7_15normal_iteratorINS6_10device_ptrIsEEEENS6_16discard_iteratorINS6_11use_defaultEEEZNS1_13binary_searchIS3_S9_SE_SE_SH_NS1_21lower_bound_search_opENS7_16wrapped_functionINS0_4lessIvEEbEEEE10hipError_tPvRmT1_T2_T3_mmT4_T5_P12ihipStream_tbEUlRKsE_EESO_SS_ST_mSU_SX_bEUlT_E_NS1_11comp_targetILNS1_3genE9ELNS1_11target_archE1100ELNS1_3gpuE3ELNS1_3repE0EEENS1_30default_config_static_selectorELNS0_4arch9wavefront6targetE1EEEvSR_,"axG",@progbits,_ZN7rocprim17ROCPRIM_400000_NS6detail17trampoline_kernelINS0_14default_configENS1_27lower_bound_config_selectorIsN6thrust23THRUST_200600_302600_NS6detail10any_assignEEEZNS1_14transform_implILb0ES3_S9_NS7_15normal_iteratorINS6_10device_ptrIsEEEENS6_16discard_iteratorINS6_11use_defaultEEEZNS1_13binary_searchIS3_S9_SE_SE_SH_NS1_21lower_bound_search_opENS7_16wrapped_functionINS0_4lessIvEEbEEEE10hipError_tPvRmT1_T2_T3_mmT4_T5_P12ihipStream_tbEUlRKsE_EESO_SS_ST_mSU_SX_bEUlT_E_NS1_11comp_targetILNS1_3genE9ELNS1_11target_archE1100ELNS1_3gpuE3ELNS1_3repE0EEENS1_30default_config_static_selectorELNS0_4arch9wavefront6targetE1EEEvSR_,comdat
.Lfunc_end571:
	.size	_ZN7rocprim17ROCPRIM_400000_NS6detail17trampoline_kernelINS0_14default_configENS1_27lower_bound_config_selectorIsN6thrust23THRUST_200600_302600_NS6detail10any_assignEEEZNS1_14transform_implILb0ES3_S9_NS7_15normal_iteratorINS6_10device_ptrIsEEEENS6_16discard_iteratorINS6_11use_defaultEEEZNS1_13binary_searchIS3_S9_SE_SE_SH_NS1_21lower_bound_search_opENS7_16wrapped_functionINS0_4lessIvEEbEEEE10hipError_tPvRmT1_T2_T3_mmT4_T5_P12ihipStream_tbEUlRKsE_EESO_SS_ST_mSU_SX_bEUlT_E_NS1_11comp_targetILNS1_3genE9ELNS1_11target_archE1100ELNS1_3gpuE3ELNS1_3repE0EEENS1_30default_config_static_selectorELNS0_4arch9wavefront6targetE1EEEvSR_, .Lfunc_end571-_ZN7rocprim17ROCPRIM_400000_NS6detail17trampoline_kernelINS0_14default_configENS1_27lower_bound_config_selectorIsN6thrust23THRUST_200600_302600_NS6detail10any_assignEEEZNS1_14transform_implILb0ES3_S9_NS7_15normal_iteratorINS6_10device_ptrIsEEEENS6_16discard_iteratorINS6_11use_defaultEEEZNS1_13binary_searchIS3_S9_SE_SE_SH_NS1_21lower_bound_search_opENS7_16wrapped_functionINS0_4lessIvEEbEEEE10hipError_tPvRmT1_T2_T3_mmT4_T5_P12ihipStream_tbEUlRKsE_EESO_SS_ST_mSU_SX_bEUlT_E_NS1_11comp_targetILNS1_3genE9ELNS1_11target_archE1100ELNS1_3gpuE3ELNS1_3repE0EEENS1_30default_config_static_selectorELNS0_4arch9wavefront6targetE1EEEvSR_
                                        ; -- End function
	.section	.AMDGPU.csdata,"",@progbits
; Kernel info:
; codeLenInByte = 0
; NumSgprs: 4
; NumVgprs: 0
; NumAgprs: 0
; TotalNumVgprs: 0
; ScratchSize: 0
; MemoryBound: 0
; FloatMode: 240
; IeeeMode: 1
; LDSByteSize: 0 bytes/workgroup (compile time only)
; SGPRBlocks: 0
; VGPRBlocks: 0
; NumSGPRsForWavesPerEU: 4
; NumVGPRsForWavesPerEU: 1
; AccumOffset: 4
; Occupancy: 8
; WaveLimiterHint : 0
; COMPUTE_PGM_RSRC2:SCRATCH_EN: 0
; COMPUTE_PGM_RSRC2:USER_SGPR: 6
; COMPUTE_PGM_RSRC2:TRAP_HANDLER: 0
; COMPUTE_PGM_RSRC2:TGID_X_EN: 1
; COMPUTE_PGM_RSRC2:TGID_Y_EN: 0
; COMPUTE_PGM_RSRC2:TGID_Z_EN: 0
; COMPUTE_PGM_RSRC2:TIDIG_COMP_CNT: 0
; COMPUTE_PGM_RSRC3_GFX90A:ACCUM_OFFSET: 0
; COMPUTE_PGM_RSRC3_GFX90A:TG_SPLIT: 0
	.section	.text._ZN7rocprim17ROCPRIM_400000_NS6detail17trampoline_kernelINS0_14default_configENS1_27lower_bound_config_selectorIsN6thrust23THRUST_200600_302600_NS6detail10any_assignEEEZNS1_14transform_implILb0ES3_S9_NS7_15normal_iteratorINS6_10device_ptrIsEEEENS6_16discard_iteratorINS6_11use_defaultEEEZNS1_13binary_searchIS3_S9_SE_SE_SH_NS1_21lower_bound_search_opENS7_16wrapped_functionINS0_4lessIvEEbEEEE10hipError_tPvRmT1_T2_T3_mmT4_T5_P12ihipStream_tbEUlRKsE_EESO_SS_ST_mSU_SX_bEUlT_E_NS1_11comp_targetILNS1_3genE8ELNS1_11target_archE1030ELNS1_3gpuE2ELNS1_3repE0EEENS1_30default_config_static_selectorELNS0_4arch9wavefront6targetE1EEEvSR_,"axG",@progbits,_ZN7rocprim17ROCPRIM_400000_NS6detail17trampoline_kernelINS0_14default_configENS1_27lower_bound_config_selectorIsN6thrust23THRUST_200600_302600_NS6detail10any_assignEEEZNS1_14transform_implILb0ES3_S9_NS7_15normal_iteratorINS6_10device_ptrIsEEEENS6_16discard_iteratorINS6_11use_defaultEEEZNS1_13binary_searchIS3_S9_SE_SE_SH_NS1_21lower_bound_search_opENS7_16wrapped_functionINS0_4lessIvEEbEEEE10hipError_tPvRmT1_T2_T3_mmT4_T5_P12ihipStream_tbEUlRKsE_EESO_SS_ST_mSU_SX_bEUlT_E_NS1_11comp_targetILNS1_3genE8ELNS1_11target_archE1030ELNS1_3gpuE2ELNS1_3repE0EEENS1_30default_config_static_selectorELNS0_4arch9wavefront6targetE1EEEvSR_,comdat
	.protected	_ZN7rocprim17ROCPRIM_400000_NS6detail17trampoline_kernelINS0_14default_configENS1_27lower_bound_config_selectorIsN6thrust23THRUST_200600_302600_NS6detail10any_assignEEEZNS1_14transform_implILb0ES3_S9_NS7_15normal_iteratorINS6_10device_ptrIsEEEENS6_16discard_iteratorINS6_11use_defaultEEEZNS1_13binary_searchIS3_S9_SE_SE_SH_NS1_21lower_bound_search_opENS7_16wrapped_functionINS0_4lessIvEEbEEEE10hipError_tPvRmT1_T2_T3_mmT4_T5_P12ihipStream_tbEUlRKsE_EESO_SS_ST_mSU_SX_bEUlT_E_NS1_11comp_targetILNS1_3genE8ELNS1_11target_archE1030ELNS1_3gpuE2ELNS1_3repE0EEENS1_30default_config_static_selectorELNS0_4arch9wavefront6targetE1EEEvSR_ ; -- Begin function _ZN7rocprim17ROCPRIM_400000_NS6detail17trampoline_kernelINS0_14default_configENS1_27lower_bound_config_selectorIsN6thrust23THRUST_200600_302600_NS6detail10any_assignEEEZNS1_14transform_implILb0ES3_S9_NS7_15normal_iteratorINS6_10device_ptrIsEEEENS6_16discard_iteratorINS6_11use_defaultEEEZNS1_13binary_searchIS3_S9_SE_SE_SH_NS1_21lower_bound_search_opENS7_16wrapped_functionINS0_4lessIvEEbEEEE10hipError_tPvRmT1_T2_T3_mmT4_T5_P12ihipStream_tbEUlRKsE_EESO_SS_ST_mSU_SX_bEUlT_E_NS1_11comp_targetILNS1_3genE8ELNS1_11target_archE1030ELNS1_3gpuE2ELNS1_3repE0EEENS1_30default_config_static_selectorELNS0_4arch9wavefront6targetE1EEEvSR_
	.globl	_ZN7rocprim17ROCPRIM_400000_NS6detail17trampoline_kernelINS0_14default_configENS1_27lower_bound_config_selectorIsN6thrust23THRUST_200600_302600_NS6detail10any_assignEEEZNS1_14transform_implILb0ES3_S9_NS7_15normal_iteratorINS6_10device_ptrIsEEEENS6_16discard_iteratorINS6_11use_defaultEEEZNS1_13binary_searchIS3_S9_SE_SE_SH_NS1_21lower_bound_search_opENS7_16wrapped_functionINS0_4lessIvEEbEEEE10hipError_tPvRmT1_T2_T3_mmT4_T5_P12ihipStream_tbEUlRKsE_EESO_SS_ST_mSU_SX_bEUlT_E_NS1_11comp_targetILNS1_3genE8ELNS1_11target_archE1030ELNS1_3gpuE2ELNS1_3repE0EEENS1_30default_config_static_selectorELNS0_4arch9wavefront6targetE1EEEvSR_
	.p2align	8
	.type	_ZN7rocprim17ROCPRIM_400000_NS6detail17trampoline_kernelINS0_14default_configENS1_27lower_bound_config_selectorIsN6thrust23THRUST_200600_302600_NS6detail10any_assignEEEZNS1_14transform_implILb0ES3_S9_NS7_15normal_iteratorINS6_10device_ptrIsEEEENS6_16discard_iteratorINS6_11use_defaultEEEZNS1_13binary_searchIS3_S9_SE_SE_SH_NS1_21lower_bound_search_opENS7_16wrapped_functionINS0_4lessIvEEbEEEE10hipError_tPvRmT1_T2_T3_mmT4_T5_P12ihipStream_tbEUlRKsE_EESO_SS_ST_mSU_SX_bEUlT_E_NS1_11comp_targetILNS1_3genE8ELNS1_11target_archE1030ELNS1_3gpuE2ELNS1_3repE0EEENS1_30default_config_static_selectorELNS0_4arch9wavefront6targetE1EEEvSR_,@function
_ZN7rocprim17ROCPRIM_400000_NS6detail17trampoline_kernelINS0_14default_configENS1_27lower_bound_config_selectorIsN6thrust23THRUST_200600_302600_NS6detail10any_assignEEEZNS1_14transform_implILb0ES3_S9_NS7_15normal_iteratorINS6_10device_ptrIsEEEENS6_16discard_iteratorINS6_11use_defaultEEEZNS1_13binary_searchIS3_S9_SE_SE_SH_NS1_21lower_bound_search_opENS7_16wrapped_functionINS0_4lessIvEEbEEEE10hipError_tPvRmT1_T2_T3_mmT4_T5_P12ihipStream_tbEUlRKsE_EESO_SS_ST_mSU_SX_bEUlT_E_NS1_11comp_targetILNS1_3genE8ELNS1_11target_archE1030ELNS1_3gpuE2ELNS1_3repE0EEENS1_30default_config_static_selectorELNS0_4arch9wavefront6targetE1EEEvSR_: ; @_ZN7rocprim17ROCPRIM_400000_NS6detail17trampoline_kernelINS0_14default_configENS1_27lower_bound_config_selectorIsN6thrust23THRUST_200600_302600_NS6detail10any_assignEEEZNS1_14transform_implILb0ES3_S9_NS7_15normal_iteratorINS6_10device_ptrIsEEEENS6_16discard_iteratorINS6_11use_defaultEEEZNS1_13binary_searchIS3_S9_SE_SE_SH_NS1_21lower_bound_search_opENS7_16wrapped_functionINS0_4lessIvEEbEEEE10hipError_tPvRmT1_T2_T3_mmT4_T5_P12ihipStream_tbEUlRKsE_EESO_SS_ST_mSU_SX_bEUlT_E_NS1_11comp_targetILNS1_3genE8ELNS1_11target_archE1030ELNS1_3gpuE2ELNS1_3repE0EEENS1_30default_config_static_selectorELNS0_4arch9wavefront6targetE1EEEvSR_
; %bb.0:
	.section	.rodata,"a",@progbits
	.p2align	6, 0x0
	.amdhsa_kernel _ZN7rocprim17ROCPRIM_400000_NS6detail17trampoline_kernelINS0_14default_configENS1_27lower_bound_config_selectorIsN6thrust23THRUST_200600_302600_NS6detail10any_assignEEEZNS1_14transform_implILb0ES3_S9_NS7_15normal_iteratorINS6_10device_ptrIsEEEENS6_16discard_iteratorINS6_11use_defaultEEEZNS1_13binary_searchIS3_S9_SE_SE_SH_NS1_21lower_bound_search_opENS7_16wrapped_functionINS0_4lessIvEEbEEEE10hipError_tPvRmT1_T2_T3_mmT4_T5_P12ihipStream_tbEUlRKsE_EESO_SS_ST_mSU_SX_bEUlT_E_NS1_11comp_targetILNS1_3genE8ELNS1_11target_archE1030ELNS1_3gpuE2ELNS1_3repE0EEENS1_30default_config_static_selectorELNS0_4arch9wavefront6targetE1EEEvSR_
		.amdhsa_group_segment_fixed_size 0
		.amdhsa_private_segment_fixed_size 0
		.amdhsa_kernarg_size 64
		.amdhsa_user_sgpr_count 6
		.amdhsa_user_sgpr_private_segment_buffer 1
		.amdhsa_user_sgpr_dispatch_ptr 0
		.amdhsa_user_sgpr_queue_ptr 0
		.amdhsa_user_sgpr_kernarg_segment_ptr 1
		.amdhsa_user_sgpr_dispatch_id 0
		.amdhsa_user_sgpr_flat_scratch_init 0
		.amdhsa_user_sgpr_kernarg_preload_length 0
		.amdhsa_user_sgpr_kernarg_preload_offset 0
		.amdhsa_user_sgpr_private_segment_size 0
		.amdhsa_uses_dynamic_stack 0
		.amdhsa_system_sgpr_private_segment_wavefront_offset 0
		.amdhsa_system_sgpr_workgroup_id_x 1
		.amdhsa_system_sgpr_workgroup_id_y 0
		.amdhsa_system_sgpr_workgroup_id_z 0
		.amdhsa_system_sgpr_workgroup_info 0
		.amdhsa_system_vgpr_workitem_id 0
		.amdhsa_next_free_vgpr 1
		.amdhsa_next_free_sgpr 0
		.amdhsa_accum_offset 4
		.amdhsa_reserve_vcc 0
		.amdhsa_reserve_flat_scratch 0
		.amdhsa_float_round_mode_32 0
		.amdhsa_float_round_mode_16_64 0
		.amdhsa_float_denorm_mode_32 3
		.amdhsa_float_denorm_mode_16_64 3
		.amdhsa_dx10_clamp 1
		.amdhsa_ieee_mode 1
		.amdhsa_fp16_overflow 0
		.amdhsa_tg_split 0
		.amdhsa_exception_fp_ieee_invalid_op 0
		.amdhsa_exception_fp_denorm_src 0
		.amdhsa_exception_fp_ieee_div_zero 0
		.amdhsa_exception_fp_ieee_overflow 0
		.amdhsa_exception_fp_ieee_underflow 0
		.amdhsa_exception_fp_ieee_inexact 0
		.amdhsa_exception_int_div_zero 0
	.end_amdhsa_kernel
	.section	.text._ZN7rocprim17ROCPRIM_400000_NS6detail17trampoline_kernelINS0_14default_configENS1_27lower_bound_config_selectorIsN6thrust23THRUST_200600_302600_NS6detail10any_assignEEEZNS1_14transform_implILb0ES3_S9_NS7_15normal_iteratorINS6_10device_ptrIsEEEENS6_16discard_iteratorINS6_11use_defaultEEEZNS1_13binary_searchIS3_S9_SE_SE_SH_NS1_21lower_bound_search_opENS7_16wrapped_functionINS0_4lessIvEEbEEEE10hipError_tPvRmT1_T2_T3_mmT4_T5_P12ihipStream_tbEUlRKsE_EESO_SS_ST_mSU_SX_bEUlT_E_NS1_11comp_targetILNS1_3genE8ELNS1_11target_archE1030ELNS1_3gpuE2ELNS1_3repE0EEENS1_30default_config_static_selectorELNS0_4arch9wavefront6targetE1EEEvSR_,"axG",@progbits,_ZN7rocprim17ROCPRIM_400000_NS6detail17trampoline_kernelINS0_14default_configENS1_27lower_bound_config_selectorIsN6thrust23THRUST_200600_302600_NS6detail10any_assignEEEZNS1_14transform_implILb0ES3_S9_NS7_15normal_iteratorINS6_10device_ptrIsEEEENS6_16discard_iteratorINS6_11use_defaultEEEZNS1_13binary_searchIS3_S9_SE_SE_SH_NS1_21lower_bound_search_opENS7_16wrapped_functionINS0_4lessIvEEbEEEE10hipError_tPvRmT1_T2_T3_mmT4_T5_P12ihipStream_tbEUlRKsE_EESO_SS_ST_mSU_SX_bEUlT_E_NS1_11comp_targetILNS1_3genE8ELNS1_11target_archE1030ELNS1_3gpuE2ELNS1_3repE0EEENS1_30default_config_static_selectorELNS0_4arch9wavefront6targetE1EEEvSR_,comdat
.Lfunc_end572:
	.size	_ZN7rocprim17ROCPRIM_400000_NS6detail17trampoline_kernelINS0_14default_configENS1_27lower_bound_config_selectorIsN6thrust23THRUST_200600_302600_NS6detail10any_assignEEEZNS1_14transform_implILb0ES3_S9_NS7_15normal_iteratorINS6_10device_ptrIsEEEENS6_16discard_iteratorINS6_11use_defaultEEEZNS1_13binary_searchIS3_S9_SE_SE_SH_NS1_21lower_bound_search_opENS7_16wrapped_functionINS0_4lessIvEEbEEEE10hipError_tPvRmT1_T2_T3_mmT4_T5_P12ihipStream_tbEUlRKsE_EESO_SS_ST_mSU_SX_bEUlT_E_NS1_11comp_targetILNS1_3genE8ELNS1_11target_archE1030ELNS1_3gpuE2ELNS1_3repE0EEENS1_30default_config_static_selectorELNS0_4arch9wavefront6targetE1EEEvSR_, .Lfunc_end572-_ZN7rocprim17ROCPRIM_400000_NS6detail17trampoline_kernelINS0_14default_configENS1_27lower_bound_config_selectorIsN6thrust23THRUST_200600_302600_NS6detail10any_assignEEEZNS1_14transform_implILb0ES3_S9_NS7_15normal_iteratorINS6_10device_ptrIsEEEENS6_16discard_iteratorINS6_11use_defaultEEEZNS1_13binary_searchIS3_S9_SE_SE_SH_NS1_21lower_bound_search_opENS7_16wrapped_functionINS0_4lessIvEEbEEEE10hipError_tPvRmT1_T2_T3_mmT4_T5_P12ihipStream_tbEUlRKsE_EESO_SS_ST_mSU_SX_bEUlT_E_NS1_11comp_targetILNS1_3genE8ELNS1_11target_archE1030ELNS1_3gpuE2ELNS1_3repE0EEENS1_30default_config_static_selectorELNS0_4arch9wavefront6targetE1EEEvSR_
                                        ; -- End function
	.section	.AMDGPU.csdata,"",@progbits
; Kernel info:
; codeLenInByte = 0
; NumSgprs: 4
; NumVgprs: 0
; NumAgprs: 0
; TotalNumVgprs: 0
; ScratchSize: 0
; MemoryBound: 0
; FloatMode: 240
; IeeeMode: 1
; LDSByteSize: 0 bytes/workgroup (compile time only)
; SGPRBlocks: 0
; VGPRBlocks: 0
; NumSGPRsForWavesPerEU: 4
; NumVGPRsForWavesPerEU: 1
; AccumOffset: 4
; Occupancy: 8
; WaveLimiterHint : 0
; COMPUTE_PGM_RSRC2:SCRATCH_EN: 0
; COMPUTE_PGM_RSRC2:USER_SGPR: 6
; COMPUTE_PGM_RSRC2:TRAP_HANDLER: 0
; COMPUTE_PGM_RSRC2:TGID_X_EN: 1
; COMPUTE_PGM_RSRC2:TGID_Y_EN: 0
; COMPUTE_PGM_RSRC2:TGID_Z_EN: 0
; COMPUTE_PGM_RSRC2:TIDIG_COMP_CNT: 0
; COMPUTE_PGM_RSRC3_GFX90A:ACCUM_OFFSET: 0
; COMPUTE_PGM_RSRC3_GFX90A:TG_SPLIT: 0
	.section	.text._ZN7rocprim17ROCPRIM_400000_NS6detail17trampoline_kernelINS0_14default_configENS1_27upper_bound_config_selectorIxN6thrust23THRUST_200600_302600_NS6detail10any_assignEEEZNS1_14transform_implILb0ES3_S9_NS7_15normal_iteratorINS6_10device_ptrIxEEEENS6_16discard_iteratorINS6_11use_defaultEEEZNS1_13binary_searchIS3_S9_SE_SE_SH_NS1_21upper_bound_search_opENS7_16wrapped_functionINS0_4lessIvEEbEEEE10hipError_tPvRmT1_T2_T3_mmT4_T5_P12ihipStream_tbEUlRKxE_EESO_SS_ST_mSU_SX_bEUlT_E_NS1_11comp_targetILNS1_3genE0ELNS1_11target_archE4294967295ELNS1_3gpuE0ELNS1_3repE0EEENS1_30default_config_static_selectorELNS0_4arch9wavefront6targetE1EEEvSR_,"axG",@progbits,_ZN7rocprim17ROCPRIM_400000_NS6detail17trampoline_kernelINS0_14default_configENS1_27upper_bound_config_selectorIxN6thrust23THRUST_200600_302600_NS6detail10any_assignEEEZNS1_14transform_implILb0ES3_S9_NS7_15normal_iteratorINS6_10device_ptrIxEEEENS6_16discard_iteratorINS6_11use_defaultEEEZNS1_13binary_searchIS3_S9_SE_SE_SH_NS1_21upper_bound_search_opENS7_16wrapped_functionINS0_4lessIvEEbEEEE10hipError_tPvRmT1_T2_T3_mmT4_T5_P12ihipStream_tbEUlRKxE_EESO_SS_ST_mSU_SX_bEUlT_E_NS1_11comp_targetILNS1_3genE0ELNS1_11target_archE4294967295ELNS1_3gpuE0ELNS1_3repE0EEENS1_30default_config_static_selectorELNS0_4arch9wavefront6targetE1EEEvSR_,comdat
	.protected	_ZN7rocprim17ROCPRIM_400000_NS6detail17trampoline_kernelINS0_14default_configENS1_27upper_bound_config_selectorIxN6thrust23THRUST_200600_302600_NS6detail10any_assignEEEZNS1_14transform_implILb0ES3_S9_NS7_15normal_iteratorINS6_10device_ptrIxEEEENS6_16discard_iteratorINS6_11use_defaultEEEZNS1_13binary_searchIS3_S9_SE_SE_SH_NS1_21upper_bound_search_opENS7_16wrapped_functionINS0_4lessIvEEbEEEE10hipError_tPvRmT1_T2_T3_mmT4_T5_P12ihipStream_tbEUlRKxE_EESO_SS_ST_mSU_SX_bEUlT_E_NS1_11comp_targetILNS1_3genE0ELNS1_11target_archE4294967295ELNS1_3gpuE0ELNS1_3repE0EEENS1_30default_config_static_selectorELNS0_4arch9wavefront6targetE1EEEvSR_ ; -- Begin function _ZN7rocprim17ROCPRIM_400000_NS6detail17trampoline_kernelINS0_14default_configENS1_27upper_bound_config_selectorIxN6thrust23THRUST_200600_302600_NS6detail10any_assignEEEZNS1_14transform_implILb0ES3_S9_NS7_15normal_iteratorINS6_10device_ptrIxEEEENS6_16discard_iteratorINS6_11use_defaultEEEZNS1_13binary_searchIS3_S9_SE_SE_SH_NS1_21upper_bound_search_opENS7_16wrapped_functionINS0_4lessIvEEbEEEE10hipError_tPvRmT1_T2_T3_mmT4_T5_P12ihipStream_tbEUlRKxE_EESO_SS_ST_mSU_SX_bEUlT_E_NS1_11comp_targetILNS1_3genE0ELNS1_11target_archE4294967295ELNS1_3gpuE0ELNS1_3repE0EEENS1_30default_config_static_selectorELNS0_4arch9wavefront6targetE1EEEvSR_
	.globl	_ZN7rocprim17ROCPRIM_400000_NS6detail17trampoline_kernelINS0_14default_configENS1_27upper_bound_config_selectorIxN6thrust23THRUST_200600_302600_NS6detail10any_assignEEEZNS1_14transform_implILb0ES3_S9_NS7_15normal_iteratorINS6_10device_ptrIxEEEENS6_16discard_iteratorINS6_11use_defaultEEEZNS1_13binary_searchIS3_S9_SE_SE_SH_NS1_21upper_bound_search_opENS7_16wrapped_functionINS0_4lessIvEEbEEEE10hipError_tPvRmT1_T2_T3_mmT4_T5_P12ihipStream_tbEUlRKxE_EESO_SS_ST_mSU_SX_bEUlT_E_NS1_11comp_targetILNS1_3genE0ELNS1_11target_archE4294967295ELNS1_3gpuE0ELNS1_3repE0EEENS1_30default_config_static_selectorELNS0_4arch9wavefront6targetE1EEEvSR_
	.p2align	8
	.type	_ZN7rocprim17ROCPRIM_400000_NS6detail17trampoline_kernelINS0_14default_configENS1_27upper_bound_config_selectorIxN6thrust23THRUST_200600_302600_NS6detail10any_assignEEEZNS1_14transform_implILb0ES3_S9_NS7_15normal_iteratorINS6_10device_ptrIxEEEENS6_16discard_iteratorINS6_11use_defaultEEEZNS1_13binary_searchIS3_S9_SE_SE_SH_NS1_21upper_bound_search_opENS7_16wrapped_functionINS0_4lessIvEEbEEEE10hipError_tPvRmT1_T2_T3_mmT4_T5_P12ihipStream_tbEUlRKxE_EESO_SS_ST_mSU_SX_bEUlT_E_NS1_11comp_targetILNS1_3genE0ELNS1_11target_archE4294967295ELNS1_3gpuE0ELNS1_3repE0EEENS1_30default_config_static_selectorELNS0_4arch9wavefront6targetE1EEEvSR_,@function
_ZN7rocprim17ROCPRIM_400000_NS6detail17trampoline_kernelINS0_14default_configENS1_27upper_bound_config_selectorIxN6thrust23THRUST_200600_302600_NS6detail10any_assignEEEZNS1_14transform_implILb0ES3_S9_NS7_15normal_iteratorINS6_10device_ptrIxEEEENS6_16discard_iteratorINS6_11use_defaultEEEZNS1_13binary_searchIS3_S9_SE_SE_SH_NS1_21upper_bound_search_opENS7_16wrapped_functionINS0_4lessIvEEbEEEE10hipError_tPvRmT1_T2_T3_mmT4_T5_P12ihipStream_tbEUlRKxE_EESO_SS_ST_mSU_SX_bEUlT_E_NS1_11comp_targetILNS1_3genE0ELNS1_11target_archE4294967295ELNS1_3gpuE0ELNS1_3repE0EEENS1_30default_config_static_selectorELNS0_4arch9wavefront6targetE1EEEvSR_: ; @_ZN7rocprim17ROCPRIM_400000_NS6detail17trampoline_kernelINS0_14default_configENS1_27upper_bound_config_selectorIxN6thrust23THRUST_200600_302600_NS6detail10any_assignEEEZNS1_14transform_implILb0ES3_S9_NS7_15normal_iteratorINS6_10device_ptrIxEEEENS6_16discard_iteratorINS6_11use_defaultEEEZNS1_13binary_searchIS3_S9_SE_SE_SH_NS1_21upper_bound_search_opENS7_16wrapped_functionINS0_4lessIvEEbEEEE10hipError_tPvRmT1_T2_T3_mmT4_T5_P12ihipStream_tbEUlRKxE_EESO_SS_ST_mSU_SX_bEUlT_E_NS1_11comp_targetILNS1_3genE0ELNS1_11target_archE4294967295ELNS1_3gpuE0ELNS1_3repE0EEENS1_30default_config_static_selectorELNS0_4arch9wavefront6targetE1EEEvSR_
; %bb.0:
	.section	.rodata,"a",@progbits
	.p2align	6, 0x0
	.amdhsa_kernel _ZN7rocprim17ROCPRIM_400000_NS6detail17trampoline_kernelINS0_14default_configENS1_27upper_bound_config_selectorIxN6thrust23THRUST_200600_302600_NS6detail10any_assignEEEZNS1_14transform_implILb0ES3_S9_NS7_15normal_iteratorINS6_10device_ptrIxEEEENS6_16discard_iteratorINS6_11use_defaultEEEZNS1_13binary_searchIS3_S9_SE_SE_SH_NS1_21upper_bound_search_opENS7_16wrapped_functionINS0_4lessIvEEbEEEE10hipError_tPvRmT1_T2_T3_mmT4_T5_P12ihipStream_tbEUlRKxE_EESO_SS_ST_mSU_SX_bEUlT_E_NS1_11comp_targetILNS1_3genE0ELNS1_11target_archE4294967295ELNS1_3gpuE0ELNS1_3repE0EEENS1_30default_config_static_selectorELNS0_4arch9wavefront6targetE1EEEvSR_
		.amdhsa_group_segment_fixed_size 0
		.amdhsa_private_segment_fixed_size 0
		.amdhsa_kernarg_size 64
		.amdhsa_user_sgpr_count 6
		.amdhsa_user_sgpr_private_segment_buffer 1
		.amdhsa_user_sgpr_dispatch_ptr 0
		.amdhsa_user_sgpr_queue_ptr 0
		.amdhsa_user_sgpr_kernarg_segment_ptr 1
		.amdhsa_user_sgpr_dispatch_id 0
		.amdhsa_user_sgpr_flat_scratch_init 0
		.amdhsa_user_sgpr_kernarg_preload_length 0
		.amdhsa_user_sgpr_kernarg_preload_offset 0
		.amdhsa_user_sgpr_private_segment_size 0
		.amdhsa_uses_dynamic_stack 0
		.amdhsa_system_sgpr_private_segment_wavefront_offset 0
		.amdhsa_system_sgpr_workgroup_id_x 1
		.amdhsa_system_sgpr_workgroup_id_y 0
		.amdhsa_system_sgpr_workgroup_id_z 0
		.amdhsa_system_sgpr_workgroup_info 0
		.amdhsa_system_vgpr_workitem_id 0
		.amdhsa_next_free_vgpr 1
		.amdhsa_next_free_sgpr 0
		.amdhsa_accum_offset 4
		.amdhsa_reserve_vcc 0
		.amdhsa_reserve_flat_scratch 0
		.amdhsa_float_round_mode_32 0
		.amdhsa_float_round_mode_16_64 0
		.amdhsa_float_denorm_mode_32 3
		.amdhsa_float_denorm_mode_16_64 3
		.amdhsa_dx10_clamp 1
		.amdhsa_ieee_mode 1
		.amdhsa_fp16_overflow 0
		.amdhsa_tg_split 0
		.amdhsa_exception_fp_ieee_invalid_op 0
		.amdhsa_exception_fp_denorm_src 0
		.amdhsa_exception_fp_ieee_div_zero 0
		.amdhsa_exception_fp_ieee_overflow 0
		.amdhsa_exception_fp_ieee_underflow 0
		.amdhsa_exception_fp_ieee_inexact 0
		.amdhsa_exception_int_div_zero 0
	.end_amdhsa_kernel
	.section	.text._ZN7rocprim17ROCPRIM_400000_NS6detail17trampoline_kernelINS0_14default_configENS1_27upper_bound_config_selectorIxN6thrust23THRUST_200600_302600_NS6detail10any_assignEEEZNS1_14transform_implILb0ES3_S9_NS7_15normal_iteratorINS6_10device_ptrIxEEEENS6_16discard_iteratorINS6_11use_defaultEEEZNS1_13binary_searchIS3_S9_SE_SE_SH_NS1_21upper_bound_search_opENS7_16wrapped_functionINS0_4lessIvEEbEEEE10hipError_tPvRmT1_T2_T3_mmT4_T5_P12ihipStream_tbEUlRKxE_EESO_SS_ST_mSU_SX_bEUlT_E_NS1_11comp_targetILNS1_3genE0ELNS1_11target_archE4294967295ELNS1_3gpuE0ELNS1_3repE0EEENS1_30default_config_static_selectorELNS0_4arch9wavefront6targetE1EEEvSR_,"axG",@progbits,_ZN7rocprim17ROCPRIM_400000_NS6detail17trampoline_kernelINS0_14default_configENS1_27upper_bound_config_selectorIxN6thrust23THRUST_200600_302600_NS6detail10any_assignEEEZNS1_14transform_implILb0ES3_S9_NS7_15normal_iteratorINS6_10device_ptrIxEEEENS6_16discard_iteratorINS6_11use_defaultEEEZNS1_13binary_searchIS3_S9_SE_SE_SH_NS1_21upper_bound_search_opENS7_16wrapped_functionINS0_4lessIvEEbEEEE10hipError_tPvRmT1_T2_T3_mmT4_T5_P12ihipStream_tbEUlRKxE_EESO_SS_ST_mSU_SX_bEUlT_E_NS1_11comp_targetILNS1_3genE0ELNS1_11target_archE4294967295ELNS1_3gpuE0ELNS1_3repE0EEENS1_30default_config_static_selectorELNS0_4arch9wavefront6targetE1EEEvSR_,comdat
.Lfunc_end573:
	.size	_ZN7rocprim17ROCPRIM_400000_NS6detail17trampoline_kernelINS0_14default_configENS1_27upper_bound_config_selectorIxN6thrust23THRUST_200600_302600_NS6detail10any_assignEEEZNS1_14transform_implILb0ES3_S9_NS7_15normal_iteratorINS6_10device_ptrIxEEEENS6_16discard_iteratorINS6_11use_defaultEEEZNS1_13binary_searchIS3_S9_SE_SE_SH_NS1_21upper_bound_search_opENS7_16wrapped_functionINS0_4lessIvEEbEEEE10hipError_tPvRmT1_T2_T3_mmT4_T5_P12ihipStream_tbEUlRKxE_EESO_SS_ST_mSU_SX_bEUlT_E_NS1_11comp_targetILNS1_3genE0ELNS1_11target_archE4294967295ELNS1_3gpuE0ELNS1_3repE0EEENS1_30default_config_static_selectorELNS0_4arch9wavefront6targetE1EEEvSR_, .Lfunc_end573-_ZN7rocprim17ROCPRIM_400000_NS6detail17trampoline_kernelINS0_14default_configENS1_27upper_bound_config_selectorIxN6thrust23THRUST_200600_302600_NS6detail10any_assignEEEZNS1_14transform_implILb0ES3_S9_NS7_15normal_iteratorINS6_10device_ptrIxEEEENS6_16discard_iteratorINS6_11use_defaultEEEZNS1_13binary_searchIS3_S9_SE_SE_SH_NS1_21upper_bound_search_opENS7_16wrapped_functionINS0_4lessIvEEbEEEE10hipError_tPvRmT1_T2_T3_mmT4_T5_P12ihipStream_tbEUlRKxE_EESO_SS_ST_mSU_SX_bEUlT_E_NS1_11comp_targetILNS1_3genE0ELNS1_11target_archE4294967295ELNS1_3gpuE0ELNS1_3repE0EEENS1_30default_config_static_selectorELNS0_4arch9wavefront6targetE1EEEvSR_
                                        ; -- End function
	.section	.AMDGPU.csdata,"",@progbits
; Kernel info:
; codeLenInByte = 0
; NumSgprs: 4
; NumVgprs: 0
; NumAgprs: 0
; TotalNumVgprs: 0
; ScratchSize: 0
; MemoryBound: 0
; FloatMode: 240
; IeeeMode: 1
; LDSByteSize: 0 bytes/workgroup (compile time only)
; SGPRBlocks: 0
; VGPRBlocks: 0
; NumSGPRsForWavesPerEU: 4
; NumVGPRsForWavesPerEU: 1
; AccumOffset: 4
; Occupancy: 8
; WaveLimiterHint : 0
; COMPUTE_PGM_RSRC2:SCRATCH_EN: 0
; COMPUTE_PGM_RSRC2:USER_SGPR: 6
; COMPUTE_PGM_RSRC2:TRAP_HANDLER: 0
; COMPUTE_PGM_RSRC2:TGID_X_EN: 1
; COMPUTE_PGM_RSRC2:TGID_Y_EN: 0
; COMPUTE_PGM_RSRC2:TGID_Z_EN: 0
; COMPUTE_PGM_RSRC2:TIDIG_COMP_CNT: 0
; COMPUTE_PGM_RSRC3_GFX90A:ACCUM_OFFSET: 0
; COMPUTE_PGM_RSRC3_GFX90A:TG_SPLIT: 0
	.section	.text._ZN7rocprim17ROCPRIM_400000_NS6detail17trampoline_kernelINS0_14default_configENS1_27upper_bound_config_selectorIxN6thrust23THRUST_200600_302600_NS6detail10any_assignEEEZNS1_14transform_implILb0ES3_S9_NS7_15normal_iteratorINS6_10device_ptrIxEEEENS6_16discard_iteratorINS6_11use_defaultEEEZNS1_13binary_searchIS3_S9_SE_SE_SH_NS1_21upper_bound_search_opENS7_16wrapped_functionINS0_4lessIvEEbEEEE10hipError_tPvRmT1_T2_T3_mmT4_T5_P12ihipStream_tbEUlRKxE_EESO_SS_ST_mSU_SX_bEUlT_E_NS1_11comp_targetILNS1_3genE5ELNS1_11target_archE942ELNS1_3gpuE9ELNS1_3repE0EEENS1_30default_config_static_selectorELNS0_4arch9wavefront6targetE1EEEvSR_,"axG",@progbits,_ZN7rocprim17ROCPRIM_400000_NS6detail17trampoline_kernelINS0_14default_configENS1_27upper_bound_config_selectorIxN6thrust23THRUST_200600_302600_NS6detail10any_assignEEEZNS1_14transform_implILb0ES3_S9_NS7_15normal_iteratorINS6_10device_ptrIxEEEENS6_16discard_iteratorINS6_11use_defaultEEEZNS1_13binary_searchIS3_S9_SE_SE_SH_NS1_21upper_bound_search_opENS7_16wrapped_functionINS0_4lessIvEEbEEEE10hipError_tPvRmT1_T2_T3_mmT4_T5_P12ihipStream_tbEUlRKxE_EESO_SS_ST_mSU_SX_bEUlT_E_NS1_11comp_targetILNS1_3genE5ELNS1_11target_archE942ELNS1_3gpuE9ELNS1_3repE0EEENS1_30default_config_static_selectorELNS0_4arch9wavefront6targetE1EEEvSR_,comdat
	.protected	_ZN7rocprim17ROCPRIM_400000_NS6detail17trampoline_kernelINS0_14default_configENS1_27upper_bound_config_selectorIxN6thrust23THRUST_200600_302600_NS6detail10any_assignEEEZNS1_14transform_implILb0ES3_S9_NS7_15normal_iteratorINS6_10device_ptrIxEEEENS6_16discard_iteratorINS6_11use_defaultEEEZNS1_13binary_searchIS3_S9_SE_SE_SH_NS1_21upper_bound_search_opENS7_16wrapped_functionINS0_4lessIvEEbEEEE10hipError_tPvRmT1_T2_T3_mmT4_T5_P12ihipStream_tbEUlRKxE_EESO_SS_ST_mSU_SX_bEUlT_E_NS1_11comp_targetILNS1_3genE5ELNS1_11target_archE942ELNS1_3gpuE9ELNS1_3repE0EEENS1_30default_config_static_selectorELNS0_4arch9wavefront6targetE1EEEvSR_ ; -- Begin function _ZN7rocprim17ROCPRIM_400000_NS6detail17trampoline_kernelINS0_14default_configENS1_27upper_bound_config_selectorIxN6thrust23THRUST_200600_302600_NS6detail10any_assignEEEZNS1_14transform_implILb0ES3_S9_NS7_15normal_iteratorINS6_10device_ptrIxEEEENS6_16discard_iteratorINS6_11use_defaultEEEZNS1_13binary_searchIS3_S9_SE_SE_SH_NS1_21upper_bound_search_opENS7_16wrapped_functionINS0_4lessIvEEbEEEE10hipError_tPvRmT1_T2_T3_mmT4_T5_P12ihipStream_tbEUlRKxE_EESO_SS_ST_mSU_SX_bEUlT_E_NS1_11comp_targetILNS1_3genE5ELNS1_11target_archE942ELNS1_3gpuE9ELNS1_3repE0EEENS1_30default_config_static_selectorELNS0_4arch9wavefront6targetE1EEEvSR_
	.globl	_ZN7rocprim17ROCPRIM_400000_NS6detail17trampoline_kernelINS0_14default_configENS1_27upper_bound_config_selectorIxN6thrust23THRUST_200600_302600_NS6detail10any_assignEEEZNS1_14transform_implILb0ES3_S9_NS7_15normal_iteratorINS6_10device_ptrIxEEEENS6_16discard_iteratorINS6_11use_defaultEEEZNS1_13binary_searchIS3_S9_SE_SE_SH_NS1_21upper_bound_search_opENS7_16wrapped_functionINS0_4lessIvEEbEEEE10hipError_tPvRmT1_T2_T3_mmT4_T5_P12ihipStream_tbEUlRKxE_EESO_SS_ST_mSU_SX_bEUlT_E_NS1_11comp_targetILNS1_3genE5ELNS1_11target_archE942ELNS1_3gpuE9ELNS1_3repE0EEENS1_30default_config_static_selectorELNS0_4arch9wavefront6targetE1EEEvSR_
	.p2align	8
	.type	_ZN7rocprim17ROCPRIM_400000_NS6detail17trampoline_kernelINS0_14default_configENS1_27upper_bound_config_selectorIxN6thrust23THRUST_200600_302600_NS6detail10any_assignEEEZNS1_14transform_implILb0ES3_S9_NS7_15normal_iteratorINS6_10device_ptrIxEEEENS6_16discard_iteratorINS6_11use_defaultEEEZNS1_13binary_searchIS3_S9_SE_SE_SH_NS1_21upper_bound_search_opENS7_16wrapped_functionINS0_4lessIvEEbEEEE10hipError_tPvRmT1_T2_T3_mmT4_T5_P12ihipStream_tbEUlRKxE_EESO_SS_ST_mSU_SX_bEUlT_E_NS1_11comp_targetILNS1_3genE5ELNS1_11target_archE942ELNS1_3gpuE9ELNS1_3repE0EEENS1_30default_config_static_selectorELNS0_4arch9wavefront6targetE1EEEvSR_,@function
_ZN7rocprim17ROCPRIM_400000_NS6detail17trampoline_kernelINS0_14default_configENS1_27upper_bound_config_selectorIxN6thrust23THRUST_200600_302600_NS6detail10any_assignEEEZNS1_14transform_implILb0ES3_S9_NS7_15normal_iteratorINS6_10device_ptrIxEEEENS6_16discard_iteratorINS6_11use_defaultEEEZNS1_13binary_searchIS3_S9_SE_SE_SH_NS1_21upper_bound_search_opENS7_16wrapped_functionINS0_4lessIvEEbEEEE10hipError_tPvRmT1_T2_T3_mmT4_T5_P12ihipStream_tbEUlRKxE_EESO_SS_ST_mSU_SX_bEUlT_E_NS1_11comp_targetILNS1_3genE5ELNS1_11target_archE942ELNS1_3gpuE9ELNS1_3repE0EEENS1_30default_config_static_selectorELNS0_4arch9wavefront6targetE1EEEvSR_: ; @_ZN7rocprim17ROCPRIM_400000_NS6detail17trampoline_kernelINS0_14default_configENS1_27upper_bound_config_selectorIxN6thrust23THRUST_200600_302600_NS6detail10any_assignEEEZNS1_14transform_implILb0ES3_S9_NS7_15normal_iteratorINS6_10device_ptrIxEEEENS6_16discard_iteratorINS6_11use_defaultEEEZNS1_13binary_searchIS3_S9_SE_SE_SH_NS1_21upper_bound_search_opENS7_16wrapped_functionINS0_4lessIvEEbEEEE10hipError_tPvRmT1_T2_T3_mmT4_T5_P12ihipStream_tbEUlRKxE_EESO_SS_ST_mSU_SX_bEUlT_E_NS1_11comp_targetILNS1_3genE5ELNS1_11target_archE942ELNS1_3gpuE9ELNS1_3repE0EEENS1_30default_config_static_selectorELNS0_4arch9wavefront6targetE1EEEvSR_
; %bb.0:
	.section	.rodata,"a",@progbits
	.p2align	6, 0x0
	.amdhsa_kernel _ZN7rocprim17ROCPRIM_400000_NS6detail17trampoline_kernelINS0_14default_configENS1_27upper_bound_config_selectorIxN6thrust23THRUST_200600_302600_NS6detail10any_assignEEEZNS1_14transform_implILb0ES3_S9_NS7_15normal_iteratorINS6_10device_ptrIxEEEENS6_16discard_iteratorINS6_11use_defaultEEEZNS1_13binary_searchIS3_S9_SE_SE_SH_NS1_21upper_bound_search_opENS7_16wrapped_functionINS0_4lessIvEEbEEEE10hipError_tPvRmT1_T2_T3_mmT4_T5_P12ihipStream_tbEUlRKxE_EESO_SS_ST_mSU_SX_bEUlT_E_NS1_11comp_targetILNS1_3genE5ELNS1_11target_archE942ELNS1_3gpuE9ELNS1_3repE0EEENS1_30default_config_static_selectorELNS0_4arch9wavefront6targetE1EEEvSR_
		.amdhsa_group_segment_fixed_size 0
		.amdhsa_private_segment_fixed_size 0
		.amdhsa_kernarg_size 64
		.amdhsa_user_sgpr_count 6
		.amdhsa_user_sgpr_private_segment_buffer 1
		.amdhsa_user_sgpr_dispatch_ptr 0
		.amdhsa_user_sgpr_queue_ptr 0
		.amdhsa_user_sgpr_kernarg_segment_ptr 1
		.amdhsa_user_sgpr_dispatch_id 0
		.amdhsa_user_sgpr_flat_scratch_init 0
		.amdhsa_user_sgpr_kernarg_preload_length 0
		.amdhsa_user_sgpr_kernarg_preload_offset 0
		.amdhsa_user_sgpr_private_segment_size 0
		.amdhsa_uses_dynamic_stack 0
		.amdhsa_system_sgpr_private_segment_wavefront_offset 0
		.amdhsa_system_sgpr_workgroup_id_x 1
		.amdhsa_system_sgpr_workgroup_id_y 0
		.amdhsa_system_sgpr_workgroup_id_z 0
		.amdhsa_system_sgpr_workgroup_info 0
		.amdhsa_system_vgpr_workitem_id 0
		.amdhsa_next_free_vgpr 1
		.amdhsa_next_free_sgpr 0
		.amdhsa_accum_offset 4
		.amdhsa_reserve_vcc 0
		.amdhsa_reserve_flat_scratch 0
		.amdhsa_float_round_mode_32 0
		.amdhsa_float_round_mode_16_64 0
		.amdhsa_float_denorm_mode_32 3
		.amdhsa_float_denorm_mode_16_64 3
		.amdhsa_dx10_clamp 1
		.amdhsa_ieee_mode 1
		.amdhsa_fp16_overflow 0
		.amdhsa_tg_split 0
		.amdhsa_exception_fp_ieee_invalid_op 0
		.amdhsa_exception_fp_denorm_src 0
		.amdhsa_exception_fp_ieee_div_zero 0
		.amdhsa_exception_fp_ieee_overflow 0
		.amdhsa_exception_fp_ieee_underflow 0
		.amdhsa_exception_fp_ieee_inexact 0
		.amdhsa_exception_int_div_zero 0
	.end_amdhsa_kernel
	.section	.text._ZN7rocprim17ROCPRIM_400000_NS6detail17trampoline_kernelINS0_14default_configENS1_27upper_bound_config_selectorIxN6thrust23THRUST_200600_302600_NS6detail10any_assignEEEZNS1_14transform_implILb0ES3_S9_NS7_15normal_iteratorINS6_10device_ptrIxEEEENS6_16discard_iteratorINS6_11use_defaultEEEZNS1_13binary_searchIS3_S9_SE_SE_SH_NS1_21upper_bound_search_opENS7_16wrapped_functionINS0_4lessIvEEbEEEE10hipError_tPvRmT1_T2_T3_mmT4_T5_P12ihipStream_tbEUlRKxE_EESO_SS_ST_mSU_SX_bEUlT_E_NS1_11comp_targetILNS1_3genE5ELNS1_11target_archE942ELNS1_3gpuE9ELNS1_3repE0EEENS1_30default_config_static_selectorELNS0_4arch9wavefront6targetE1EEEvSR_,"axG",@progbits,_ZN7rocprim17ROCPRIM_400000_NS6detail17trampoline_kernelINS0_14default_configENS1_27upper_bound_config_selectorIxN6thrust23THRUST_200600_302600_NS6detail10any_assignEEEZNS1_14transform_implILb0ES3_S9_NS7_15normal_iteratorINS6_10device_ptrIxEEEENS6_16discard_iteratorINS6_11use_defaultEEEZNS1_13binary_searchIS3_S9_SE_SE_SH_NS1_21upper_bound_search_opENS7_16wrapped_functionINS0_4lessIvEEbEEEE10hipError_tPvRmT1_T2_T3_mmT4_T5_P12ihipStream_tbEUlRKxE_EESO_SS_ST_mSU_SX_bEUlT_E_NS1_11comp_targetILNS1_3genE5ELNS1_11target_archE942ELNS1_3gpuE9ELNS1_3repE0EEENS1_30default_config_static_selectorELNS0_4arch9wavefront6targetE1EEEvSR_,comdat
.Lfunc_end574:
	.size	_ZN7rocprim17ROCPRIM_400000_NS6detail17trampoline_kernelINS0_14default_configENS1_27upper_bound_config_selectorIxN6thrust23THRUST_200600_302600_NS6detail10any_assignEEEZNS1_14transform_implILb0ES3_S9_NS7_15normal_iteratorINS6_10device_ptrIxEEEENS6_16discard_iteratorINS6_11use_defaultEEEZNS1_13binary_searchIS3_S9_SE_SE_SH_NS1_21upper_bound_search_opENS7_16wrapped_functionINS0_4lessIvEEbEEEE10hipError_tPvRmT1_T2_T3_mmT4_T5_P12ihipStream_tbEUlRKxE_EESO_SS_ST_mSU_SX_bEUlT_E_NS1_11comp_targetILNS1_3genE5ELNS1_11target_archE942ELNS1_3gpuE9ELNS1_3repE0EEENS1_30default_config_static_selectorELNS0_4arch9wavefront6targetE1EEEvSR_, .Lfunc_end574-_ZN7rocprim17ROCPRIM_400000_NS6detail17trampoline_kernelINS0_14default_configENS1_27upper_bound_config_selectorIxN6thrust23THRUST_200600_302600_NS6detail10any_assignEEEZNS1_14transform_implILb0ES3_S9_NS7_15normal_iteratorINS6_10device_ptrIxEEEENS6_16discard_iteratorINS6_11use_defaultEEEZNS1_13binary_searchIS3_S9_SE_SE_SH_NS1_21upper_bound_search_opENS7_16wrapped_functionINS0_4lessIvEEbEEEE10hipError_tPvRmT1_T2_T3_mmT4_T5_P12ihipStream_tbEUlRKxE_EESO_SS_ST_mSU_SX_bEUlT_E_NS1_11comp_targetILNS1_3genE5ELNS1_11target_archE942ELNS1_3gpuE9ELNS1_3repE0EEENS1_30default_config_static_selectorELNS0_4arch9wavefront6targetE1EEEvSR_
                                        ; -- End function
	.section	.AMDGPU.csdata,"",@progbits
; Kernel info:
; codeLenInByte = 0
; NumSgprs: 4
; NumVgprs: 0
; NumAgprs: 0
; TotalNumVgprs: 0
; ScratchSize: 0
; MemoryBound: 0
; FloatMode: 240
; IeeeMode: 1
; LDSByteSize: 0 bytes/workgroup (compile time only)
; SGPRBlocks: 0
; VGPRBlocks: 0
; NumSGPRsForWavesPerEU: 4
; NumVGPRsForWavesPerEU: 1
; AccumOffset: 4
; Occupancy: 8
; WaveLimiterHint : 0
; COMPUTE_PGM_RSRC2:SCRATCH_EN: 0
; COMPUTE_PGM_RSRC2:USER_SGPR: 6
; COMPUTE_PGM_RSRC2:TRAP_HANDLER: 0
; COMPUTE_PGM_RSRC2:TGID_X_EN: 1
; COMPUTE_PGM_RSRC2:TGID_Y_EN: 0
; COMPUTE_PGM_RSRC2:TGID_Z_EN: 0
; COMPUTE_PGM_RSRC2:TIDIG_COMP_CNT: 0
; COMPUTE_PGM_RSRC3_GFX90A:ACCUM_OFFSET: 0
; COMPUTE_PGM_RSRC3_GFX90A:TG_SPLIT: 0
	.section	.text._ZN7rocprim17ROCPRIM_400000_NS6detail17trampoline_kernelINS0_14default_configENS1_27upper_bound_config_selectorIxN6thrust23THRUST_200600_302600_NS6detail10any_assignEEEZNS1_14transform_implILb0ES3_S9_NS7_15normal_iteratorINS6_10device_ptrIxEEEENS6_16discard_iteratorINS6_11use_defaultEEEZNS1_13binary_searchIS3_S9_SE_SE_SH_NS1_21upper_bound_search_opENS7_16wrapped_functionINS0_4lessIvEEbEEEE10hipError_tPvRmT1_T2_T3_mmT4_T5_P12ihipStream_tbEUlRKxE_EESO_SS_ST_mSU_SX_bEUlT_E_NS1_11comp_targetILNS1_3genE4ELNS1_11target_archE910ELNS1_3gpuE8ELNS1_3repE0EEENS1_30default_config_static_selectorELNS0_4arch9wavefront6targetE1EEEvSR_,"axG",@progbits,_ZN7rocprim17ROCPRIM_400000_NS6detail17trampoline_kernelINS0_14default_configENS1_27upper_bound_config_selectorIxN6thrust23THRUST_200600_302600_NS6detail10any_assignEEEZNS1_14transform_implILb0ES3_S9_NS7_15normal_iteratorINS6_10device_ptrIxEEEENS6_16discard_iteratorINS6_11use_defaultEEEZNS1_13binary_searchIS3_S9_SE_SE_SH_NS1_21upper_bound_search_opENS7_16wrapped_functionINS0_4lessIvEEbEEEE10hipError_tPvRmT1_T2_T3_mmT4_T5_P12ihipStream_tbEUlRKxE_EESO_SS_ST_mSU_SX_bEUlT_E_NS1_11comp_targetILNS1_3genE4ELNS1_11target_archE910ELNS1_3gpuE8ELNS1_3repE0EEENS1_30default_config_static_selectorELNS0_4arch9wavefront6targetE1EEEvSR_,comdat
	.protected	_ZN7rocprim17ROCPRIM_400000_NS6detail17trampoline_kernelINS0_14default_configENS1_27upper_bound_config_selectorIxN6thrust23THRUST_200600_302600_NS6detail10any_assignEEEZNS1_14transform_implILb0ES3_S9_NS7_15normal_iteratorINS6_10device_ptrIxEEEENS6_16discard_iteratorINS6_11use_defaultEEEZNS1_13binary_searchIS3_S9_SE_SE_SH_NS1_21upper_bound_search_opENS7_16wrapped_functionINS0_4lessIvEEbEEEE10hipError_tPvRmT1_T2_T3_mmT4_T5_P12ihipStream_tbEUlRKxE_EESO_SS_ST_mSU_SX_bEUlT_E_NS1_11comp_targetILNS1_3genE4ELNS1_11target_archE910ELNS1_3gpuE8ELNS1_3repE0EEENS1_30default_config_static_selectorELNS0_4arch9wavefront6targetE1EEEvSR_ ; -- Begin function _ZN7rocprim17ROCPRIM_400000_NS6detail17trampoline_kernelINS0_14default_configENS1_27upper_bound_config_selectorIxN6thrust23THRUST_200600_302600_NS6detail10any_assignEEEZNS1_14transform_implILb0ES3_S9_NS7_15normal_iteratorINS6_10device_ptrIxEEEENS6_16discard_iteratorINS6_11use_defaultEEEZNS1_13binary_searchIS3_S9_SE_SE_SH_NS1_21upper_bound_search_opENS7_16wrapped_functionINS0_4lessIvEEbEEEE10hipError_tPvRmT1_T2_T3_mmT4_T5_P12ihipStream_tbEUlRKxE_EESO_SS_ST_mSU_SX_bEUlT_E_NS1_11comp_targetILNS1_3genE4ELNS1_11target_archE910ELNS1_3gpuE8ELNS1_3repE0EEENS1_30default_config_static_selectorELNS0_4arch9wavefront6targetE1EEEvSR_
	.globl	_ZN7rocprim17ROCPRIM_400000_NS6detail17trampoline_kernelINS0_14default_configENS1_27upper_bound_config_selectorIxN6thrust23THRUST_200600_302600_NS6detail10any_assignEEEZNS1_14transform_implILb0ES3_S9_NS7_15normal_iteratorINS6_10device_ptrIxEEEENS6_16discard_iteratorINS6_11use_defaultEEEZNS1_13binary_searchIS3_S9_SE_SE_SH_NS1_21upper_bound_search_opENS7_16wrapped_functionINS0_4lessIvEEbEEEE10hipError_tPvRmT1_T2_T3_mmT4_T5_P12ihipStream_tbEUlRKxE_EESO_SS_ST_mSU_SX_bEUlT_E_NS1_11comp_targetILNS1_3genE4ELNS1_11target_archE910ELNS1_3gpuE8ELNS1_3repE0EEENS1_30default_config_static_selectorELNS0_4arch9wavefront6targetE1EEEvSR_
	.p2align	8
	.type	_ZN7rocprim17ROCPRIM_400000_NS6detail17trampoline_kernelINS0_14default_configENS1_27upper_bound_config_selectorIxN6thrust23THRUST_200600_302600_NS6detail10any_assignEEEZNS1_14transform_implILb0ES3_S9_NS7_15normal_iteratorINS6_10device_ptrIxEEEENS6_16discard_iteratorINS6_11use_defaultEEEZNS1_13binary_searchIS3_S9_SE_SE_SH_NS1_21upper_bound_search_opENS7_16wrapped_functionINS0_4lessIvEEbEEEE10hipError_tPvRmT1_T2_T3_mmT4_T5_P12ihipStream_tbEUlRKxE_EESO_SS_ST_mSU_SX_bEUlT_E_NS1_11comp_targetILNS1_3genE4ELNS1_11target_archE910ELNS1_3gpuE8ELNS1_3repE0EEENS1_30default_config_static_selectorELNS0_4arch9wavefront6targetE1EEEvSR_,@function
_ZN7rocprim17ROCPRIM_400000_NS6detail17trampoline_kernelINS0_14default_configENS1_27upper_bound_config_selectorIxN6thrust23THRUST_200600_302600_NS6detail10any_assignEEEZNS1_14transform_implILb0ES3_S9_NS7_15normal_iteratorINS6_10device_ptrIxEEEENS6_16discard_iteratorINS6_11use_defaultEEEZNS1_13binary_searchIS3_S9_SE_SE_SH_NS1_21upper_bound_search_opENS7_16wrapped_functionINS0_4lessIvEEbEEEE10hipError_tPvRmT1_T2_T3_mmT4_T5_P12ihipStream_tbEUlRKxE_EESO_SS_ST_mSU_SX_bEUlT_E_NS1_11comp_targetILNS1_3genE4ELNS1_11target_archE910ELNS1_3gpuE8ELNS1_3repE0EEENS1_30default_config_static_selectorELNS0_4arch9wavefront6targetE1EEEvSR_: ; @_ZN7rocprim17ROCPRIM_400000_NS6detail17trampoline_kernelINS0_14default_configENS1_27upper_bound_config_selectorIxN6thrust23THRUST_200600_302600_NS6detail10any_assignEEEZNS1_14transform_implILb0ES3_S9_NS7_15normal_iteratorINS6_10device_ptrIxEEEENS6_16discard_iteratorINS6_11use_defaultEEEZNS1_13binary_searchIS3_S9_SE_SE_SH_NS1_21upper_bound_search_opENS7_16wrapped_functionINS0_4lessIvEEbEEEE10hipError_tPvRmT1_T2_T3_mmT4_T5_P12ihipStream_tbEUlRKxE_EESO_SS_ST_mSU_SX_bEUlT_E_NS1_11comp_targetILNS1_3genE4ELNS1_11target_archE910ELNS1_3gpuE8ELNS1_3repE0EEENS1_30default_config_static_selectorELNS0_4arch9wavefront6targetE1EEEvSR_
; %bb.0:
	s_endpgm
	.section	.rodata,"a",@progbits
	.p2align	6, 0x0
	.amdhsa_kernel _ZN7rocprim17ROCPRIM_400000_NS6detail17trampoline_kernelINS0_14default_configENS1_27upper_bound_config_selectorIxN6thrust23THRUST_200600_302600_NS6detail10any_assignEEEZNS1_14transform_implILb0ES3_S9_NS7_15normal_iteratorINS6_10device_ptrIxEEEENS6_16discard_iteratorINS6_11use_defaultEEEZNS1_13binary_searchIS3_S9_SE_SE_SH_NS1_21upper_bound_search_opENS7_16wrapped_functionINS0_4lessIvEEbEEEE10hipError_tPvRmT1_T2_T3_mmT4_T5_P12ihipStream_tbEUlRKxE_EESO_SS_ST_mSU_SX_bEUlT_E_NS1_11comp_targetILNS1_3genE4ELNS1_11target_archE910ELNS1_3gpuE8ELNS1_3repE0EEENS1_30default_config_static_selectorELNS0_4arch9wavefront6targetE1EEEvSR_
		.amdhsa_group_segment_fixed_size 0
		.amdhsa_private_segment_fixed_size 0
		.amdhsa_kernarg_size 64
		.amdhsa_user_sgpr_count 6
		.amdhsa_user_sgpr_private_segment_buffer 1
		.amdhsa_user_sgpr_dispatch_ptr 0
		.amdhsa_user_sgpr_queue_ptr 0
		.amdhsa_user_sgpr_kernarg_segment_ptr 1
		.amdhsa_user_sgpr_dispatch_id 0
		.amdhsa_user_sgpr_flat_scratch_init 0
		.amdhsa_user_sgpr_kernarg_preload_length 0
		.amdhsa_user_sgpr_kernarg_preload_offset 0
		.amdhsa_user_sgpr_private_segment_size 0
		.amdhsa_uses_dynamic_stack 0
		.amdhsa_system_sgpr_private_segment_wavefront_offset 0
		.amdhsa_system_sgpr_workgroup_id_x 1
		.amdhsa_system_sgpr_workgroup_id_y 0
		.amdhsa_system_sgpr_workgroup_id_z 0
		.amdhsa_system_sgpr_workgroup_info 0
		.amdhsa_system_vgpr_workitem_id 0
		.amdhsa_next_free_vgpr 1
		.amdhsa_next_free_sgpr 0
		.amdhsa_accum_offset 4
		.amdhsa_reserve_vcc 0
		.amdhsa_reserve_flat_scratch 0
		.amdhsa_float_round_mode_32 0
		.amdhsa_float_round_mode_16_64 0
		.amdhsa_float_denorm_mode_32 3
		.amdhsa_float_denorm_mode_16_64 3
		.amdhsa_dx10_clamp 1
		.amdhsa_ieee_mode 1
		.amdhsa_fp16_overflow 0
		.amdhsa_tg_split 0
		.amdhsa_exception_fp_ieee_invalid_op 0
		.amdhsa_exception_fp_denorm_src 0
		.amdhsa_exception_fp_ieee_div_zero 0
		.amdhsa_exception_fp_ieee_overflow 0
		.amdhsa_exception_fp_ieee_underflow 0
		.amdhsa_exception_fp_ieee_inexact 0
		.amdhsa_exception_int_div_zero 0
	.end_amdhsa_kernel
	.section	.text._ZN7rocprim17ROCPRIM_400000_NS6detail17trampoline_kernelINS0_14default_configENS1_27upper_bound_config_selectorIxN6thrust23THRUST_200600_302600_NS6detail10any_assignEEEZNS1_14transform_implILb0ES3_S9_NS7_15normal_iteratorINS6_10device_ptrIxEEEENS6_16discard_iteratorINS6_11use_defaultEEEZNS1_13binary_searchIS3_S9_SE_SE_SH_NS1_21upper_bound_search_opENS7_16wrapped_functionINS0_4lessIvEEbEEEE10hipError_tPvRmT1_T2_T3_mmT4_T5_P12ihipStream_tbEUlRKxE_EESO_SS_ST_mSU_SX_bEUlT_E_NS1_11comp_targetILNS1_3genE4ELNS1_11target_archE910ELNS1_3gpuE8ELNS1_3repE0EEENS1_30default_config_static_selectorELNS0_4arch9wavefront6targetE1EEEvSR_,"axG",@progbits,_ZN7rocprim17ROCPRIM_400000_NS6detail17trampoline_kernelINS0_14default_configENS1_27upper_bound_config_selectorIxN6thrust23THRUST_200600_302600_NS6detail10any_assignEEEZNS1_14transform_implILb0ES3_S9_NS7_15normal_iteratorINS6_10device_ptrIxEEEENS6_16discard_iteratorINS6_11use_defaultEEEZNS1_13binary_searchIS3_S9_SE_SE_SH_NS1_21upper_bound_search_opENS7_16wrapped_functionINS0_4lessIvEEbEEEE10hipError_tPvRmT1_T2_T3_mmT4_T5_P12ihipStream_tbEUlRKxE_EESO_SS_ST_mSU_SX_bEUlT_E_NS1_11comp_targetILNS1_3genE4ELNS1_11target_archE910ELNS1_3gpuE8ELNS1_3repE0EEENS1_30default_config_static_selectorELNS0_4arch9wavefront6targetE1EEEvSR_,comdat
.Lfunc_end575:
	.size	_ZN7rocprim17ROCPRIM_400000_NS6detail17trampoline_kernelINS0_14default_configENS1_27upper_bound_config_selectorIxN6thrust23THRUST_200600_302600_NS6detail10any_assignEEEZNS1_14transform_implILb0ES3_S9_NS7_15normal_iteratorINS6_10device_ptrIxEEEENS6_16discard_iteratorINS6_11use_defaultEEEZNS1_13binary_searchIS3_S9_SE_SE_SH_NS1_21upper_bound_search_opENS7_16wrapped_functionINS0_4lessIvEEbEEEE10hipError_tPvRmT1_T2_T3_mmT4_T5_P12ihipStream_tbEUlRKxE_EESO_SS_ST_mSU_SX_bEUlT_E_NS1_11comp_targetILNS1_3genE4ELNS1_11target_archE910ELNS1_3gpuE8ELNS1_3repE0EEENS1_30default_config_static_selectorELNS0_4arch9wavefront6targetE1EEEvSR_, .Lfunc_end575-_ZN7rocprim17ROCPRIM_400000_NS6detail17trampoline_kernelINS0_14default_configENS1_27upper_bound_config_selectorIxN6thrust23THRUST_200600_302600_NS6detail10any_assignEEEZNS1_14transform_implILb0ES3_S9_NS7_15normal_iteratorINS6_10device_ptrIxEEEENS6_16discard_iteratorINS6_11use_defaultEEEZNS1_13binary_searchIS3_S9_SE_SE_SH_NS1_21upper_bound_search_opENS7_16wrapped_functionINS0_4lessIvEEbEEEE10hipError_tPvRmT1_T2_T3_mmT4_T5_P12ihipStream_tbEUlRKxE_EESO_SS_ST_mSU_SX_bEUlT_E_NS1_11comp_targetILNS1_3genE4ELNS1_11target_archE910ELNS1_3gpuE8ELNS1_3repE0EEENS1_30default_config_static_selectorELNS0_4arch9wavefront6targetE1EEEvSR_
                                        ; -- End function
	.section	.AMDGPU.csdata,"",@progbits
; Kernel info:
; codeLenInByte = 4
; NumSgprs: 4
; NumVgprs: 0
; NumAgprs: 0
; TotalNumVgprs: 0
; ScratchSize: 0
; MemoryBound: 0
; FloatMode: 240
; IeeeMode: 1
; LDSByteSize: 0 bytes/workgroup (compile time only)
; SGPRBlocks: 0
; VGPRBlocks: 0
; NumSGPRsForWavesPerEU: 4
; NumVGPRsForWavesPerEU: 1
; AccumOffset: 4
; Occupancy: 8
; WaveLimiterHint : 0
; COMPUTE_PGM_RSRC2:SCRATCH_EN: 0
; COMPUTE_PGM_RSRC2:USER_SGPR: 6
; COMPUTE_PGM_RSRC2:TRAP_HANDLER: 0
; COMPUTE_PGM_RSRC2:TGID_X_EN: 1
; COMPUTE_PGM_RSRC2:TGID_Y_EN: 0
; COMPUTE_PGM_RSRC2:TGID_Z_EN: 0
; COMPUTE_PGM_RSRC2:TIDIG_COMP_CNT: 0
; COMPUTE_PGM_RSRC3_GFX90A:ACCUM_OFFSET: 0
; COMPUTE_PGM_RSRC3_GFX90A:TG_SPLIT: 0
	.section	.text._ZN7rocprim17ROCPRIM_400000_NS6detail17trampoline_kernelINS0_14default_configENS1_27upper_bound_config_selectorIxN6thrust23THRUST_200600_302600_NS6detail10any_assignEEEZNS1_14transform_implILb0ES3_S9_NS7_15normal_iteratorINS6_10device_ptrIxEEEENS6_16discard_iteratorINS6_11use_defaultEEEZNS1_13binary_searchIS3_S9_SE_SE_SH_NS1_21upper_bound_search_opENS7_16wrapped_functionINS0_4lessIvEEbEEEE10hipError_tPvRmT1_T2_T3_mmT4_T5_P12ihipStream_tbEUlRKxE_EESO_SS_ST_mSU_SX_bEUlT_E_NS1_11comp_targetILNS1_3genE3ELNS1_11target_archE908ELNS1_3gpuE7ELNS1_3repE0EEENS1_30default_config_static_selectorELNS0_4arch9wavefront6targetE1EEEvSR_,"axG",@progbits,_ZN7rocprim17ROCPRIM_400000_NS6detail17trampoline_kernelINS0_14default_configENS1_27upper_bound_config_selectorIxN6thrust23THRUST_200600_302600_NS6detail10any_assignEEEZNS1_14transform_implILb0ES3_S9_NS7_15normal_iteratorINS6_10device_ptrIxEEEENS6_16discard_iteratorINS6_11use_defaultEEEZNS1_13binary_searchIS3_S9_SE_SE_SH_NS1_21upper_bound_search_opENS7_16wrapped_functionINS0_4lessIvEEbEEEE10hipError_tPvRmT1_T2_T3_mmT4_T5_P12ihipStream_tbEUlRKxE_EESO_SS_ST_mSU_SX_bEUlT_E_NS1_11comp_targetILNS1_3genE3ELNS1_11target_archE908ELNS1_3gpuE7ELNS1_3repE0EEENS1_30default_config_static_selectorELNS0_4arch9wavefront6targetE1EEEvSR_,comdat
	.protected	_ZN7rocprim17ROCPRIM_400000_NS6detail17trampoline_kernelINS0_14default_configENS1_27upper_bound_config_selectorIxN6thrust23THRUST_200600_302600_NS6detail10any_assignEEEZNS1_14transform_implILb0ES3_S9_NS7_15normal_iteratorINS6_10device_ptrIxEEEENS6_16discard_iteratorINS6_11use_defaultEEEZNS1_13binary_searchIS3_S9_SE_SE_SH_NS1_21upper_bound_search_opENS7_16wrapped_functionINS0_4lessIvEEbEEEE10hipError_tPvRmT1_T2_T3_mmT4_T5_P12ihipStream_tbEUlRKxE_EESO_SS_ST_mSU_SX_bEUlT_E_NS1_11comp_targetILNS1_3genE3ELNS1_11target_archE908ELNS1_3gpuE7ELNS1_3repE0EEENS1_30default_config_static_selectorELNS0_4arch9wavefront6targetE1EEEvSR_ ; -- Begin function _ZN7rocprim17ROCPRIM_400000_NS6detail17trampoline_kernelINS0_14default_configENS1_27upper_bound_config_selectorIxN6thrust23THRUST_200600_302600_NS6detail10any_assignEEEZNS1_14transform_implILb0ES3_S9_NS7_15normal_iteratorINS6_10device_ptrIxEEEENS6_16discard_iteratorINS6_11use_defaultEEEZNS1_13binary_searchIS3_S9_SE_SE_SH_NS1_21upper_bound_search_opENS7_16wrapped_functionINS0_4lessIvEEbEEEE10hipError_tPvRmT1_T2_T3_mmT4_T5_P12ihipStream_tbEUlRKxE_EESO_SS_ST_mSU_SX_bEUlT_E_NS1_11comp_targetILNS1_3genE3ELNS1_11target_archE908ELNS1_3gpuE7ELNS1_3repE0EEENS1_30default_config_static_selectorELNS0_4arch9wavefront6targetE1EEEvSR_
	.globl	_ZN7rocprim17ROCPRIM_400000_NS6detail17trampoline_kernelINS0_14default_configENS1_27upper_bound_config_selectorIxN6thrust23THRUST_200600_302600_NS6detail10any_assignEEEZNS1_14transform_implILb0ES3_S9_NS7_15normal_iteratorINS6_10device_ptrIxEEEENS6_16discard_iteratorINS6_11use_defaultEEEZNS1_13binary_searchIS3_S9_SE_SE_SH_NS1_21upper_bound_search_opENS7_16wrapped_functionINS0_4lessIvEEbEEEE10hipError_tPvRmT1_T2_T3_mmT4_T5_P12ihipStream_tbEUlRKxE_EESO_SS_ST_mSU_SX_bEUlT_E_NS1_11comp_targetILNS1_3genE3ELNS1_11target_archE908ELNS1_3gpuE7ELNS1_3repE0EEENS1_30default_config_static_selectorELNS0_4arch9wavefront6targetE1EEEvSR_
	.p2align	8
	.type	_ZN7rocprim17ROCPRIM_400000_NS6detail17trampoline_kernelINS0_14default_configENS1_27upper_bound_config_selectorIxN6thrust23THRUST_200600_302600_NS6detail10any_assignEEEZNS1_14transform_implILb0ES3_S9_NS7_15normal_iteratorINS6_10device_ptrIxEEEENS6_16discard_iteratorINS6_11use_defaultEEEZNS1_13binary_searchIS3_S9_SE_SE_SH_NS1_21upper_bound_search_opENS7_16wrapped_functionINS0_4lessIvEEbEEEE10hipError_tPvRmT1_T2_T3_mmT4_T5_P12ihipStream_tbEUlRKxE_EESO_SS_ST_mSU_SX_bEUlT_E_NS1_11comp_targetILNS1_3genE3ELNS1_11target_archE908ELNS1_3gpuE7ELNS1_3repE0EEENS1_30default_config_static_selectorELNS0_4arch9wavefront6targetE1EEEvSR_,@function
_ZN7rocprim17ROCPRIM_400000_NS6detail17trampoline_kernelINS0_14default_configENS1_27upper_bound_config_selectorIxN6thrust23THRUST_200600_302600_NS6detail10any_assignEEEZNS1_14transform_implILb0ES3_S9_NS7_15normal_iteratorINS6_10device_ptrIxEEEENS6_16discard_iteratorINS6_11use_defaultEEEZNS1_13binary_searchIS3_S9_SE_SE_SH_NS1_21upper_bound_search_opENS7_16wrapped_functionINS0_4lessIvEEbEEEE10hipError_tPvRmT1_T2_T3_mmT4_T5_P12ihipStream_tbEUlRKxE_EESO_SS_ST_mSU_SX_bEUlT_E_NS1_11comp_targetILNS1_3genE3ELNS1_11target_archE908ELNS1_3gpuE7ELNS1_3repE0EEENS1_30default_config_static_selectorELNS0_4arch9wavefront6targetE1EEEvSR_: ; @_ZN7rocprim17ROCPRIM_400000_NS6detail17trampoline_kernelINS0_14default_configENS1_27upper_bound_config_selectorIxN6thrust23THRUST_200600_302600_NS6detail10any_assignEEEZNS1_14transform_implILb0ES3_S9_NS7_15normal_iteratorINS6_10device_ptrIxEEEENS6_16discard_iteratorINS6_11use_defaultEEEZNS1_13binary_searchIS3_S9_SE_SE_SH_NS1_21upper_bound_search_opENS7_16wrapped_functionINS0_4lessIvEEbEEEE10hipError_tPvRmT1_T2_T3_mmT4_T5_P12ihipStream_tbEUlRKxE_EESO_SS_ST_mSU_SX_bEUlT_E_NS1_11comp_targetILNS1_3genE3ELNS1_11target_archE908ELNS1_3gpuE7ELNS1_3repE0EEENS1_30default_config_static_selectorELNS0_4arch9wavefront6targetE1EEEvSR_
; %bb.0:
	.section	.rodata,"a",@progbits
	.p2align	6, 0x0
	.amdhsa_kernel _ZN7rocprim17ROCPRIM_400000_NS6detail17trampoline_kernelINS0_14default_configENS1_27upper_bound_config_selectorIxN6thrust23THRUST_200600_302600_NS6detail10any_assignEEEZNS1_14transform_implILb0ES3_S9_NS7_15normal_iteratorINS6_10device_ptrIxEEEENS6_16discard_iteratorINS6_11use_defaultEEEZNS1_13binary_searchIS3_S9_SE_SE_SH_NS1_21upper_bound_search_opENS7_16wrapped_functionINS0_4lessIvEEbEEEE10hipError_tPvRmT1_T2_T3_mmT4_T5_P12ihipStream_tbEUlRKxE_EESO_SS_ST_mSU_SX_bEUlT_E_NS1_11comp_targetILNS1_3genE3ELNS1_11target_archE908ELNS1_3gpuE7ELNS1_3repE0EEENS1_30default_config_static_selectorELNS0_4arch9wavefront6targetE1EEEvSR_
		.amdhsa_group_segment_fixed_size 0
		.amdhsa_private_segment_fixed_size 0
		.amdhsa_kernarg_size 64
		.amdhsa_user_sgpr_count 6
		.amdhsa_user_sgpr_private_segment_buffer 1
		.amdhsa_user_sgpr_dispatch_ptr 0
		.amdhsa_user_sgpr_queue_ptr 0
		.amdhsa_user_sgpr_kernarg_segment_ptr 1
		.amdhsa_user_sgpr_dispatch_id 0
		.amdhsa_user_sgpr_flat_scratch_init 0
		.amdhsa_user_sgpr_kernarg_preload_length 0
		.amdhsa_user_sgpr_kernarg_preload_offset 0
		.amdhsa_user_sgpr_private_segment_size 0
		.amdhsa_uses_dynamic_stack 0
		.amdhsa_system_sgpr_private_segment_wavefront_offset 0
		.amdhsa_system_sgpr_workgroup_id_x 1
		.amdhsa_system_sgpr_workgroup_id_y 0
		.amdhsa_system_sgpr_workgroup_id_z 0
		.amdhsa_system_sgpr_workgroup_info 0
		.amdhsa_system_vgpr_workitem_id 0
		.amdhsa_next_free_vgpr 1
		.amdhsa_next_free_sgpr 0
		.amdhsa_accum_offset 4
		.amdhsa_reserve_vcc 0
		.amdhsa_reserve_flat_scratch 0
		.amdhsa_float_round_mode_32 0
		.amdhsa_float_round_mode_16_64 0
		.amdhsa_float_denorm_mode_32 3
		.amdhsa_float_denorm_mode_16_64 3
		.amdhsa_dx10_clamp 1
		.amdhsa_ieee_mode 1
		.amdhsa_fp16_overflow 0
		.amdhsa_tg_split 0
		.amdhsa_exception_fp_ieee_invalid_op 0
		.amdhsa_exception_fp_denorm_src 0
		.amdhsa_exception_fp_ieee_div_zero 0
		.amdhsa_exception_fp_ieee_overflow 0
		.amdhsa_exception_fp_ieee_underflow 0
		.amdhsa_exception_fp_ieee_inexact 0
		.amdhsa_exception_int_div_zero 0
	.end_amdhsa_kernel
	.section	.text._ZN7rocprim17ROCPRIM_400000_NS6detail17trampoline_kernelINS0_14default_configENS1_27upper_bound_config_selectorIxN6thrust23THRUST_200600_302600_NS6detail10any_assignEEEZNS1_14transform_implILb0ES3_S9_NS7_15normal_iteratorINS6_10device_ptrIxEEEENS6_16discard_iteratorINS6_11use_defaultEEEZNS1_13binary_searchIS3_S9_SE_SE_SH_NS1_21upper_bound_search_opENS7_16wrapped_functionINS0_4lessIvEEbEEEE10hipError_tPvRmT1_T2_T3_mmT4_T5_P12ihipStream_tbEUlRKxE_EESO_SS_ST_mSU_SX_bEUlT_E_NS1_11comp_targetILNS1_3genE3ELNS1_11target_archE908ELNS1_3gpuE7ELNS1_3repE0EEENS1_30default_config_static_selectorELNS0_4arch9wavefront6targetE1EEEvSR_,"axG",@progbits,_ZN7rocprim17ROCPRIM_400000_NS6detail17trampoline_kernelINS0_14default_configENS1_27upper_bound_config_selectorIxN6thrust23THRUST_200600_302600_NS6detail10any_assignEEEZNS1_14transform_implILb0ES3_S9_NS7_15normal_iteratorINS6_10device_ptrIxEEEENS6_16discard_iteratorINS6_11use_defaultEEEZNS1_13binary_searchIS3_S9_SE_SE_SH_NS1_21upper_bound_search_opENS7_16wrapped_functionINS0_4lessIvEEbEEEE10hipError_tPvRmT1_T2_T3_mmT4_T5_P12ihipStream_tbEUlRKxE_EESO_SS_ST_mSU_SX_bEUlT_E_NS1_11comp_targetILNS1_3genE3ELNS1_11target_archE908ELNS1_3gpuE7ELNS1_3repE0EEENS1_30default_config_static_selectorELNS0_4arch9wavefront6targetE1EEEvSR_,comdat
.Lfunc_end576:
	.size	_ZN7rocprim17ROCPRIM_400000_NS6detail17trampoline_kernelINS0_14default_configENS1_27upper_bound_config_selectorIxN6thrust23THRUST_200600_302600_NS6detail10any_assignEEEZNS1_14transform_implILb0ES3_S9_NS7_15normal_iteratorINS6_10device_ptrIxEEEENS6_16discard_iteratorINS6_11use_defaultEEEZNS1_13binary_searchIS3_S9_SE_SE_SH_NS1_21upper_bound_search_opENS7_16wrapped_functionINS0_4lessIvEEbEEEE10hipError_tPvRmT1_T2_T3_mmT4_T5_P12ihipStream_tbEUlRKxE_EESO_SS_ST_mSU_SX_bEUlT_E_NS1_11comp_targetILNS1_3genE3ELNS1_11target_archE908ELNS1_3gpuE7ELNS1_3repE0EEENS1_30default_config_static_selectorELNS0_4arch9wavefront6targetE1EEEvSR_, .Lfunc_end576-_ZN7rocprim17ROCPRIM_400000_NS6detail17trampoline_kernelINS0_14default_configENS1_27upper_bound_config_selectorIxN6thrust23THRUST_200600_302600_NS6detail10any_assignEEEZNS1_14transform_implILb0ES3_S9_NS7_15normal_iteratorINS6_10device_ptrIxEEEENS6_16discard_iteratorINS6_11use_defaultEEEZNS1_13binary_searchIS3_S9_SE_SE_SH_NS1_21upper_bound_search_opENS7_16wrapped_functionINS0_4lessIvEEbEEEE10hipError_tPvRmT1_T2_T3_mmT4_T5_P12ihipStream_tbEUlRKxE_EESO_SS_ST_mSU_SX_bEUlT_E_NS1_11comp_targetILNS1_3genE3ELNS1_11target_archE908ELNS1_3gpuE7ELNS1_3repE0EEENS1_30default_config_static_selectorELNS0_4arch9wavefront6targetE1EEEvSR_
                                        ; -- End function
	.section	.AMDGPU.csdata,"",@progbits
; Kernel info:
; codeLenInByte = 0
; NumSgprs: 4
; NumVgprs: 0
; NumAgprs: 0
; TotalNumVgprs: 0
; ScratchSize: 0
; MemoryBound: 0
; FloatMode: 240
; IeeeMode: 1
; LDSByteSize: 0 bytes/workgroup (compile time only)
; SGPRBlocks: 0
; VGPRBlocks: 0
; NumSGPRsForWavesPerEU: 4
; NumVGPRsForWavesPerEU: 1
; AccumOffset: 4
; Occupancy: 8
; WaveLimiterHint : 0
; COMPUTE_PGM_RSRC2:SCRATCH_EN: 0
; COMPUTE_PGM_RSRC2:USER_SGPR: 6
; COMPUTE_PGM_RSRC2:TRAP_HANDLER: 0
; COMPUTE_PGM_RSRC2:TGID_X_EN: 1
; COMPUTE_PGM_RSRC2:TGID_Y_EN: 0
; COMPUTE_PGM_RSRC2:TGID_Z_EN: 0
; COMPUTE_PGM_RSRC2:TIDIG_COMP_CNT: 0
; COMPUTE_PGM_RSRC3_GFX90A:ACCUM_OFFSET: 0
; COMPUTE_PGM_RSRC3_GFX90A:TG_SPLIT: 0
	.section	.text._ZN7rocprim17ROCPRIM_400000_NS6detail17trampoline_kernelINS0_14default_configENS1_27upper_bound_config_selectorIxN6thrust23THRUST_200600_302600_NS6detail10any_assignEEEZNS1_14transform_implILb0ES3_S9_NS7_15normal_iteratorINS6_10device_ptrIxEEEENS6_16discard_iteratorINS6_11use_defaultEEEZNS1_13binary_searchIS3_S9_SE_SE_SH_NS1_21upper_bound_search_opENS7_16wrapped_functionINS0_4lessIvEEbEEEE10hipError_tPvRmT1_T2_T3_mmT4_T5_P12ihipStream_tbEUlRKxE_EESO_SS_ST_mSU_SX_bEUlT_E_NS1_11comp_targetILNS1_3genE2ELNS1_11target_archE906ELNS1_3gpuE6ELNS1_3repE0EEENS1_30default_config_static_selectorELNS0_4arch9wavefront6targetE1EEEvSR_,"axG",@progbits,_ZN7rocprim17ROCPRIM_400000_NS6detail17trampoline_kernelINS0_14default_configENS1_27upper_bound_config_selectorIxN6thrust23THRUST_200600_302600_NS6detail10any_assignEEEZNS1_14transform_implILb0ES3_S9_NS7_15normal_iteratorINS6_10device_ptrIxEEEENS6_16discard_iteratorINS6_11use_defaultEEEZNS1_13binary_searchIS3_S9_SE_SE_SH_NS1_21upper_bound_search_opENS7_16wrapped_functionINS0_4lessIvEEbEEEE10hipError_tPvRmT1_T2_T3_mmT4_T5_P12ihipStream_tbEUlRKxE_EESO_SS_ST_mSU_SX_bEUlT_E_NS1_11comp_targetILNS1_3genE2ELNS1_11target_archE906ELNS1_3gpuE6ELNS1_3repE0EEENS1_30default_config_static_selectorELNS0_4arch9wavefront6targetE1EEEvSR_,comdat
	.protected	_ZN7rocprim17ROCPRIM_400000_NS6detail17trampoline_kernelINS0_14default_configENS1_27upper_bound_config_selectorIxN6thrust23THRUST_200600_302600_NS6detail10any_assignEEEZNS1_14transform_implILb0ES3_S9_NS7_15normal_iteratorINS6_10device_ptrIxEEEENS6_16discard_iteratorINS6_11use_defaultEEEZNS1_13binary_searchIS3_S9_SE_SE_SH_NS1_21upper_bound_search_opENS7_16wrapped_functionINS0_4lessIvEEbEEEE10hipError_tPvRmT1_T2_T3_mmT4_T5_P12ihipStream_tbEUlRKxE_EESO_SS_ST_mSU_SX_bEUlT_E_NS1_11comp_targetILNS1_3genE2ELNS1_11target_archE906ELNS1_3gpuE6ELNS1_3repE0EEENS1_30default_config_static_selectorELNS0_4arch9wavefront6targetE1EEEvSR_ ; -- Begin function _ZN7rocprim17ROCPRIM_400000_NS6detail17trampoline_kernelINS0_14default_configENS1_27upper_bound_config_selectorIxN6thrust23THRUST_200600_302600_NS6detail10any_assignEEEZNS1_14transform_implILb0ES3_S9_NS7_15normal_iteratorINS6_10device_ptrIxEEEENS6_16discard_iteratorINS6_11use_defaultEEEZNS1_13binary_searchIS3_S9_SE_SE_SH_NS1_21upper_bound_search_opENS7_16wrapped_functionINS0_4lessIvEEbEEEE10hipError_tPvRmT1_T2_T3_mmT4_T5_P12ihipStream_tbEUlRKxE_EESO_SS_ST_mSU_SX_bEUlT_E_NS1_11comp_targetILNS1_3genE2ELNS1_11target_archE906ELNS1_3gpuE6ELNS1_3repE0EEENS1_30default_config_static_selectorELNS0_4arch9wavefront6targetE1EEEvSR_
	.globl	_ZN7rocprim17ROCPRIM_400000_NS6detail17trampoline_kernelINS0_14default_configENS1_27upper_bound_config_selectorIxN6thrust23THRUST_200600_302600_NS6detail10any_assignEEEZNS1_14transform_implILb0ES3_S9_NS7_15normal_iteratorINS6_10device_ptrIxEEEENS6_16discard_iteratorINS6_11use_defaultEEEZNS1_13binary_searchIS3_S9_SE_SE_SH_NS1_21upper_bound_search_opENS7_16wrapped_functionINS0_4lessIvEEbEEEE10hipError_tPvRmT1_T2_T3_mmT4_T5_P12ihipStream_tbEUlRKxE_EESO_SS_ST_mSU_SX_bEUlT_E_NS1_11comp_targetILNS1_3genE2ELNS1_11target_archE906ELNS1_3gpuE6ELNS1_3repE0EEENS1_30default_config_static_selectorELNS0_4arch9wavefront6targetE1EEEvSR_
	.p2align	8
	.type	_ZN7rocprim17ROCPRIM_400000_NS6detail17trampoline_kernelINS0_14default_configENS1_27upper_bound_config_selectorIxN6thrust23THRUST_200600_302600_NS6detail10any_assignEEEZNS1_14transform_implILb0ES3_S9_NS7_15normal_iteratorINS6_10device_ptrIxEEEENS6_16discard_iteratorINS6_11use_defaultEEEZNS1_13binary_searchIS3_S9_SE_SE_SH_NS1_21upper_bound_search_opENS7_16wrapped_functionINS0_4lessIvEEbEEEE10hipError_tPvRmT1_T2_T3_mmT4_T5_P12ihipStream_tbEUlRKxE_EESO_SS_ST_mSU_SX_bEUlT_E_NS1_11comp_targetILNS1_3genE2ELNS1_11target_archE906ELNS1_3gpuE6ELNS1_3repE0EEENS1_30default_config_static_selectorELNS0_4arch9wavefront6targetE1EEEvSR_,@function
_ZN7rocprim17ROCPRIM_400000_NS6detail17trampoline_kernelINS0_14default_configENS1_27upper_bound_config_selectorIxN6thrust23THRUST_200600_302600_NS6detail10any_assignEEEZNS1_14transform_implILb0ES3_S9_NS7_15normal_iteratorINS6_10device_ptrIxEEEENS6_16discard_iteratorINS6_11use_defaultEEEZNS1_13binary_searchIS3_S9_SE_SE_SH_NS1_21upper_bound_search_opENS7_16wrapped_functionINS0_4lessIvEEbEEEE10hipError_tPvRmT1_T2_T3_mmT4_T5_P12ihipStream_tbEUlRKxE_EESO_SS_ST_mSU_SX_bEUlT_E_NS1_11comp_targetILNS1_3genE2ELNS1_11target_archE906ELNS1_3gpuE6ELNS1_3repE0EEENS1_30default_config_static_selectorELNS0_4arch9wavefront6targetE1EEEvSR_: ; @_ZN7rocprim17ROCPRIM_400000_NS6detail17trampoline_kernelINS0_14default_configENS1_27upper_bound_config_selectorIxN6thrust23THRUST_200600_302600_NS6detail10any_assignEEEZNS1_14transform_implILb0ES3_S9_NS7_15normal_iteratorINS6_10device_ptrIxEEEENS6_16discard_iteratorINS6_11use_defaultEEEZNS1_13binary_searchIS3_S9_SE_SE_SH_NS1_21upper_bound_search_opENS7_16wrapped_functionINS0_4lessIvEEbEEEE10hipError_tPvRmT1_T2_T3_mmT4_T5_P12ihipStream_tbEUlRKxE_EESO_SS_ST_mSU_SX_bEUlT_E_NS1_11comp_targetILNS1_3genE2ELNS1_11target_archE906ELNS1_3gpuE6ELNS1_3repE0EEENS1_30default_config_static_selectorELNS0_4arch9wavefront6targetE1EEEvSR_
; %bb.0:
	.section	.rodata,"a",@progbits
	.p2align	6, 0x0
	.amdhsa_kernel _ZN7rocprim17ROCPRIM_400000_NS6detail17trampoline_kernelINS0_14default_configENS1_27upper_bound_config_selectorIxN6thrust23THRUST_200600_302600_NS6detail10any_assignEEEZNS1_14transform_implILb0ES3_S9_NS7_15normal_iteratorINS6_10device_ptrIxEEEENS6_16discard_iteratorINS6_11use_defaultEEEZNS1_13binary_searchIS3_S9_SE_SE_SH_NS1_21upper_bound_search_opENS7_16wrapped_functionINS0_4lessIvEEbEEEE10hipError_tPvRmT1_T2_T3_mmT4_T5_P12ihipStream_tbEUlRKxE_EESO_SS_ST_mSU_SX_bEUlT_E_NS1_11comp_targetILNS1_3genE2ELNS1_11target_archE906ELNS1_3gpuE6ELNS1_3repE0EEENS1_30default_config_static_selectorELNS0_4arch9wavefront6targetE1EEEvSR_
		.amdhsa_group_segment_fixed_size 0
		.amdhsa_private_segment_fixed_size 0
		.amdhsa_kernarg_size 64
		.amdhsa_user_sgpr_count 6
		.amdhsa_user_sgpr_private_segment_buffer 1
		.amdhsa_user_sgpr_dispatch_ptr 0
		.amdhsa_user_sgpr_queue_ptr 0
		.amdhsa_user_sgpr_kernarg_segment_ptr 1
		.amdhsa_user_sgpr_dispatch_id 0
		.amdhsa_user_sgpr_flat_scratch_init 0
		.amdhsa_user_sgpr_kernarg_preload_length 0
		.amdhsa_user_sgpr_kernarg_preload_offset 0
		.amdhsa_user_sgpr_private_segment_size 0
		.amdhsa_uses_dynamic_stack 0
		.amdhsa_system_sgpr_private_segment_wavefront_offset 0
		.amdhsa_system_sgpr_workgroup_id_x 1
		.amdhsa_system_sgpr_workgroup_id_y 0
		.amdhsa_system_sgpr_workgroup_id_z 0
		.amdhsa_system_sgpr_workgroup_info 0
		.amdhsa_system_vgpr_workitem_id 0
		.amdhsa_next_free_vgpr 1
		.amdhsa_next_free_sgpr 0
		.amdhsa_accum_offset 4
		.amdhsa_reserve_vcc 0
		.amdhsa_reserve_flat_scratch 0
		.amdhsa_float_round_mode_32 0
		.amdhsa_float_round_mode_16_64 0
		.amdhsa_float_denorm_mode_32 3
		.amdhsa_float_denorm_mode_16_64 3
		.amdhsa_dx10_clamp 1
		.amdhsa_ieee_mode 1
		.amdhsa_fp16_overflow 0
		.amdhsa_tg_split 0
		.amdhsa_exception_fp_ieee_invalid_op 0
		.amdhsa_exception_fp_denorm_src 0
		.amdhsa_exception_fp_ieee_div_zero 0
		.amdhsa_exception_fp_ieee_overflow 0
		.amdhsa_exception_fp_ieee_underflow 0
		.amdhsa_exception_fp_ieee_inexact 0
		.amdhsa_exception_int_div_zero 0
	.end_amdhsa_kernel
	.section	.text._ZN7rocprim17ROCPRIM_400000_NS6detail17trampoline_kernelINS0_14default_configENS1_27upper_bound_config_selectorIxN6thrust23THRUST_200600_302600_NS6detail10any_assignEEEZNS1_14transform_implILb0ES3_S9_NS7_15normal_iteratorINS6_10device_ptrIxEEEENS6_16discard_iteratorINS6_11use_defaultEEEZNS1_13binary_searchIS3_S9_SE_SE_SH_NS1_21upper_bound_search_opENS7_16wrapped_functionINS0_4lessIvEEbEEEE10hipError_tPvRmT1_T2_T3_mmT4_T5_P12ihipStream_tbEUlRKxE_EESO_SS_ST_mSU_SX_bEUlT_E_NS1_11comp_targetILNS1_3genE2ELNS1_11target_archE906ELNS1_3gpuE6ELNS1_3repE0EEENS1_30default_config_static_selectorELNS0_4arch9wavefront6targetE1EEEvSR_,"axG",@progbits,_ZN7rocprim17ROCPRIM_400000_NS6detail17trampoline_kernelINS0_14default_configENS1_27upper_bound_config_selectorIxN6thrust23THRUST_200600_302600_NS6detail10any_assignEEEZNS1_14transform_implILb0ES3_S9_NS7_15normal_iteratorINS6_10device_ptrIxEEEENS6_16discard_iteratorINS6_11use_defaultEEEZNS1_13binary_searchIS3_S9_SE_SE_SH_NS1_21upper_bound_search_opENS7_16wrapped_functionINS0_4lessIvEEbEEEE10hipError_tPvRmT1_T2_T3_mmT4_T5_P12ihipStream_tbEUlRKxE_EESO_SS_ST_mSU_SX_bEUlT_E_NS1_11comp_targetILNS1_3genE2ELNS1_11target_archE906ELNS1_3gpuE6ELNS1_3repE0EEENS1_30default_config_static_selectorELNS0_4arch9wavefront6targetE1EEEvSR_,comdat
.Lfunc_end577:
	.size	_ZN7rocprim17ROCPRIM_400000_NS6detail17trampoline_kernelINS0_14default_configENS1_27upper_bound_config_selectorIxN6thrust23THRUST_200600_302600_NS6detail10any_assignEEEZNS1_14transform_implILb0ES3_S9_NS7_15normal_iteratorINS6_10device_ptrIxEEEENS6_16discard_iteratorINS6_11use_defaultEEEZNS1_13binary_searchIS3_S9_SE_SE_SH_NS1_21upper_bound_search_opENS7_16wrapped_functionINS0_4lessIvEEbEEEE10hipError_tPvRmT1_T2_T3_mmT4_T5_P12ihipStream_tbEUlRKxE_EESO_SS_ST_mSU_SX_bEUlT_E_NS1_11comp_targetILNS1_3genE2ELNS1_11target_archE906ELNS1_3gpuE6ELNS1_3repE0EEENS1_30default_config_static_selectorELNS0_4arch9wavefront6targetE1EEEvSR_, .Lfunc_end577-_ZN7rocprim17ROCPRIM_400000_NS6detail17trampoline_kernelINS0_14default_configENS1_27upper_bound_config_selectorIxN6thrust23THRUST_200600_302600_NS6detail10any_assignEEEZNS1_14transform_implILb0ES3_S9_NS7_15normal_iteratorINS6_10device_ptrIxEEEENS6_16discard_iteratorINS6_11use_defaultEEEZNS1_13binary_searchIS3_S9_SE_SE_SH_NS1_21upper_bound_search_opENS7_16wrapped_functionINS0_4lessIvEEbEEEE10hipError_tPvRmT1_T2_T3_mmT4_T5_P12ihipStream_tbEUlRKxE_EESO_SS_ST_mSU_SX_bEUlT_E_NS1_11comp_targetILNS1_3genE2ELNS1_11target_archE906ELNS1_3gpuE6ELNS1_3repE0EEENS1_30default_config_static_selectorELNS0_4arch9wavefront6targetE1EEEvSR_
                                        ; -- End function
	.section	.AMDGPU.csdata,"",@progbits
; Kernel info:
; codeLenInByte = 0
; NumSgprs: 4
; NumVgprs: 0
; NumAgprs: 0
; TotalNumVgprs: 0
; ScratchSize: 0
; MemoryBound: 0
; FloatMode: 240
; IeeeMode: 1
; LDSByteSize: 0 bytes/workgroup (compile time only)
; SGPRBlocks: 0
; VGPRBlocks: 0
; NumSGPRsForWavesPerEU: 4
; NumVGPRsForWavesPerEU: 1
; AccumOffset: 4
; Occupancy: 8
; WaveLimiterHint : 0
; COMPUTE_PGM_RSRC2:SCRATCH_EN: 0
; COMPUTE_PGM_RSRC2:USER_SGPR: 6
; COMPUTE_PGM_RSRC2:TRAP_HANDLER: 0
; COMPUTE_PGM_RSRC2:TGID_X_EN: 1
; COMPUTE_PGM_RSRC2:TGID_Y_EN: 0
; COMPUTE_PGM_RSRC2:TGID_Z_EN: 0
; COMPUTE_PGM_RSRC2:TIDIG_COMP_CNT: 0
; COMPUTE_PGM_RSRC3_GFX90A:ACCUM_OFFSET: 0
; COMPUTE_PGM_RSRC3_GFX90A:TG_SPLIT: 0
	.section	.text._ZN7rocprim17ROCPRIM_400000_NS6detail17trampoline_kernelINS0_14default_configENS1_27upper_bound_config_selectorIxN6thrust23THRUST_200600_302600_NS6detail10any_assignEEEZNS1_14transform_implILb0ES3_S9_NS7_15normal_iteratorINS6_10device_ptrIxEEEENS6_16discard_iteratorINS6_11use_defaultEEEZNS1_13binary_searchIS3_S9_SE_SE_SH_NS1_21upper_bound_search_opENS7_16wrapped_functionINS0_4lessIvEEbEEEE10hipError_tPvRmT1_T2_T3_mmT4_T5_P12ihipStream_tbEUlRKxE_EESO_SS_ST_mSU_SX_bEUlT_E_NS1_11comp_targetILNS1_3genE10ELNS1_11target_archE1201ELNS1_3gpuE5ELNS1_3repE0EEENS1_30default_config_static_selectorELNS0_4arch9wavefront6targetE1EEEvSR_,"axG",@progbits,_ZN7rocprim17ROCPRIM_400000_NS6detail17trampoline_kernelINS0_14default_configENS1_27upper_bound_config_selectorIxN6thrust23THRUST_200600_302600_NS6detail10any_assignEEEZNS1_14transform_implILb0ES3_S9_NS7_15normal_iteratorINS6_10device_ptrIxEEEENS6_16discard_iteratorINS6_11use_defaultEEEZNS1_13binary_searchIS3_S9_SE_SE_SH_NS1_21upper_bound_search_opENS7_16wrapped_functionINS0_4lessIvEEbEEEE10hipError_tPvRmT1_T2_T3_mmT4_T5_P12ihipStream_tbEUlRKxE_EESO_SS_ST_mSU_SX_bEUlT_E_NS1_11comp_targetILNS1_3genE10ELNS1_11target_archE1201ELNS1_3gpuE5ELNS1_3repE0EEENS1_30default_config_static_selectorELNS0_4arch9wavefront6targetE1EEEvSR_,comdat
	.protected	_ZN7rocprim17ROCPRIM_400000_NS6detail17trampoline_kernelINS0_14default_configENS1_27upper_bound_config_selectorIxN6thrust23THRUST_200600_302600_NS6detail10any_assignEEEZNS1_14transform_implILb0ES3_S9_NS7_15normal_iteratorINS6_10device_ptrIxEEEENS6_16discard_iteratorINS6_11use_defaultEEEZNS1_13binary_searchIS3_S9_SE_SE_SH_NS1_21upper_bound_search_opENS7_16wrapped_functionINS0_4lessIvEEbEEEE10hipError_tPvRmT1_T2_T3_mmT4_T5_P12ihipStream_tbEUlRKxE_EESO_SS_ST_mSU_SX_bEUlT_E_NS1_11comp_targetILNS1_3genE10ELNS1_11target_archE1201ELNS1_3gpuE5ELNS1_3repE0EEENS1_30default_config_static_selectorELNS0_4arch9wavefront6targetE1EEEvSR_ ; -- Begin function _ZN7rocprim17ROCPRIM_400000_NS6detail17trampoline_kernelINS0_14default_configENS1_27upper_bound_config_selectorIxN6thrust23THRUST_200600_302600_NS6detail10any_assignEEEZNS1_14transform_implILb0ES3_S9_NS7_15normal_iteratorINS6_10device_ptrIxEEEENS6_16discard_iteratorINS6_11use_defaultEEEZNS1_13binary_searchIS3_S9_SE_SE_SH_NS1_21upper_bound_search_opENS7_16wrapped_functionINS0_4lessIvEEbEEEE10hipError_tPvRmT1_T2_T3_mmT4_T5_P12ihipStream_tbEUlRKxE_EESO_SS_ST_mSU_SX_bEUlT_E_NS1_11comp_targetILNS1_3genE10ELNS1_11target_archE1201ELNS1_3gpuE5ELNS1_3repE0EEENS1_30default_config_static_selectorELNS0_4arch9wavefront6targetE1EEEvSR_
	.globl	_ZN7rocprim17ROCPRIM_400000_NS6detail17trampoline_kernelINS0_14default_configENS1_27upper_bound_config_selectorIxN6thrust23THRUST_200600_302600_NS6detail10any_assignEEEZNS1_14transform_implILb0ES3_S9_NS7_15normal_iteratorINS6_10device_ptrIxEEEENS6_16discard_iteratorINS6_11use_defaultEEEZNS1_13binary_searchIS3_S9_SE_SE_SH_NS1_21upper_bound_search_opENS7_16wrapped_functionINS0_4lessIvEEbEEEE10hipError_tPvRmT1_T2_T3_mmT4_T5_P12ihipStream_tbEUlRKxE_EESO_SS_ST_mSU_SX_bEUlT_E_NS1_11comp_targetILNS1_3genE10ELNS1_11target_archE1201ELNS1_3gpuE5ELNS1_3repE0EEENS1_30default_config_static_selectorELNS0_4arch9wavefront6targetE1EEEvSR_
	.p2align	8
	.type	_ZN7rocprim17ROCPRIM_400000_NS6detail17trampoline_kernelINS0_14default_configENS1_27upper_bound_config_selectorIxN6thrust23THRUST_200600_302600_NS6detail10any_assignEEEZNS1_14transform_implILb0ES3_S9_NS7_15normal_iteratorINS6_10device_ptrIxEEEENS6_16discard_iteratorINS6_11use_defaultEEEZNS1_13binary_searchIS3_S9_SE_SE_SH_NS1_21upper_bound_search_opENS7_16wrapped_functionINS0_4lessIvEEbEEEE10hipError_tPvRmT1_T2_T3_mmT4_T5_P12ihipStream_tbEUlRKxE_EESO_SS_ST_mSU_SX_bEUlT_E_NS1_11comp_targetILNS1_3genE10ELNS1_11target_archE1201ELNS1_3gpuE5ELNS1_3repE0EEENS1_30default_config_static_selectorELNS0_4arch9wavefront6targetE1EEEvSR_,@function
_ZN7rocprim17ROCPRIM_400000_NS6detail17trampoline_kernelINS0_14default_configENS1_27upper_bound_config_selectorIxN6thrust23THRUST_200600_302600_NS6detail10any_assignEEEZNS1_14transform_implILb0ES3_S9_NS7_15normal_iteratorINS6_10device_ptrIxEEEENS6_16discard_iteratorINS6_11use_defaultEEEZNS1_13binary_searchIS3_S9_SE_SE_SH_NS1_21upper_bound_search_opENS7_16wrapped_functionINS0_4lessIvEEbEEEE10hipError_tPvRmT1_T2_T3_mmT4_T5_P12ihipStream_tbEUlRKxE_EESO_SS_ST_mSU_SX_bEUlT_E_NS1_11comp_targetILNS1_3genE10ELNS1_11target_archE1201ELNS1_3gpuE5ELNS1_3repE0EEENS1_30default_config_static_selectorELNS0_4arch9wavefront6targetE1EEEvSR_: ; @_ZN7rocprim17ROCPRIM_400000_NS6detail17trampoline_kernelINS0_14default_configENS1_27upper_bound_config_selectorIxN6thrust23THRUST_200600_302600_NS6detail10any_assignEEEZNS1_14transform_implILb0ES3_S9_NS7_15normal_iteratorINS6_10device_ptrIxEEEENS6_16discard_iteratorINS6_11use_defaultEEEZNS1_13binary_searchIS3_S9_SE_SE_SH_NS1_21upper_bound_search_opENS7_16wrapped_functionINS0_4lessIvEEbEEEE10hipError_tPvRmT1_T2_T3_mmT4_T5_P12ihipStream_tbEUlRKxE_EESO_SS_ST_mSU_SX_bEUlT_E_NS1_11comp_targetILNS1_3genE10ELNS1_11target_archE1201ELNS1_3gpuE5ELNS1_3repE0EEENS1_30default_config_static_selectorELNS0_4arch9wavefront6targetE1EEEvSR_
; %bb.0:
	.section	.rodata,"a",@progbits
	.p2align	6, 0x0
	.amdhsa_kernel _ZN7rocprim17ROCPRIM_400000_NS6detail17trampoline_kernelINS0_14default_configENS1_27upper_bound_config_selectorIxN6thrust23THRUST_200600_302600_NS6detail10any_assignEEEZNS1_14transform_implILb0ES3_S9_NS7_15normal_iteratorINS6_10device_ptrIxEEEENS6_16discard_iteratorINS6_11use_defaultEEEZNS1_13binary_searchIS3_S9_SE_SE_SH_NS1_21upper_bound_search_opENS7_16wrapped_functionINS0_4lessIvEEbEEEE10hipError_tPvRmT1_T2_T3_mmT4_T5_P12ihipStream_tbEUlRKxE_EESO_SS_ST_mSU_SX_bEUlT_E_NS1_11comp_targetILNS1_3genE10ELNS1_11target_archE1201ELNS1_3gpuE5ELNS1_3repE0EEENS1_30default_config_static_selectorELNS0_4arch9wavefront6targetE1EEEvSR_
		.amdhsa_group_segment_fixed_size 0
		.amdhsa_private_segment_fixed_size 0
		.amdhsa_kernarg_size 64
		.amdhsa_user_sgpr_count 6
		.amdhsa_user_sgpr_private_segment_buffer 1
		.amdhsa_user_sgpr_dispatch_ptr 0
		.amdhsa_user_sgpr_queue_ptr 0
		.amdhsa_user_sgpr_kernarg_segment_ptr 1
		.amdhsa_user_sgpr_dispatch_id 0
		.amdhsa_user_sgpr_flat_scratch_init 0
		.amdhsa_user_sgpr_kernarg_preload_length 0
		.amdhsa_user_sgpr_kernarg_preload_offset 0
		.amdhsa_user_sgpr_private_segment_size 0
		.amdhsa_uses_dynamic_stack 0
		.amdhsa_system_sgpr_private_segment_wavefront_offset 0
		.amdhsa_system_sgpr_workgroup_id_x 1
		.amdhsa_system_sgpr_workgroup_id_y 0
		.amdhsa_system_sgpr_workgroup_id_z 0
		.amdhsa_system_sgpr_workgroup_info 0
		.amdhsa_system_vgpr_workitem_id 0
		.amdhsa_next_free_vgpr 1
		.amdhsa_next_free_sgpr 0
		.amdhsa_accum_offset 4
		.amdhsa_reserve_vcc 0
		.amdhsa_reserve_flat_scratch 0
		.amdhsa_float_round_mode_32 0
		.amdhsa_float_round_mode_16_64 0
		.amdhsa_float_denorm_mode_32 3
		.amdhsa_float_denorm_mode_16_64 3
		.amdhsa_dx10_clamp 1
		.amdhsa_ieee_mode 1
		.amdhsa_fp16_overflow 0
		.amdhsa_tg_split 0
		.amdhsa_exception_fp_ieee_invalid_op 0
		.amdhsa_exception_fp_denorm_src 0
		.amdhsa_exception_fp_ieee_div_zero 0
		.amdhsa_exception_fp_ieee_overflow 0
		.amdhsa_exception_fp_ieee_underflow 0
		.amdhsa_exception_fp_ieee_inexact 0
		.amdhsa_exception_int_div_zero 0
	.end_amdhsa_kernel
	.section	.text._ZN7rocprim17ROCPRIM_400000_NS6detail17trampoline_kernelINS0_14default_configENS1_27upper_bound_config_selectorIxN6thrust23THRUST_200600_302600_NS6detail10any_assignEEEZNS1_14transform_implILb0ES3_S9_NS7_15normal_iteratorINS6_10device_ptrIxEEEENS6_16discard_iteratorINS6_11use_defaultEEEZNS1_13binary_searchIS3_S9_SE_SE_SH_NS1_21upper_bound_search_opENS7_16wrapped_functionINS0_4lessIvEEbEEEE10hipError_tPvRmT1_T2_T3_mmT4_T5_P12ihipStream_tbEUlRKxE_EESO_SS_ST_mSU_SX_bEUlT_E_NS1_11comp_targetILNS1_3genE10ELNS1_11target_archE1201ELNS1_3gpuE5ELNS1_3repE0EEENS1_30default_config_static_selectorELNS0_4arch9wavefront6targetE1EEEvSR_,"axG",@progbits,_ZN7rocprim17ROCPRIM_400000_NS6detail17trampoline_kernelINS0_14default_configENS1_27upper_bound_config_selectorIxN6thrust23THRUST_200600_302600_NS6detail10any_assignEEEZNS1_14transform_implILb0ES3_S9_NS7_15normal_iteratorINS6_10device_ptrIxEEEENS6_16discard_iteratorINS6_11use_defaultEEEZNS1_13binary_searchIS3_S9_SE_SE_SH_NS1_21upper_bound_search_opENS7_16wrapped_functionINS0_4lessIvEEbEEEE10hipError_tPvRmT1_T2_T3_mmT4_T5_P12ihipStream_tbEUlRKxE_EESO_SS_ST_mSU_SX_bEUlT_E_NS1_11comp_targetILNS1_3genE10ELNS1_11target_archE1201ELNS1_3gpuE5ELNS1_3repE0EEENS1_30default_config_static_selectorELNS0_4arch9wavefront6targetE1EEEvSR_,comdat
.Lfunc_end578:
	.size	_ZN7rocprim17ROCPRIM_400000_NS6detail17trampoline_kernelINS0_14default_configENS1_27upper_bound_config_selectorIxN6thrust23THRUST_200600_302600_NS6detail10any_assignEEEZNS1_14transform_implILb0ES3_S9_NS7_15normal_iteratorINS6_10device_ptrIxEEEENS6_16discard_iteratorINS6_11use_defaultEEEZNS1_13binary_searchIS3_S9_SE_SE_SH_NS1_21upper_bound_search_opENS7_16wrapped_functionINS0_4lessIvEEbEEEE10hipError_tPvRmT1_T2_T3_mmT4_T5_P12ihipStream_tbEUlRKxE_EESO_SS_ST_mSU_SX_bEUlT_E_NS1_11comp_targetILNS1_3genE10ELNS1_11target_archE1201ELNS1_3gpuE5ELNS1_3repE0EEENS1_30default_config_static_selectorELNS0_4arch9wavefront6targetE1EEEvSR_, .Lfunc_end578-_ZN7rocprim17ROCPRIM_400000_NS6detail17trampoline_kernelINS0_14default_configENS1_27upper_bound_config_selectorIxN6thrust23THRUST_200600_302600_NS6detail10any_assignEEEZNS1_14transform_implILb0ES3_S9_NS7_15normal_iteratorINS6_10device_ptrIxEEEENS6_16discard_iteratorINS6_11use_defaultEEEZNS1_13binary_searchIS3_S9_SE_SE_SH_NS1_21upper_bound_search_opENS7_16wrapped_functionINS0_4lessIvEEbEEEE10hipError_tPvRmT1_T2_T3_mmT4_T5_P12ihipStream_tbEUlRKxE_EESO_SS_ST_mSU_SX_bEUlT_E_NS1_11comp_targetILNS1_3genE10ELNS1_11target_archE1201ELNS1_3gpuE5ELNS1_3repE0EEENS1_30default_config_static_selectorELNS0_4arch9wavefront6targetE1EEEvSR_
                                        ; -- End function
	.section	.AMDGPU.csdata,"",@progbits
; Kernel info:
; codeLenInByte = 0
; NumSgprs: 4
; NumVgprs: 0
; NumAgprs: 0
; TotalNumVgprs: 0
; ScratchSize: 0
; MemoryBound: 0
; FloatMode: 240
; IeeeMode: 1
; LDSByteSize: 0 bytes/workgroup (compile time only)
; SGPRBlocks: 0
; VGPRBlocks: 0
; NumSGPRsForWavesPerEU: 4
; NumVGPRsForWavesPerEU: 1
; AccumOffset: 4
; Occupancy: 8
; WaveLimiterHint : 0
; COMPUTE_PGM_RSRC2:SCRATCH_EN: 0
; COMPUTE_PGM_RSRC2:USER_SGPR: 6
; COMPUTE_PGM_RSRC2:TRAP_HANDLER: 0
; COMPUTE_PGM_RSRC2:TGID_X_EN: 1
; COMPUTE_PGM_RSRC2:TGID_Y_EN: 0
; COMPUTE_PGM_RSRC2:TGID_Z_EN: 0
; COMPUTE_PGM_RSRC2:TIDIG_COMP_CNT: 0
; COMPUTE_PGM_RSRC3_GFX90A:ACCUM_OFFSET: 0
; COMPUTE_PGM_RSRC3_GFX90A:TG_SPLIT: 0
	.section	.text._ZN7rocprim17ROCPRIM_400000_NS6detail17trampoline_kernelINS0_14default_configENS1_27upper_bound_config_selectorIxN6thrust23THRUST_200600_302600_NS6detail10any_assignEEEZNS1_14transform_implILb0ES3_S9_NS7_15normal_iteratorINS6_10device_ptrIxEEEENS6_16discard_iteratorINS6_11use_defaultEEEZNS1_13binary_searchIS3_S9_SE_SE_SH_NS1_21upper_bound_search_opENS7_16wrapped_functionINS0_4lessIvEEbEEEE10hipError_tPvRmT1_T2_T3_mmT4_T5_P12ihipStream_tbEUlRKxE_EESO_SS_ST_mSU_SX_bEUlT_E_NS1_11comp_targetILNS1_3genE10ELNS1_11target_archE1200ELNS1_3gpuE4ELNS1_3repE0EEENS1_30default_config_static_selectorELNS0_4arch9wavefront6targetE1EEEvSR_,"axG",@progbits,_ZN7rocprim17ROCPRIM_400000_NS6detail17trampoline_kernelINS0_14default_configENS1_27upper_bound_config_selectorIxN6thrust23THRUST_200600_302600_NS6detail10any_assignEEEZNS1_14transform_implILb0ES3_S9_NS7_15normal_iteratorINS6_10device_ptrIxEEEENS6_16discard_iteratorINS6_11use_defaultEEEZNS1_13binary_searchIS3_S9_SE_SE_SH_NS1_21upper_bound_search_opENS7_16wrapped_functionINS0_4lessIvEEbEEEE10hipError_tPvRmT1_T2_T3_mmT4_T5_P12ihipStream_tbEUlRKxE_EESO_SS_ST_mSU_SX_bEUlT_E_NS1_11comp_targetILNS1_3genE10ELNS1_11target_archE1200ELNS1_3gpuE4ELNS1_3repE0EEENS1_30default_config_static_selectorELNS0_4arch9wavefront6targetE1EEEvSR_,comdat
	.protected	_ZN7rocprim17ROCPRIM_400000_NS6detail17trampoline_kernelINS0_14default_configENS1_27upper_bound_config_selectorIxN6thrust23THRUST_200600_302600_NS6detail10any_assignEEEZNS1_14transform_implILb0ES3_S9_NS7_15normal_iteratorINS6_10device_ptrIxEEEENS6_16discard_iteratorINS6_11use_defaultEEEZNS1_13binary_searchIS3_S9_SE_SE_SH_NS1_21upper_bound_search_opENS7_16wrapped_functionINS0_4lessIvEEbEEEE10hipError_tPvRmT1_T2_T3_mmT4_T5_P12ihipStream_tbEUlRKxE_EESO_SS_ST_mSU_SX_bEUlT_E_NS1_11comp_targetILNS1_3genE10ELNS1_11target_archE1200ELNS1_3gpuE4ELNS1_3repE0EEENS1_30default_config_static_selectorELNS0_4arch9wavefront6targetE1EEEvSR_ ; -- Begin function _ZN7rocprim17ROCPRIM_400000_NS6detail17trampoline_kernelINS0_14default_configENS1_27upper_bound_config_selectorIxN6thrust23THRUST_200600_302600_NS6detail10any_assignEEEZNS1_14transform_implILb0ES3_S9_NS7_15normal_iteratorINS6_10device_ptrIxEEEENS6_16discard_iteratorINS6_11use_defaultEEEZNS1_13binary_searchIS3_S9_SE_SE_SH_NS1_21upper_bound_search_opENS7_16wrapped_functionINS0_4lessIvEEbEEEE10hipError_tPvRmT1_T2_T3_mmT4_T5_P12ihipStream_tbEUlRKxE_EESO_SS_ST_mSU_SX_bEUlT_E_NS1_11comp_targetILNS1_3genE10ELNS1_11target_archE1200ELNS1_3gpuE4ELNS1_3repE0EEENS1_30default_config_static_selectorELNS0_4arch9wavefront6targetE1EEEvSR_
	.globl	_ZN7rocprim17ROCPRIM_400000_NS6detail17trampoline_kernelINS0_14default_configENS1_27upper_bound_config_selectorIxN6thrust23THRUST_200600_302600_NS6detail10any_assignEEEZNS1_14transform_implILb0ES3_S9_NS7_15normal_iteratorINS6_10device_ptrIxEEEENS6_16discard_iteratorINS6_11use_defaultEEEZNS1_13binary_searchIS3_S9_SE_SE_SH_NS1_21upper_bound_search_opENS7_16wrapped_functionINS0_4lessIvEEbEEEE10hipError_tPvRmT1_T2_T3_mmT4_T5_P12ihipStream_tbEUlRKxE_EESO_SS_ST_mSU_SX_bEUlT_E_NS1_11comp_targetILNS1_3genE10ELNS1_11target_archE1200ELNS1_3gpuE4ELNS1_3repE0EEENS1_30default_config_static_selectorELNS0_4arch9wavefront6targetE1EEEvSR_
	.p2align	8
	.type	_ZN7rocprim17ROCPRIM_400000_NS6detail17trampoline_kernelINS0_14default_configENS1_27upper_bound_config_selectorIxN6thrust23THRUST_200600_302600_NS6detail10any_assignEEEZNS1_14transform_implILb0ES3_S9_NS7_15normal_iteratorINS6_10device_ptrIxEEEENS6_16discard_iteratorINS6_11use_defaultEEEZNS1_13binary_searchIS3_S9_SE_SE_SH_NS1_21upper_bound_search_opENS7_16wrapped_functionINS0_4lessIvEEbEEEE10hipError_tPvRmT1_T2_T3_mmT4_T5_P12ihipStream_tbEUlRKxE_EESO_SS_ST_mSU_SX_bEUlT_E_NS1_11comp_targetILNS1_3genE10ELNS1_11target_archE1200ELNS1_3gpuE4ELNS1_3repE0EEENS1_30default_config_static_selectorELNS0_4arch9wavefront6targetE1EEEvSR_,@function
_ZN7rocprim17ROCPRIM_400000_NS6detail17trampoline_kernelINS0_14default_configENS1_27upper_bound_config_selectorIxN6thrust23THRUST_200600_302600_NS6detail10any_assignEEEZNS1_14transform_implILb0ES3_S9_NS7_15normal_iteratorINS6_10device_ptrIxEEEENS6_16discard_iteratorINS6_11use_defaultEEEZNS1_13binary_searchIS3_S9_SE_SE_SH_NS1_21upper_bound_search_opENS7_16wrapped_functionINS0_4lessIvEEbEEEE10hipError_tPvRmT1_T2_T3_mmT4_T5_P12ihipStream_tbEUlRKxE_EESO_SS_ST_mSU_SX_bEUlT_E_NS1_11comp_targetILNS1_3genE10ELNS1_11target_archE1200ELNS1_3gpuE4ELNS1_3repE0EEENS1_30default_config_static_selectorELNS0_4arch9wavefront6targetE1EEEvSR_: ; @_ZN7rocprim17ROCPRIM_400000_NS6detail17trampoline_kernelINS0_14default_configENS1_27upper_bound_config_selectorIxN6thrust23THRUST_200600_302600_NS6detail10any_assignEEEZNS1_14transform_implILb0ES3_S9_NS7_15normal_iteratorINS6_10device_ptrIxEEEENS6_16discard_iteratorINS6_11use_defaultEEEZNS1_13binary_searchIS3_S9_SE_SE_SH_NS1_21upper_bound_search_opENS7_16wrapped_functionINS0_4lessIvEEbEEEE10hipError_tPvRmT1_T2_T3_mmT4_T5_P12ihipStream_tbEUlRKxE_EESO_SS_ST_mSU_SX_bEUlT_E_NS1_11comp_targetILNS1_3genE10ELNS1_11target_archE1200ELNS1_3gpuE4ELNS1_3repE0EEENS1_30default_config_static_selectorELNS0_4arch9wavefront6targetE1EEEvSR_
; %bb.0:
	.section	.rodata,"a",@progbits
	.p2align	6, 0x0
	.amdhsa_kernel _ZN7rocprim17ROCPRIM_400000_NS6detail17trampoline_kernelINS0_14default_configENS1_27upper_bound_config_selectorIxN6thrust23THRUST_200600_302600_NS6detail10any_assignEEEZNS1_14transform_implILb0ES3_S9_NS7_15normal_iteratorINS6_10device_ptrIxEEEENS6_16discard_iteratorINS6_11use_defaultEEEZNS1_13binary_searchIS3_S9_SE_SE_SH_NS1_21upper_bound_search_opENS7_16wrapped_functionINS0_4lessIvEEbEEEE10hipError_tPvRmT1_T2_T3_mmT4_T5_P12ihipStream_tbEUlRKxE_EESO_SS_ST_mSU_SX_bEUlT_E_NS1_11comp_targetILNS1_3genE10ELNS1_11target_archE1200ELNS1_3gpuE4ELNS1_3repE0EEENS1_30default_config_static_selectorELNS0_4arch9wavefront6targetE1EEEvSR_
		.amdhsa_group_segment_fixed_size 0
		.amdhsa_private_segment_fixed_size 0
		.amdhsa_kernarg_size 64
		.amdhsa_user_sgpr_count 6
		.amdhsa_user_sgpr_private_segment_buffer 1
		.amdhsa_user_sgpr_dispatch_ptr 0
		.amdhsa_user_sgpr_queue_ptr 0
		.amdhsa_user_sgpr_kernarg_segment_ptr 1
		.amdhsa_user_sgpr_dispatch_id 0
		.amdhsa_user_sgpr_flat_scratch_init 0
		.amdhsa_user_sgpr_kernarg_preload_length 0
		.amdhsa_user_sgpr_kernarg_preload_offset 0
		.amdhsa_user_sgpr_private_segment_size 0
		.amdhsa_uses_dynamic_stack 0
		.amdhsa_system_sgpr_private_segment_wavefront_offset 0
		.amdhsa_system_sgpr_workgroup_id_x 1
		.amdhsa_system_sgpr_workgroup_id_y 0
		.amdhsa_system_sgpr_workgroup_id_z 0
		.amdhsa_system_sgpr_workgroup_info 0
		.amdhsa_system_vgpr_workitem_id 0
		.amdhsa_next_free_vgpr 1
		.amdhsa_next_free_sgpr 0
		.amdhsa_accum_offset 4
		.amdhsa_reserve_vcc 0
		.amdhsa_reserve_flat_scratch 0
		.amdhsa_float_round_mode_32 0
		.amdhsa_float_round_mode_16_64 0
		.amdhsa_float_denorm_mode_32 3
		.amdhsa_float_denorm_mode_16_64 3
		.amdhsa_dx10_clamp 1
		.amdhsa_ieee_mode 1
		.amdhsa_fp16_overflow 0
		.amdhsa_tg_split 0
		.amdhsa_exception_fp_ieee_invalid_op 0
		.amdhsa_exception_fp_denorm_src 0
		.amdhsa_exception_fp_ieee_div_zero 0
		.amdhsa_exception_fp_ieee_overflow 0
		.amdhsa_exception_fp_ieee_underflow 0
		.amdhsa_exception_fp_ieee_inexact 0
		.amdhsa_exception_int_div_zero 0
	.end_amdhsa_kernel
	.section	.text._ZN7rocprim17ROCPRIM_400000_NS6detail17trampoline_kernelINS0_14default_configENS1_27upper_bound_config_selectorIxN6thrust23THRUST_200600_302600_NS6detail10any_assignEEEZNS1_14transform_implILb0ES3_S9_NS7_15normal_iteratorINS6_10device_ptrIxEEEENS6_16discard_iteratorINS6_11use_defaultEEEZNS1_13binary_searchIS3_S9_SE_SE_SH_NS1_21upper_bound_search_opENS7_16wrapped_functionINS0_4lessIvEEbEEEE10hipError_tPvRmT1_T2_T3_mmT4_T5_P12ihipStream_tbEUlRKxE_EESO_SS_ST_mSU_SX_bEUlT_E_NS1_11comp_targetILNS1_3genE10ELNS1_11target_archE1200ELNS1_3gpuE4ELNS1_3repE0EEENS1_30default_config_static_selectorELNS0_4arch9wavefront6targetE1EEEvSR_,"axG",@progbits,_ZN7rocprim17ROCPRIM_400000_NS6detail17trampoline_kernelINS0_14default_configENS1_27upper_bound_config_selectorIxN6thrust23THRUST_200600_302600_NS6detail10any_assignEEEZNS1_14transform_implILb0ES3_S9_NS7_15normal_iteratorINS6_10device_ptrIxEEEENS6_16discard_iteratorINS6_11use_defaultEEEZNS1_13binary_searchIS3_S9_SE_SE_SH_NS1_21upper_bound_search_opENS7_16wrapped_functionINS0_4lessIvEEbEEEE10hipError_tPvRmT1_T2_T3_mmT4_T5_P12ihipStream_tbEUlRKxE_EESO_SS_ST_mSU_SX_bEUlT_E_NS1_11comp_targetILNS1_3genE10ELNS1_11target_archE1200ELNS1_3gpuE4ELNS1_3repE0EEENS1_30default_config_static_selectorELNS0_4arch9wavefront6targetE1EEEvSR_,comdat
.Lfunc_end579:
	.size	_ZN7rocprim17ROCPRIM_400000_NS6detail17trampoline_kernelINS0_14default_configENS1_27upper_bound_config_selectorIxN6thrust23THRUST_200600_302600_NS6detail10any_assignEEEZNS1_14transform_implILb0ES3_S9_NS7_15normal_iteratorINS6_10device_ptrIxEEEENS6_16discard_iteratorINS6_11use_defaultEEEZNS1_13binary_searchIS3_S9_SE_SE_SH_NS1_21upper_bound_search_opENS7_16wrapped_functionINS0_4lessIvEEbEEEE10hipError_tPvRmT1_T2_T3_mmT4_T5_P12ihipStream_tbEUlRKxE_EESO_SS_ST_mSU_SX_bEUlT_E_NS1_11comp_targetILNS1_3genE10ELNS1_11target_archE1200ELNS1_3gpuE4ELNS1_3repE0EEENS1_30default_config_static_selectorELNS0_4arch9wavefront6targetE1EEEvSR_, .Lfunc_end579-_ZN7rocprim17ROCPRIM_400000_NS6detail17trampoline_kernelINS0_14default_configENS1_27upper_bound_config_selectorIxN6thrust23THRUST_200600_302600_NS6detail10any_assignEEEZNS1_14transform_implILb0ES3_S9_NS7_15normal_iteratorINS6_10device_ptrIxEEEENS6_16discard_iteratorINS6_11use_defaultEEEZNS1_13binary_searchIS3_S9_SE_SE_SH_NS1_21upper_bound_search_opENS7_16wrapped_functionINS0_4lessIvEEbEEEE10hipError_tPvRmT1_T2_T3_mmT4_T5_P12ihipStream_tbEUlRKxE_EESO_SS_ST_mSU_SX_bEUlT_E_NS1_11comp_targetILNS1_3genE10ELNS1_11target_archE1200ELNS1_3gpuE4ELNS1_3repE0EEENS1_30default_config_static_selectorELNS0_4arch9wavefront6targetE1EEEvSR_
                                        ; -- End function
	.section	.AMDGPU.csdata,"",@progbits
; Kernel info:
; codeLenInByte = 0
; NumSgprs: 4
; NumVgprs: 0
; NumAgprs: 0
; TotalNumVgprs: 0
; ScratchSize: 0
; MemoryBound: 0
; FloatMode: 240
; IeeeMode: 1
; LDSByteSize: 0 bytes/workgroup (compile time only)
; SGPRBlocks: 0
; VGPRBlocks: 0
; NumSGPRsForWavesPerEU: 4
; NumVGPRsForWavesPerEU: 1
; AccumOffset: 4
; Occupancy: 8
; WaveLimiterHint : 0
; COMPUTE_PGM_RSRC2:SCRATCH_EN: 0
; COMPUTE_PGM_RSRC2:USER_SGPR: 6
; COMPUTE_PGM_RSRC2:TRAP_HANDLER: 0
; COMPUTE_PGM_RSRC2:TGID_X_EN: 1
; COMPUTE_PGM_RSRC2:TGID_Y_EN: 0
; COMPUTE_PGM_RSRC2:TGID_Z_EN: 0
; COMPUTE_PGM_RSRC2:TIDIG_COMP_CNT: 0
; COMPUTE_PGM_RSRC3_GFX90A:ACCUM_OFFSET: 0
; COMPUTE_PGM_RSRC3_GFX90A:TG_SPLIT: 0
	.section	.text._ZN7rocprim17ROCPRIM_400000_NS6detail17trampoline_kernelINS0_14default_configENS1_27upper_bound_config_selectorIxN6thrust23THRUST_200600_302600_NS6detail10any_assignEEEZNS1_14transform_implILb0ES3_S9_NS7_15normal_iteratorINS6_10device_ptrIxEEEENS6_16discard_iteratorINS6_11use_defaultEEEZNS1_13binary_searchIS3_S9_SE_SE_SH_NS1_21upper_bound_search_opENS7_16wrapped_functionINS0_4lessIvEEbEEEE10hipError_tPvRmT1_T2_T3_mmT4_T5_P12ihipStream_tbEUlRKxE_EESO_SS_ST_mSU_SX_bEUlT_E_NS1_11comp_targetILNS1_3genE9ELNS1_11target_archE1100ELNS1_3gpuE3ELNS1_3repE0EEENS1_30default_config_static_selectorELNS0_4arch9wavefront6targetE1EEEvSR_,"axG",@progbits,_ZN7rocprim17ROCPRIM_400000_NS6detail17trampoline_kernelINS0_14default_configENS1_27upper_bound_config_selectorIxN6thrust23THRUST_200600_302600_NS6detail10any_assignEEEZNS1_14transform_implILb0ES3_S9_NS7_15normal_iteratorINS6_10device_ptrIxEEEENS6_16discard_iteratorINS6_11use_defaultEEEZNS1_13binary_searchIS3_S9_SE_SE_SH_NS1_21upper_bound_search_opENS7_16wrapped_functionINS0_4lessIvEEbEEEE10hipError_tPvRmT1_T2_T3_mmT4_T5_P12ihipStream_tbEUlRKxE_EESO_SS_ST_mSU_SX_bEUlT_E_NS1_11comp_targetILNS1_3genE9ELNS1_11target_archE1100ELNS1_3gpuE3ELNS1_3repE0EEENS1_30default_config_static_selectorELNS0_4arch9wavefront6targetE1EEEvSR_,comdat
	.protected	_ZN7rocprim17ROCPRIM_400000_NS6detail17trampoline_kernelINS0_14default_configENS1_27upper_bound_config_selectorIxN6thrust23THRUST_200600_302600_NS6detail10any_assignEEEZNS1_14transform_implILb0ES3_S9_NS7_15normal_iteratorINS6_10device_ptrIxEEEENS6_16discard_iteratorINS6_11use_defaultEEEZNS1_13binary_searchIS3_S9_SE_SE_SH_NS1_21upper_bound_search_opENS7_16wrapped_functionINS0_4lessIvEEbEEEE10hipError_tPvRmT1_T2_T3_mmT4_T5_P12ihipStream_tbEUlRKxE_EESO_SS_ST_mSU_SX_bEUlT_E_NS1_11comp_targetILNS1_3genE9ELNS1_11target_archE1100ELNS1_3gpuE3ELNS1_3repE0EEENS1_30default_config_static_selectorELNS0_4arch9wavefront6targetE1EEEvSR_ ; -- Begin function _ZN7rocprim17ROCPRIM_400000_NS6detail17trampoline_kernelINS0_14default_configENS1_27upper_bound_config_selectorIxN6thrust23THRUST_200600_302600_NS6detail10any_assignEEEZNS1_14transform_implILb0ES3_S9_NS7_15normal_iteratorINS6_10device_ptrIxEEEENS6_16discard_iteratorINS6_11use_defaultEEEZNS1_13binary_searchIS3_S9_SE_SE_SH_NS1_21upper_bound_search_opENS7_16wrapped_functionINS0_4lessIvEEbEEEE10hipError_tPvRmT1_T2_T3_mmT4_T5_P12ihipStream_tbEUlRKxE_EESO_SS_ST_mSU_SX_bEUlT_E_NS1_11comp_targetILNS1_3genE9ELNS1_11target_archE1100ELNS1_3gpuE3ELNS1_3repE0EEENS1_30default_config_static_selectorELNS0_4arch9wavefront6targetE1EEEvSR_
	.globl	_ZN7rocprim17ROCPRIM_400000_NS6detail17trampoline_kernelINS0_14default_configENS1_27upper_bound_config_selectorIxN6thrust23THRUST_200600_302600_NS6detail10any_assignEEEZNS1_14transform_implILb0ES3_S9_NS7_15normal_iteratorINS6_10device_ptrIxEEEENS6_16discard_iteratorINS6_11use_defaultEEEZNS1_13binary_searchIS3_S9_SE_SE_SH_NS1_21upper_bound_search_opENS7_16wrapped_functionINS0_4lessIvEEbEEEE10hipError_tPvRmT1_T2_T3_mmT4_T5_P12ihipStream_tbEUlRKxE_EESO_SS_ST_mSU_SX_bEUlT_E_NS1_11comp_targetILNS1_3genE9ELNS1_11target_archE1100ELNS1_3gpuE3ELNS1_3repE0EEENS1_30default_config_static_selectorELNS0_4arch9wavefront6targetE1EEEvSR_
	.p2align	8
	.type	_ZN7rocprim17ROCPRIM_400000_NS6detail17trampoline_kernelINS0_14default_configENS1_27upper_bound_config_selectorIxN6thrust23THRUST_200600_302600_NS6detail10any_assignEEEZNS1_14transform_implILb0ES3_S9_NS7_15normal_iteratorINS6_10device_ptrIxEEEENS6_16discard_iteratorINS6_11use_defaultEEEZNS1_13binary_searchIS3_S9_SE_SE_SH_NS1_21upper_bound_search_opENS7_16wrapped_functionINS0_4lessIvEEbEEEE10hipError_tPvRmT1_T2_T3_mmT4_T5_P12ihipStream_tbEUlRKxE_EESO_SS_ST_mSU_SX_bEUlT_E_NS1_11comp_targetILNS1_3genE9ELNS1_11target_archE1100ELNS1_3gpuE3ELNS1_3repE0EEENS1_30default_config_static_selectorELNS0_4arch9wavefront6targetE1EEEvSR_,@function
_ZN7rocprim17ROCPRIM_400000_NS6detail17trampoline_kernelINS0_14default_configENS1_27upper_bound_config_selectorIxN6thrust23THRUST_200600_302600_NS6detail10any_assignEEEZNS1_14transform_implILb0ES3_S9_NS7_15normal_iteratorINS6_10device_ptrIxEEEENS6_16discard_iteratorINS6_11use_defaultEEEZNS1_13binary_searchIS3_S9_SE_SE_SH_NS1_21upper_bound_search_opENS7_16wrapped_functionINS0_4lessIvEEbEEEE10hipError_tPvRmT1_T2_T3_mmT4_T5_P12ihipStream_tbEUlRKxE_EESO_SS_ST_mSU_SX_bEUlT_E_NS1_11comp_targetILNS1_3genE9ELNS1_11target_archE1100ELNS1_3gpuE3ELNS1_3repE0EEENS1_30default_config_static_selectorELNS0_4arch9wavefront6targetE1EEEvSR_: ; @_ZN7rocprim17ROCPRIM_400000_NS6detail17trampoline_kernelINS0_14default_configENS1_27upper_bound_config_selectorIxN6thrust23THRUST_200600_302600_NS6detail10any_assignEEEZNS1_14transform_implILb0ES3_S9_NS7_15normal_iteratorINS6_10device_ptrIxEEEENS6_16discard_iteratorINS6_11use_defaultEEEZNS1_13binary_searchIS3_S9_SE_SE_SH_NS1_21upper_bound_search_opENS7_16wrapped_functionINS0_4lessIvEEbEEEE10hipError_tPvRmT1_T2_T3_mmT4_T5_P12ihipStream_tbEUlRKxE_EESO_SS_ST_mSU_SX_bEUlT_E_NS1_11comp_targetILNS1_3genE9ELNS1_11target_archE1100ELNS1_3gpuE3ELNS1_3repE0EEENS1_30default_config_static_selectorELNS0_4arch9wavefront6targetE1EEEvSR_
; %bb.0:
	.section	.rodata,"a",@progbits
	.p2align	6, 0x0
	.amdhsa_kernel _ZN7rocprim17ROCPRIM_400000_NS6detail17trampoline_kernelINS0_14default_configENS1_27upper_bound_config_selectorIxN6thrust23THRUST_200600_302600_NS6detail10any_assignEEEZNS1_14transform_implILb0ES3_S9_NS7_15normal_iteratorINS6_10device_ptrIxEEEENS6_16discard_iteratorINS6_11use_defaultEEEZNS1_13binary_searchIS3_S9_SE_SE_SH_NS1_21upper_bound_search_opENS7_16wrapped_functionINS0_4lessIvEEbEEEE10hipError_tPvRmT1_T2_T3_mmT4_T5_P12ihipStream_tbEUlRKxE_EESO_SS_ST_mSU_SX_bEUlT_E_NS1_11comp_targetILNS1_3genE9ELNS1_11target_archE1100ELNS1_3gpuE3ELNS1_3repE0EEENS1_30default_config_static_selectorELNS0_4arch9wavefront6targetE1EEEvSR_
		.amdhsa_group_segment_fixed_size 0
		.amdhsa_private_segment_fixed_size 0
		.amdhsa_kernarg_size 64
		.amdhsa_user_sgpr_count 6
		.amdhsa_user_sgpr_private_segment_buffer 1
		.amdhsa_user_sgpr_dispatch_ptr 0
		.amdhsa_user_sgpr_queue_ptr 0
		.amdhsa_user_sgpr_kernarg_segment_ptr 1
		.amdhsa_user_sgpr_dispatch_id 0
		.amdhsa_user_sgpr_flat_scratch_init 0
		.amdhsa_user_sgpr_kernarg_preload_length 0
		.amdhsa_user_sgpr_kernarg_preload_offset 0
		.amdhsa_user_sgpr_private_segment_size 0
		.amdhsa_uses_dynamic_stack 0
		.amdhsa_system_sgpr_private_segment_wavefront_offset 0
		.amdhsa_system_sgpr_workgroup_id_x 1
		.amdhsa_system_sgpr_workgroup_id_y 0
		.amdhsa_system_sgpr_workgroup_id_z 0
		.amdhsa_system_sgpr_workgroup_info 0
		.amdhsa_system_vgpr_workitem_id 0
		.amdhsa_next_free_vgpr 1
		.amdhsa_next_free_sgpr 0
		.amdhsa_accum_offset 4
		.amdhsa_reserve_vcc 0
		.amdhsa_reserve_flat_scratch 0
		.amdhsa_float_round_mode_32 0
		.amdhsa_float_round_mode_16_64 0
		.amdhsa_float_denorm_mode_32 3
		.amdhsa_float_denorm_mode_16_64 3
		.amdhsa_dx10_clamp 1
		.amdhsa_ieee_mode 1
		.amdhsa_fp16_overflow 0
		.amdhsa_tg_split 0
		.amdhsa_exception_fp_ieee_invalid_op 0
		.amdhsa_exception_fp_denorm_src 0
		.amdhsa_exception_fp_ieee_div_zero 0
		.amdhsa_exception_fp_ieee_overflow 0
		.amdhsa_exception_fp_ieee_underflow 0
		.amdhsa_exception_fp_ieee_inexact 0
		.amdhsa_exception_int_div_zero 0
	.end_amdhsa_kernel
	.section	.text._ZN7rocprim17ROCPRIM_400000_NS6detail17trampoline_kernelINS0_14default_configENS1_27upper_bound_config_selectorIxN6thrust23THRUST_200600_302600_NS6detail10any_assignEEEZNS1_14transform_implILb0ES3_S9_NS7_15normal_iteratorINS6_10device_ptrIxEEEENS6_16discard_iteratorINS6_11use_defaultEEEZNS1_13binary_searchIS3_S9_SE_SE_SH_NS1_21upper_bound_search_opENS7_16wrapped_functionINS0_4lessIvEEbEEEE10hipError_tPvRmT1_T2_T3_mmT4_T5_P12ihipStream_tbEUlRKxE_EESO_SS_ST_mSU_SX_bEUlT_E_NS1_11comp_targetILNS1_3genE9ELNS1_11target_archE1100ELNS1_3gpuE3ELNS1_3repE0EEENS1_30default_config_static_selectorELNS0_4arch9wavefront6targetE1EEEvSR_,"axG",@progbits,_ZN7rocprim17ROCPRIM_400000_NS6detail17trampoline_kernelINS0_14default_configENS1_27upper_bound_config_selectorIxN6thrust23THRUST_200600_302600_NS6detail10any_assignEEEZNS1_14transform_implILb0ES3_S9_NS7_15normal_iteratorINS6_10device_ptrIxEEEENS6_16discard_iteratorINS6_11use_defaultEEEZNS1_13binary_searchIS3_S9_SE_SE_SH_NS1_21upper_bound_search_opENS7_16wrapped_functionINS0_4lessIvEEbEEEE10hipError_tPvRmT1_T2_T3_mmT4_T5_P12ihipStream_tbEUlRKxE_EESO_SS_ST_mSU_SX_bEUlT_E_NS1_11comp_targetILNS1_3genE9ELNS1_11target_archE1100ELNS1_3gpuE3ELNS1_3repE0EEENS1_30default_config_static_selectorELNS0_4arch9wavefront6targetE1EEEvSR_,comdat
.Lfunc_end580:
	.size	_ZN7rocprim17ROCPRIM_400000_NS6detail17trampoline_kernelINS0_14default_configENS1_27upper_bound_config_selectorIxN6thrust23THRUST_200600_302600_NS6detail10any_assignEEEZNS1_14transform_implILb0ES3_S9_NS7_15normal_iteratorINS6_10device_ptrIxEEEENS6_16discard_iteratorINS6_11use_defaultEEEZNS1_13binary_searchIS3_S9_SE_SE_SH_NS1_21upper_bound_search_opENS7_16wrapped_functionINS0_4lessIvEEbEEEE10hipError_tPvRmT1_T2_T3_mmT4_T5_P12ihipStream_tbEUlRKxE_EESO_SS_ST_mSU_SX_bEUlT_E_NS1_11comp_targetILNS1_3genE9ELNS1_11target_archE1100ELNS1_3gpuE3ELNS1_3repE0EEENS1_30default_config_static_selectorELNS0_4arch9wavefront6targetE1EEEvSR_, .Lfunc_end580-_ZN7rocprim17ROCPRIM_400000_NS6detail17trampoline_kernelINS0_14default_configENS1_27upper_bound_config_selectorIxN6thrust23THRUST_200600_302600_NS6detail10any_assignEEEZNS1_14transform_implILb0ES3_S9_NS7_15normal_iteratorINS6_10device_ptrIxEEEENS6_16discard_iteratorINS6_11use_defaultEEEZNS1_13binary_searchIS3_S9_SE_SE_SH_NS1_21upper_bound_search_opENS7_16wrapped_functionINS0_4lessIvEEbEEEE10hipError_tPvRmT1_T2_T3_mmT4_T5_P12ihipStream_tbEUlRKxE_EESO_SS_ST_mSU_SX_bEUlT_E_NS1_11comp_targetILNS1_3genE9ELNS1_11target_archE1100ELNS1_3gpuE3ELNS1_3repE0EEENS1_30default_config_static_selectorELNS0_4arch9wavefront6targetE1EEEvSR_
                                        ; -- End function
	.section	.AMDGPU.csdata,"",@progbits
; Kernel info:
; codeLenInByte = 0
; NumSgprs: 4
; NumVgprs: 0
; NumAgprs: 0
; TotalNumVgprs: 0
; ScratchSize: 0
; MemoryBound: 0
; FloatMode: 240
; IeeeMode: 1
; LDSByteSize: 0 bytes/workgroup (compile time only)
; SGPRBlocks: 0
; VGPRBlocks: 0
; NumSGPRsForWavesPerEU: 4
; NumVGPRsForWavesPerEU: 1
; AccumOffset: 4
; Occupancy: 8
; WaveLimiterHint : 0
; COMPUTE_PGM_RSRC2:SCRATCH_EN: 0
; COMPUTE_PGM_RSRC2:USER_SGPR: 6
; COMPUTE_PGM_RSRC2:TRAP_HANDLER: 0
; COMPUTE_PGM_RSRC2:TGID_X_EN: 1
; COMPUTE_PGM_RSRC2:TGID_Y_EN: 0
; COMPUTE_PGM_RSRC2:TGID_Z_EN: 0
; COMPUTE_PGM_RSRC2:TIDIG_COMP_CNT: 0
; COMPUTE_PGM_RSRC3_GFX90A:ACCUM_OFFSET: 0
; COMPUTE_PGM_RSRC3_GFX90A:TG_SPLIT: 0
	.section	.text._ZN7rocprim17ROCPRIM_400000_NS6detail17trampoline_kernelINS0_14default_configENS1_27upper_bound_config_selectorIxN6thrust23THRUST_200600_302600_NS6detail10any_assignEEEZNS1_14transform_implILb0ES3_S9_NS7_15normal_iteratorINS6_10device_ptrIxEEEENS6_16discard_iteratorINS6_11use_defaultEEEZNS1_13binary_searchIS3_S9_SE_SE_SH_NS1_21upper_bound_search_opENS7_16wrapped_functionINS0_4lessIvEEbEEEE10hipError_tPvRmT1_T2_T3_mmT4_T5_P12ihipStream_tbEUlRKxE_EESO_SS_ST_mSU_SX_bEUlT_E_NS1_11comp_targetILNS1_3genE8ELNS1_11target_archE1030ELNS1_3gpuE2ELNS1_3repE0EEENS1_30default_config_static_selectorELNS0_4arch9wavefront6targetE1EEEvSR_,"axG",@progbits,_ZN7rocprim17ROCPRIM_400000_NS6detail17trampoline_kernelINS0_14default_configENS1_27upper_bound_config_selectorIxN6thrust23THRUST_200600_302600_NS6detail10any_assignEEEZNS1_14transform_implILb0ES3_S9_NS7_15normal_iteratorINS6_10device_ptrIxEEEENS6_16discard_iteratorINS6_11use_defaultEEEZNS1_13binary_searchIS3_S9_SE_SE_SH_NS1_21upper_bound_search_opENS7_16wrapped_functionINS0_4lessIvEEbEEEE10hipError_tPvRmT1_T2_T3_mmT4_T5_P12ihipStream_tbEUlRKxE_EESO_SS_ST_mSU_SX_bEUlT_E_NS1_11comp_targetILNS1_3genE8ELNS1_11target_archE1030ELNS1_3gpuE2ELNS1_3repE0EEENS1_30default_config_static_selectorELNS0_4arch9wavefront6targetE1EEEvSR_,comdat
	.protected	_ZN7rocprim17ROCPRIM_400000_NS6detail17trampoline_kernelINS0_14default_configENS1_27upper_bound_config_selectorIxN6thrust23THRUST_200600_302600_NS6detail10any_assignEEEZNS1_14transform_implILb0ES3_S9_NS7_15normal_iteratorINS6_10device_ptrIxEEEENS6_16discard_iteratorINS6_11use_defaultEEEZNS1_13binary_searchIS3_S9_SE_SE_SH_NS1_21upper_bound_search_opENS7_16wrapped_functionINS0_4lessIvEEbEEEE10hipError_tPvRmT1_T2_T3_mmT4_T5_P12ihipStream_tbEUlRKxE_EESO_SS_ST_mSU_SX_bEUlT_E_NS1_11comp_targetILNS1_3genE8ELNS1_11target_archE1030ELNS1_3gpuE2ELNS1_3repE0EEENS1_30default_config_static_selectorELNS0_4arch9wavefront6targetE1EEEvSR_ ; -- Begin function _ZN7rocprim17ROCPRIM_400000_NS6detail17trampoline_kernelINS0_14default_configENS1_27upper_bound_config_selectorIxN6thrust23THRUST_200600_302600_NS6detail10any_assignEEEZNS1_14transform_implILb0ES3_S9_NS7_15normal_iteratorINS6_10device_ptrIxEEEENS6_16discard_iteratorINS6_11use_defaultEEEZNS1_13binary_searchIS3_S9_SE_SE_SH_NS1_21upper_bound_search_opENS7_16wrapped_functionINS0_4lessIvEEbEEEE10hipError_tPvRmT1_T2_T3_mmT4_T5_P12ihipStream_tbEUlRKxE_EESO_SS_ST_mSU_SX_bEUlT_E_NS1_11comp_targetILNS1_3genE8ELNS1_11target_archE1030ELNS1_3gpuE2ELNS1_3repE0EEENS1_30default_config_static_selectorELNS0_4arch9wavefront6targetE1EEEvSR_
	.globl	_ZN7rocprim17ROCPRIM_400000_NS6detail17trampoline_kernelINS0_14default_configENS1_27upper_bound_config_selectorIxN6thrust23THRUST_200600_302600_NS6detail10any_assignEEEZNS1_14transform_implILb0ES3_S9_NS7_15normal_iteratorINS6_10device_ptrIxEEEENS6_16discard_iteratorINS6_11use_defaultEEEZNS1_13binary_searchIS3_S9_SE_SE_SH_NS1_21upper_bound_search_opENS7_16wrapped_functionINS0_4lessIvEEbEEEE10hipError_tPvRmT1_T2_T3_mmT4_T5_P12ihipStream_tbEUlRKxE_EESO_SS_ST_mSU_SX_bEUlT_E_NS1_11comp_targetILNS1_3genE8ELNS1_11target_archE1030ELNS1_3gpuE2ELNS1_3repE0EEENS1_30default_config_static_selectorELNS0_4arch9wavefront6targetE1EEEvSR_
	.p2align	8
	.type	_ZN7rocprim17ROCPRIM_400000_NS6detail17trampoline_kernelINS0_14default_configENS1_27upper_bound_config_selectorIxN6thrust23THRUST_200600_302600_NS6detail10any_assignEEEZNS1_14transform_implILb0ES3_S9_NS7_15normal_iteratorINS6_10device_ptrIxEEEENS6_16discard_iteratorINS6_11use_defaultEEEZNS1_13binary_searchIS3_S9_SE_SE_SH_NS1_21upper_bound_search_opENS7_16wrapped_functionINS0_4lessIvEEbEEEE10hipError_tPvRmT1_T2_T3_mmT4_T5_P12ihipStream_tbEUlRKxE_EESO_SS_ST_mSU_SX_bEUlT_E_NS1_11comp_targetILNS1_3genE8ELNS1_11target_archE1030ELNS1_3gpuE2ELNS1_3repE0EEENS1_30default_config_static_selectorELNS0_4arch9wavefront6targetE1EEEvSR_,@function
_ZN7rocprim17ROCPRIM_400000_NS6detail17trampoline_kernelINS0_14default_configENS1_27upper_bound_config_selectorIxN6thrust23THRUST_200600_302600_NS6detail10any_assignEEEZNS1_14transform_implILb0ES3_S9_NS7_15normal_iteratorINS6_10device_ptrIxEEEENS6_16discard_iteratorINS6_11use_defaultEEEZNS1_13binary_searchIS3_S9_SE_SE_SH_NS1_21upper_bound_search_opENS7_16wrapped_functionINS0_4lessIvEEbEEEE10hipError_tPvRmT1_T2_T3_mmT4_T5_P12ihipStream_tbEUlRKxE_EESO_SS_ST_mSU_SX_bEUlT_E_NS1_11comp_targetILNS1_3genE8ELNS1_11target_archE1030ELNS1_3gpuE2ELNS1_3repE0EEENS1_30default_config_static_selectorELNS0_4arch9wavefront6targetE1EEEvSR_: ; @_ZN7rocprim17ROCPRIM_400000_NS6detail17trampoline_kernelINS0_14default_configENS1_27upper_bound_config_selectorIxN6thrust23THRUST_200600_302600_NS6detail10any_assignEEEZNS1_14transform_implILb0ES3_S9_NS7_15normal_iteratorINS6_10device_ptrIxEEEENS6_16discard_iteratorINS6_11use_defaultEEEZNS1_13binary_searchIS3_S9_SE_SE_SH_NS1_21upper_bound_search_opENS7_16wrapped_functionINS0_4lessIvEEbEEEE10hipError_tPvRmT1_T2_T3_mmT4_T5_P12ihipStream_tbEUlRKxE_EESO_SS_ST_mSU_SX_bEUlT_E_NS1_11comp_targetILNS1_3genE8ELNS1_11target_archE1030ELNS1_3gpuE2ELNS1_3repE0EEENS1_30default_config_static_selectorELNS0_4arch9wavefront6targetE1EEEvSR_
; %bb.0:
	.section	.rodata,"a",@progbits
	.p2align	6, 0x0
	.amdhsa_kernel _ZN7rocprim17ROCPRIM_400000_NS6detail17trampoline_kernelINS0_14default_configENS1_27upper_bound_config_selectorIxN6thrust23THRUST_200600_302600_NS6detail10any_assignEEEZNS1_14transform_implILb0ES3_S9_NS7_15normal_iteratorINS6_10device_ptrIxEEEENS6_16discard_iteratorINS6_11use_defaultEEEZNS1_13binary_searchIS3_S9_SE_SE_SH_NS1_21upper_bound_search_opENS7_16wrapped_functionINS0_4lessIvEEbEEEE10hipError_tPvRmT1_T2_T3_mmT4_T5_P12ihipStream_tbEUlRKxE_EESO_SS_ST_mSU_SX_bEUlT_E_NS1_11comp_targetILNS1_3genE8ELNS1_11target_archE1030ELNS1_3gpuE2ELNS1_3repE0EEENS1_30default_config_static_selectorELNS0_4arch9wavefront6targetE1EEEvSR_
		.amdhsa_group_segment_fixed_size 0
		.amdhsa_private_segment_fixed_size 0
		.amdhsa_kernarg_size 64
		.amdhsa_user_sgpr_count 6
		.amdhsa_user_sgpr_private_segment_buffer 1
		.amdhsa_user_sgpr_dispatch_ptr 0
		.amdhsa_user_sgpr_queue_ptr 0
		.amdhsa_user_sgpr_kernarg_segment_ptr 1
		.amdhsa_user_sgpr_dispatch_id 0
		.amdhsa_user_sgpr_flat_scratch_init 0
		.amdhsa_user_sgpr_kernarg_preload_length 0
		.amdhsa_user_sgpr_kernarg_preload_offset 0
		.amdhsa_user_sgpr_private_segment_size 0
		.amdhsa_uses_dynamic_stack 0
		.amdhsa_system_sgpr_private_segment_wavefront_offset 0
		.amdhsa_system_sgpr_workgroup_id_x 1
		.amdhsa_system_sgpr_workgroup_id_y 0
		.amdhsa_system_sgpr_workgroup_id_z 0
		.amdhsa_system_sgpr_workgroup_info 0
		.amdhsa_system_vgpr_workitem_id 0
		.amdhsa_next_free_vgpr 1
		.amdhsa_next_free_sgpr 0
		.amdhsa_accum_offset 4
		.amdhsa_reserve_vcc 0
		.amdhsa_reserve_flat_scratch 0
		.amdhsa_float_round_mode_32 0
		.amdhsa_float_round_mode_16_64 0
		.amdhsa_float_denorm_mode_32 3
		.amdhsa_float_denorm_mode_16_64 3
		.amdhsa_dx10_clamp 1
		.amdhsa_ieee_mode 1
		.amdhsa_fp16_overflow 0
		.amdhsa_tg_split 0
		.amdhsa_exception_fp_ieee_invalid_op 0
		.amdhsa_exception_fp_denorm_src 0
		.amdhsa_exception_fp_ieee_div_zero 0
		.amdhsa_exception_fp_ieee_overflow 0
		.amdhsa_exception_fp_ieee_underflow 0
		.amdhsa_exception_fp_ieee_inexact 0
		.amdhsa_exception_int_div_zero 0
	.end_amdhsa_kernel
	.section	.text._ZN7rocprim17ROCPRIM_400000_NS6detail17trampoline_kernelINS0_14default_configENS1_27upper_bound_config_selectorIxN6thrust23THRUST_200600_302600_NS6detail10any_assignEEEZNS1_14transform_implILb0ES3_S9_NS7_15normal_iteratorINS6_10device_ptrIxEEEENS6_16discard_iteratorINS6_11use_defaultEEEZNS1_13binary_searchIS3_S9_SE_SE_SH_NS1_21upper_bound_search_opENS7_16wrapped_functionINS0_4lessIvEEbEEEE10hipError_tPvRmT1_T2_T3_mmT4_T5_P12ihipStream_tbEUlRKxE_EESO_SS_ST_mSU_SX_bEUlT_E_NS1_11comp_targetILNS1_3genE8ELNS1_11target_archE1030ELNS1_3gpuE2ELNS1_3repE0EEENS1_30default_config_static_selectorELNS0_4arch9wavefront6targetE1EEEvSR_,"axG",@progbits,_ZN7rocprim17ROCPRIM_400000_NS6detail17trampoline_kernelINS0_14default_configENS1_27upper_bound_config_selectorIxN6thrust23THRUST_200600_302600_NS6detail10any_assignEEEZNS1_14transform_implILb0ES3_S9_NS7_15normal_iteratorINS6_10device_ptrIxEEEENS6_16discard_iteratorINS6_11use_defaultEEEZNS1_13binary_searchIS3_S9_SE_SE_SH_NS1_21upper_bound_search_opENS7_16wrapped_functionINS0_4lessIvEEbEEEE10hipError_tPvRmT1_T2_T3_mmT4_T5_P12ihipStream_tbEUlRKxE_EESO_SS_ST_mSU_SX_bEUlT_E_NS1_11comp_targetILNS1_3genE8ELNS1_11target_archE1030ELNS1_3gpuE2ELNS1_3repE0EEENS1_30default_config_static_selectorELNS0_4arch9wavefront6targetE1EEEvSR_,comdat
.Lfunc_end581:
	.size	_ZN7rocprim17ROCPRIM_400000_NS6detail17trampoline_kernelINS0_14default_configENS1_27upper_bound_config_selectorIxN6thrust23THRUST_200600_302600_NS6detail10any_assignEEEZNS1_14transform_implILb0ES3_S9_NS7_15normal_iteratorINS6_10device_ptrIxEEEENS6_16discard_iteratorINS6_11use_defaultEEEZNS1_13binary_searchIS3_S9_SE_SE_SH_NS1_21upper_bound_search_opENS7_16wrapped_functionINS0_4lessIvEEbEEEE10hipError_tPvRmT1_T2_T3_mmT4_T5_P12ihipStream_tbEUlRKxE_EESO_SS_ST_mSU_SX_bEUlT_E_NS1_11comp_targetILNS1_3genE8ELNS1_11target_archE1030ELNS1_3gpuE2ELNS1_3repE0EEENS1_30default_config_static_selectorELNS0_4arch9wavefront6targetE1EEEvSR_, .Lfunc_end581-_ZN7rocprim17ROCPRIM_400000_NS6detail17trampoline_kernelINS0_14default_configENS1_27upper_bound_config_selectorIxN6thrust23THRUST_200600_302600_NS6detail10any_assignEEEZNS1_14transform_implILb0ES3_S9_NS7_15normal_iteratorINS6_10device_ptrIxEEEENS6_16discard_iteratorINS6_11use_defaultEEEZNS1_13binary_searchIS3_S9_SE_SE_SH_NS1_21upper_bound_search_opENS7_16wrapped_functionINS0_4lessIvEEbEEEE10hipError_tPvRmT1_T2_T3_mmT4_T5_P12ihipStream_tbEUlRKxE_EESO_SS_ST_mSU_SX_bEUlT_E_NS1_11comp_targetILNS1_3genE8ELNS1_11target_archE1030ELNS1_3gpuE2ELNS1_3repE0EEENS1_30default_config_static_selectorELNS0_4arch9wavefront6targetE1EEEvSR_
                                        ; -- End function
	.section	.AMDGPU.csdata,"",@progbits
; Kernel info:
; codeLenInByte = 0
; NumSgprs: 4
; NumVgprs: 0
; NumAgprs: 0
; TotalNumVgprs: 0
; ScratchSize: 0
; MemoryBound: 0
; FloatMode: 240
; IeeeMode: 1
; LDSByteSize: 0 bytes/workgroup (compile time only)
; SGPRBlocks: 0
; VGPRBlocks: 0
; NumSGPRsForWavesPerEU: 4
; NumVGPRsForWavesPerEU: 1
; AccumOffset: 4
; Occupancy: 8
; WaveLimiterHint : 0
; COMPUTE_PGM_RSRC2:SCRATCH_EN: 0
; COMPUTE_PGM_RSRC2:USER_SGPR: 6
; COMPUTE_PGM_RSRC2:TRAP_HANDLER: 0
; COMPUTE_PGM_RSRC2:TGID_X_EN: 1
; COMPUTE_PGM_RSRC2:TGID_Y_EN: 0
; COMPUTE_PGM_RSRC2:TGID_Z_EN: 0
; COMPUTE_PGM_RSRC2:TIDIG_COMP_CNT: 0
; COMPUTE_PGM_RSRC3_GFX90A:ACCUM_OFFSET: 0
; COMPUTE_PGM_RSRC3_GFX90A:TG_SPLIT: 0
	.section	.text._ZN7rocprim17ROCPRIM_400000_NS6detail17trampoline_kernelINS0_14default_configENS1_27upper_bound_config_selectorIiN6thrust23THRUST_200600_302600_NS6detail10any_assignEEEZNS1_14transform_implILb0ES3_S9_NS7_15normal_iteratorINS6_10device_ptrIiEEEENS6_16discard_iteratorINS6_11use_defaultEEEZNS1_13binary_searchIS3_S9_SE_SE_SH_NS1_21upper_bound_search_opENS7_16wrapped_functionINS0_4lessIvEEbEEEE10hipError_tPvRmT1_T2_T3_mmT4_T5_P12ihipStream_tbEUlRKiE_EESO_SS_ST_mSU_SX_bEUlT_E_NS1_11comp_targetILNS1_3genE0ELNS1_11target_archE4294967295ELNS1_3gpuE0ELNS1_3repE0EEENS1_30default_config_static_selectorELNS0_4arch9wavefront6targetE1EEEvSR_,"axG",@progbits,_ZN7rocprim17ROCPRIM_400000_NS6detail17trampoline_kernelINS0_14default_configENS1_27upper_bound_config_selectorIiN6thrust23THRUST_200600_302600_NS6detail10any_assignEEEZNS1_14transform_implILb0ES3_S9_NS7_15normal_iteratorINS6_10device_ptrIiEEEENS6_16discard_iteratorINS6_11use_defaultEEEZNS1_13binary_searchIS3_S9_SE_SE_SH_NS1_21upper_bound_search_opENS7_16wrapped_functionINS0_4lessIvEEbEEEE10hipError_tPvRmT1_T2_T3_mmT4_T5_P12ihipStream_tbEUlRKiE_EESO_SS_ST_mSU_SX_bEUlT_E_NS1_11comp_targetILNS1_3genE0ELNS1_11target_archE4294967295ELNS1_3gpuE0ELNS1_3repE0EEENS1_30default_config_static_selectorELNS0_4arch9wavefront6targetE1EEEvSR_,comdat
	.protected	_ZN7rocprim17ROCPRIM_400000_NS6detail17trampoline_kernelINS0_14default_configENS1_27upper_bound_config_selectorIiN6thrust23THRUST_200600_302600_NS6detail10any_assignEEEZNS1_14transform_implILb0ES3_S9_NS7_15normal_iteratorINS6_10device_ptrIiEEEENS6_16discard_iteratorINS6_11use_defaultEEEZNS1_13binary_searchIS3_S9_SE_SE_SH_NS1_21upper_bound_search_opENS7_16wrapped_functionINS0_4lessIvEEbEEEE10hipError_tPvRmT1_T2_T3_mmT4_T5_P12ihipStream_tbEUlRKiE_EESO_SS_ST_mSU_SX_bEUlT_E_NS1_11comp_targetILNS1_3genE0ELNS1_11target_archE4294967295ELNS1_3gpuE0ELNS1_3repE0EEENS1_30default_config_static_selectorELNS0_4arch9wavefront6targetE1EEEvSR_ ; -- Begin function _ZN7rocprim17ROCPRIM_400000_NS6detail17trampoline_kernelINS0_14default_configENS1_27upper_bound_config_selectorIiN6thrust23THRUST_200600_302600_NS6detail10any_assignEEEZNS1_14transform_implILb0ES3_S9_NS7_15normal_iteratorINS6_10device_ptrIiEEEENS6_16discard_iteratorINS6_11use_defaultEEEZNS1_13binary_searchIS3_S9_SE_SE_SH_NS1_21upper_bound_search_opENS7_16wrapped_functionINS0_4lessIvEEbEEEE10hipError_tPvRmT1_T2_T3_mmT4_T5_P12ihipStream_tbEUlRKiE_EESO_SS_ST_mSU_SX_bEUlT_E_NS1_11comp_targetILNS1_3genE0ELNS1_11target_archE4294967295ELNS1_3gpuE0ELNS1_3repE0EEENS1_30default_config_static_selectorELNS0_4arch9wavefront6targetE1EEEvSR_
	.globl	_ZN7rocprim17ROCPRIM_400000_NS6detail17trampoline_kernelINS0_14default_configENS1_27upper_bound_config_selectorIiN6thrust23THRUST_200600_302600_NS6detail10any_assignEEEZNS1_14transform_implILb0ES3_S9_NS7_15normal_iteratorINS6_10device_ptrIiEEEENS6_16discard_iteratorINS6_11use_defaultEEEZNS1_13binary_searchIS3_S9_SE_SE_SH_NS1_21upper_bound_search_opENS7_16wrapped_functionINS0_4lessIvEEbEEEE10hipError_tPvRmT1_T2_T3_mmT4_T5_P12ihipStream_tbEUlRKiE_EESO_SS_ST_mSU_SX_bEUlT_E_NS1_11comp_targetILNS1_3genE0ELNS1_11target_archE4294967295ELNS1_3gpuE0ELNS1_3repE0EEENS1_30default_config_static_selectorELNS0_4arch9wavefront6targetE1EEEvSR_
	.p2align	8
	.type	_ZN7rocprim17ROCPRIM_400000_NS6detail17trampoline_kernelINS0_14default_configENS1_27upper_bound_config_selectorIiN6thrust23THRUST_200600_302600_NS6detail10any_assignEEEZNS1_14transform_implILb0ES3_S9_NS7_15normal_iteratorINS6_10device_ptrIiEEEENS6_16discard_iteratorINS6_11use_defaultEEEZNS1_13binary_searchIS3_S9_SE_SE_SH_NS1_21upper_bound_search_opENS7_16wrapped_functionINS0_4lessIvEEbEEEE10hipError_tPvRmT1_T2_T3_mmT4_T5_P12ihipStream_tbEUlRKiE_EESO_SS_ST_mSU_SX_bEUlT_E_NS1_11comp_targetILNS1_3genE0ELNS1_11target_archE4294967295ELNS1_3gpuE0ELNS1_3repE0EEENS1_30default_config_static_selectorELNS0_4arch9wavefront6targetE1EEEvSR_,@function
_ZN7rocprim17ROCPRIM_400000_NS6detail17trampoline_kernelINS0_14default_configENS1_27upper_bound_config_selectorIiN6thrust23THRUST_200600_302600_NS6detail10any_assignEEEZNS1_14transform_implILb0ES3_S9_NS7_15normal_iteratorINS6_10device_ptrIiEEEENS6_16discard_iteratorINS6_11use_defaultEEEZNS1_13binary_searchIS3_S9_SE_SE_SH_NS1_21upper_bound_search_opENS7_16wrapped_functionINS0_4lessIvEEbEEEE10hipError_tPvRmT1_T2_T3_mmT4_T5_P12ihipStream_tbEUlRKiE_EESO_SS_ST_mSU_SX_bEUlT_E_NS1_11comp_targetILNS1_3genE0ELNS1_11target_archE4294967295ELNS1_3gpuE0ELNS1_3repE0EEENS1_30default_config_static_selectorELNS0_4arch9wavefront6targetE1EEEvSR_: ; @_ZN7rocprim17ROCPRIM_400000_NS6detail17trampoline_kernelINS0_14default_configENS1_27upper_bound_config_selectorIiN6thrust23THRUST_200600_302600_NS6detail10any_assignEEEZNS1_14transform_implILb0ES3_S9_NS7_15normal_iteratorINS6_10device_ptrIiEEEENS6_16discard_iteratorINS6_11use_defaultEEEZNS1_13binary_searchIS3_S9_SE_SE_SH_NS1_21upper_bound_search_opENS7_16wrapped_functionINS0_4lessIvEEbEEEE10hipError_tPvRmT1_T2_T3_mmT4_T5_P12ihipStream_tbEUlRKiE_EESO_SS_ST_mSU_SX_bEUlT_E_NS1_11comp_targetILNS1_3genE0ELNS1_11target_archE4294967295ELNS1_3gpuE0ELNS1_3repE0EEENS1_30default_config_static_selectorELNS0_4arch9wavefront6targetE1EEEvSR_
; %bb.0:
	.section	.rodata,"a",@progbits
	.p2align	6, 0x0
	.amdhsa_kernel _ZN7rocprim17ROCPRIM_400000_NS6detail17trampoline_kernelINS0_14default_configENS1_27upper_bound_config_selectorIiN6thrust23THRUST_200600_302600_NS6detail10any_assignEEEZNS1_14transform_implILb0ES3_S9_NS7_15normal_iteratorINS6_10device_ptrIiEEEENS6_16discard_iteratorINS6_11use_defaultEEEZNS1_13binary_searchIS3_S9_SE_SE_SH_NS1_21upper_bound_search_opENS7_16wrapped_functionINS0_4lessIvEEbEEEE10hipError_tPvRmT1_T2_T3_mmT4_T5_P12ihipStream_tbEUlRKiE_EESO_SS_ST_mSU_SX_bEUlT_E_NS1_11comp_targetILNS1_3genE0ELNS1_11target_archE4294967295ELNS1_3gpuE0ELNS1_3repE0EEENS1_30default_config_static_selectorELNS0_4arch9wavefront6targetE1EEEvSR_
		.amdhsa_group_segment_fixed_size 0
		.amdhsa_private_segment_fixed_size 0
		.amdhsa_kernarg_size 64
		.amdhsa_user_sgpr_count 6
		.amdhsa_user_sgpr_private_segment_buffer 1
		.amdhsa_user_sgpr_dispatch_ptr 0
		.amdhsa_user_sgpr_queue_ptr 0
		.amdhsa_user_sgpr_kernarg_segment_ptr 1
		.amdhsa_user_sgpr_dispatch_id 0
		.amdhsa_user_sgpr_flat_scratch_init 0
		.amdhsa_user_sgpr_kernarg_preload_length 0
		.amdhsa_user_sgpr_kernarg_preload_offset 0
		.amdhsa_user_sgpr_private_segment_size 0
		.amdhsa_uses_dynamic_stack 0
		.amdhsa_system_sgpr_private_segment_wavefront_offset 0
		.amdhsa_system_sgpr_workgroup_id_x 1
		.amdhsa_system_sgpr_workgroup_id_y 0
		.amdhsa_system_sgpr_workgroup_id_z 0
		.amdhsa_system_sgpr_workgroup_info 0
		.amdhsa_system_vgpr_workitem_id 0
		.amdhsa_next_free_vgpr 1
		.amdhsa_next_free_sgpr 0
		.amdhsa_accum_offset 4
		.amdhsa_reserve_vcc 0
		.amdhsa_reserve_flat_scratch 0
		.amdhsa_float_round_mode_32 0
		.amdhsa_float_round_mode_16_64 0
		.amdhsa_float_denorm_mode_32 3
		.amdhsa_float_denorm_mode_16_64 3
		.amdhsa_dx10_clamp 1
		.amdhsa_ieee_mode 1
		.amdhsa_fp16_overflow 0
		.amdhsa_tg_split 0
		.amdhsa_exception_fp_ieee_invalid_op 0
		.amdhsa_exception_fp_denorm_src 0
		.amdhsa_exception_fp_ieee_div_zero 0
		.amdhsa_exception_fp_ieee_overflow 0
		.amdhsa_exception_fp_ieee_underflow 0
		.amdhsa_exception_fp_ieee_inexact 0
		.amdhsa_exception_int_div_zero 0
	.end_amdhsa_kernel
	.section	.text._ZN7rocprim17ROCPRIM_400000_NS6detail17trampoline_kernelINS0_14default_configENS1_27upper_bound_config_selectorIiN6thrust23THRUST_200600_302600_NS6detail10any_assignEEEZNS1_14transform_implILb0ES3_S9_NS7_15normal_iteratorINS6_10device_ptrIiEEEENS6_16discard_iteratorINS6_11use_defaultEEEZNS1_13binary_searchIS3_S9_SE_SE_SH_NS1_21upper_bound_search_opENS7_16wrapped_functionINS0_4lessIvEEbEEEE10hipError_tPvRmT1_T2_T3_mmT4_T5_P12ihipStream_tbEUlRKiE_EESO_SS_ST_mSU_SX_bEUlT_E_NS1_11comp_targetILNS1_3genE0ELNS1_11target_archE4294967295ELNS1_3gpuE0ELNS1_3repE0EEENS1_30default_config_static_selectorELNS0_4arch9wavefront6targetE1EEEvSR_,"axG",@progbits,_ZN7rocprim17ROCPRIM_400000_NS6detail17trampoline_kernelINS0_14default_configENS1_27upper_bound_config_selectorIiN6thrust23THRUST_200600_302600_NS6detail10any_assignEEEZNS1_14transform_implILb0ES3_S9_NS7_15normal_iteratorINS6_10device_ptrIiEEEENS6_16discard_iteratorINS6_11use_defaultEEEZNS1_13binary_searchIS3_S9_SE_SE_SH_NS1_21upper_bound_search_opENS7_16wrapped_functionINS0_4lessIvEEbEEEE10hipError_tPvRmT1_T2_T3_mmT4_T5_P12ihipStream_tbEUlRKiE_EESO_SS_ST_mSU_SX_bEUlT_E_NS1_11comp_targetILNS1_3genE0ELNS1_11target_archE4294967295ELNS1_3gpuE0ELNS1_3repE0EEENS1_30default_config_static_selectorELNS0_4arch9wavefront6targetE1EEEvSR_,comdat
.Lfunc_end582:
	.size	_ZN7rocprim17ROCPRIM_400000_NS6detail17trampoline_kernelINS0_14default_configENS1_27upper_bound_config_selectorIiN6thrust23THRUST_200600_302600_NS6detail10any_assignEEEZNS1_14transform_implILb0ES3_S9_NS7_15normal_iteratorINS6_10device_ptrIiEEEENS6_16discard_iteratorINS6_11use_defaultEEEZNS1_13binary_searchIS3_S9_SE_SE_SH_NS1_21upper_bound_search_opENS7_16wrapped_functionINS0_4lessIvEEbEEEE10hipError_tPvRmT1_T2_T3_mmT4_T5_P12ihipStream_tbEUlRKiE_EESO_SS_ST_mSU_SX_bEUlT_E_NS1_11comp_targetILNS1_3genE0ELNS1_11target_archE4294967295ELNS1_3gpuE0ELNS1_3repE0EEENS1_30default_config_static_selectorELNS0_4arch9wavefront6targetE1EEEvSR_, .Lfunc_end582-_ZN7rocprim17ROCPRIM_400000_NS6detail17trampoline_kernelINS0_14default_configENS1_27upper_bound_config_selectorIiN6thrust23THRUST_200600_302600_NS6detail10any_assignEEEZNS1_14transform_implILb0ES3_S9_NS7_15normal_iteratorINS6_10device_ptrIiEEEENS6_16discard_iteratorINS6_11use_defaultEEEZNS1_13binary_searchIS3_S9_SE_SE_SH_NS1_21upper_bound_search_opENS7_16wrapped_functionINS0_4lessIvEEbEEEE10hipError_tPvRmT1_T2_T3_mmT4_T5_P12ihipStream_tbEUlRKiE_EESO_SS_ST_mSU_SX_bEUlT_E_NS1_11comp_targetILNS1_3genE0ELNS1_11target_archE4294967295ELNS1_3gpuE0ELNS1_3repE0EEENS1_30default_config_static_selectorELNS0_4arch9wavefront6targetE1EEEvSR_
                                        ; -- End function
	.section	.AMDGPU.csdata,"",@progbits
; Kernel info:
; codeLenInByte = 0
; NumSgprs: 4
; NumVgprs: 0
; NumAgprs: 0
; TotalNumVgprs: 0
; ScratchSize: 0
; MemoryBound: 0
; FloatMode: 240
; IeeeMode: 1
; LDSByteSize: 0 bytes/workgroup (compile time only)
; SGPRBlocks: 0
; VGPRBlocks: 0
; NumSGPRsForWavesPerEU: 4
; NumVGPRsForWavesPerEU: 1
; AccumOffset: 4
; Occupancy: 8
; WaveLimiterHint : 0
; COMPUTE_PGM_RSRC2:SCRATCH_EN: 0
; COMPUTE_PGM_RSRC2:USER_SGPR: 6
; COMPUTE_PGM_RSRC2:TRAP_HANDLER: 0
; COMPUTE_PGM_RSRC2:TGID_X_EN: 1
; COMPUTE_PGM_RSRC2:TGID_Y_EN: 0
; COMPUTE_PGM_RSRC2:TGID_Z_EN: 0
; COMPUTE_PGM_RSRC2:TIDIG_COMP_CNT: 0
; COMPUTE_PGM_RSRC3_GFX90A:ACCUM_OFFSET: 0
; COMPUTE_PGM_RSRC3_GFX90A:TG_SPLIT: 0
	.section	.text._ZN7rocprim17ROCPRIM_400000_NS6detail17trampoline_kernelINS0_14default_configENS1_27upper_bound_config_selectorIiN6thrust23THRUST_200600_302600_NS6detail10any_assignEEEZNS1_14transform_implILb0ES3_S9_NS7_15normal_iteratorINS6_10device_ptrIiEEEENS6_16discard_iteratorINS6_11use_defaultEEEZNS1_13binary_searchIS3_S9_SE_SE_SH_NS1_21upper_bound_search_opENS7_16wrapped_functionINS0_4lessIvEEbEEEE10hipError_tPvRmT1_T2_T3_mmT4_T5_P12ihipStream_tbEUlRKiE_EESO_SS_ST_mSU_SX_bEUlT_E_NS1_11comp_targetILNS1_3genE5ELNS1_11target_archE942ELNS1_3gpuE9ELNS1_3repE0EEENS1_30default_config_static_selectorELNS0_4arch9wavefront6targetE1EEEvSR_,"axG",@progbits,_ZN7rocprim17ROCPRIM_400000_NS6detail17trampoline_kernelINS0_14default_configENS1_27upper_bound_config_selectorIiN6thrust23THRUST_200600_302600_NS6detail10any_assignEEEZNS1_14transform_implILb0ES3_S9_NS7_15normal_iteratorINS6_10device_ptrIiEEEENS6_16discard_iteratorINS6_11use_defaultEEEZNS1_13binary_searchIS3_S9_SE_SE_SH_NS1_21upper_bound_search_opENS7_16wrapped_functionINS0_4lessIvEEbEEEE10hipError_tPvRmT1_T2_T3_mmT4_T5_P12ihipStream_tbEUlRKiE_EESO_SS_ST_mSU_SX_bEUlT_E_NS1_11comp_targetILNS1_3genE5ELNS1_11target_archE942ELNS1_3gpuE9ELNS1_3repE0EEENS1_30default_config_static_selectorELNS0_4arch9wavefront6targetE1EEEvSR_,comdat
	.protected	_ZN7rocprim17ROCPRIM_400000_NS6detail17trampoline_kernelINS0_14default_configENS1_27upper_bound_config_selectorIiN6thrust23THRUST_200600_302600_NS6detail10any_assignEEEZNS1_14transform_implILb0ES3_S9_NS7_15normal_iteratorINS6_10device_ptrIiEEEENS6_16discard_iteratorINS6_11use_defaultEEEZNS1_13binary_searchIS3_S9_SE_SE_SH_NS1_21upper_bound_search_opENS7_16wrapped_functionINS0_4lessIvEEbEEEE10hipError_tPvRmT1_T2_T3_mmT4_T5_P12ihipStream_tbEUlRKiE_EESO_SS_ST_mSU_SX_bEUlT_E_NS1_11comp_targetILNS1_3genE5ELNS1_11target_archE942ELNS1_3gpuE9ELNS1_3repE0EEENS1_30default_config_static_selectorELNS0_4arch9wavefront6targetE1EEEvSR_ ; -- Begin function _ZN7rocprim17ROCPRIM_400000_NS6detail17trampoline_kernelINS0_14default_configENS1_27upper_bound_config_selectorIiN6thrust23THRUST_200600_302600_NS6detail10any_assignEEEZNS1_14transform_implILb0ES3_S9_NS7_15normal_iteratorINS6_10device_ptrIiEEEENS6_16discard_iteratorINS6_11use_defaultEEEZNS1_13binary_searchIS3_S9_SE_SE_SH_NS1_21upper_bound_search_opENS7_16wrapped_functionINS0_4lessIvEEbEEEE10hipError_tPvRmT1_T2_T3_mmT4_T5_P12ihipStream_tbEUlRKiE_EESO_SS_ST_mSU_SX_bEUlT_E_NS1_11comp_targetILNS1_3genE5ELNS1_11target_archE942ELNS1_3gpuE9ELNS1_3repE0EEENS1_30default_config_static_selectorELNS0_4arch9wavefront6targetE1EEEvSR_
	.globl	_ZN7rocprim17ROCPRIM_400000_NS6detail17trampoline_kernelINS0_14default_configENS1_27upper_bound_config_selectorIiN6thrust23THRUST_200600_302600_NS6detail10any_assignEEEZNS1_14transform_implILb0ES3_S9_NS7_15normal_iteratorINS6_10device_ptrIiEEEENS6_16discard_iteratorINS6_11use_defaultEEEZNS1_13binary_searchIS3_S9_SE_SE_SH_NS1_21upper_bound_search_opENS7_16wrapped_functionINS0_4lessIvEEbEEEE10hipError_tPvRmT1_T2_T3_mmT4_T5_P12ihipStream_tbEUlRKiE_EESO_SS_ST_mSU_SX_bEUlT_E_NS1_11comp_targetILNS1_3genE5ELNS1_11target_archE942ELNS1_3gpuE9ELNS1_3repE0EEENS1_30default_config_static_selectorELNS0_4arch9wavefront6targetE1EEEvSR_
	.p2align	8
	.type	_ZN7rocprim17ROCPRIM_400000_NS6detail17trampoline_kernelINS0_14default_configENS1_27upper_bound_config_selectorIiN6thrust23THRUST_200600_302600_NS6detail10any_assignEEEZNS1_14transform_implILb0ES3_S9_NS7_15normal_iteratorINS6_10device_ptrIiEEEENS6_16discard_iteratorINS6_11use_defaultEEEZNS1_13binary_searchIS3_S9_SE_SE_SH_NS1_21upper_bound_search_opENS7_16wrapped_functionINS0_4lessIvEEbEEEE10hipError_tPvRmT1_T2_T3_mmT4_T5_P12ihipStream_tbEUlRKiE_EESO_SS_ST_mSU_SX_bEUlT_E_NS1_11comp_targetILNS1_3genE5ELNS1_11target_archE942ELNS1_3gpuE9ELNS1_3repE0EEENS1_30default_config_static_selectorELNS0_4arch9wavefront6targetE1EEEvSR_,@function
_ZN7rocprim17ROCPRIM_400000_NS6detail17trampoline_kernelINS0_14default_configENS1_27upper_bound_config_selectorIiN6thrust23THRUST_200600_302600_NS6detail10any_assignEEEZNS1_14transform_implILb0ES3_S9_NS7_15normal_iteratorINS6_10device_ptrIiEEEENS6_16discard_iteratorINS6_11use_defaultEEEZNS1_13binary_searchIS3_S9_SE_SE_SH_NS1_21upper_bound_search_opENS7_16wrapped_functionINS0_4lessIvEEbEEEE10hipError_tPvRmT1_T2_T3_mmT4_T5_P12ihipStream_tbEUlRKiE_EESO_SS_ST_mSU_SX_bEUlT_E_NS1_11comp_targetILNS1_3genE5ELNS1_11target_archE942ELNS1_3gpuE9ELNS1_3repE0EEENS1_30default_config_static_selectorELNS0_4arch9wavefront6targetE1EEEvSR_: ; @_ZN7rocprim17ROCPRIM_400000_NS6detail17trampoline_kernelINS0_14default_configENS1_27upper_bound_config_selectorIiN6thrust23THRUST_200600_302600_NS6detail10any_assignEEEZNS1_14transform_implILb0ES3_S9_NS7_15normal_iteratorINS6_10device_ptrIiEEEENS6_16discard_iteratorINS6_11use_defaultEEEZNS1_13binary_searchIS3_S9_SE_SE_SH_NS1_21upper_bound_search_opENS7_16wrapped_functionINS0_4lessIvEEbEEEE10hipError_tPvRmT1_T2_T3_mmT4_T5_P12ihipStream_tbEUlRKiE_EESO_SS_ST_mSU_SX_bEUlT_E_NS1_11comp_targetILNS1_3genE5ELNS1_11target_archE942ELNS1_3gpuE9ELNS1_3repE0EEENS1_30default_config_static_selectorELNS0_4arch9wavefront6targetE1EEEvSR_
; %bb.0:
	.section	.rodata,"a",@progbits
	.p2align	6, 0x0
	.amdhsa_kernel _ZN7rocprim17ROCPRIM_400000_NS6detail17trampoline_kernelINS0_14default_configENS1_27upper_bound_config_selectorIiN6thrust23THRUST_200600_302600_NS6detail10any_assignEEEZNS1_14transform_implILb0ES3_S9_NS7_15normal_iteratorINS6_10device_ptrIiEEEENS6_16discard_iteratorINS6_11use_defaultEEEZNS1_13binary_searchIS3_S9_SE_SE_SH_NS1_21upper_bound_search_opENS7_16wrapped_functionINS0_4lessIvEEbEEEE10hipError_tPvRmT1_T2_T3_mmT4_T5_P12ihipStream_tbEUlRKiE_EESO_SS_ST_mSU_SX_bEUlT_E_NS1_11comp_targetILNS1_3genE5ELNS1_11target_archE942ELNS1_3gpuE9ELNS1_3repE0EEENS1_30default_config_static_selectorELNS0_4arch9wavefront6targetE1EEEvSR_
		.amdhsa_group_segment_fixed_size 0
		.amdhsa_private_segment_fixed_size 0
		.amdhsa_kernarg_size 64
		.amdhsa_user_sgpr_count 6
		.amdhsa_user_sgpr_private_segment_buffer 1
		.amdhsa_user_sgpr_dispatch_ptr 0
		.amdhsa_user_sgpr_queue_ptr 0
		.amdhsa_user_sgpr_kernarg_segment_ptr 1
		.amdhsa_user_sgpr_dispatch_id 0
		.amdhsa_user_sgpr_flat_scratch_init 0
		.amdhsa_user_sgpr_kernarg_preload_length 0
		.amdhsa_user_sgpr_kernarg_preload_offset 0
		.amdhsa_user_sgpr_private_segment_size 0
		.amdhsa_uses_dynamic_stack 0
		.amdhsa_system_sgpr_private_segment_wavefront_offset 0
		.amdhsa_system_sgpr_workgroup_id_x 1
		.amdhsa_system_sgpr_workgroup_id_y 0
		.amdhsa_system_sgpr_workgroup_id_z 0
		.amdhsa_system_sgpr_workgroup_info 0
		.amdhsa_system_vgpr_workitem_id 0
		.amdhsa_next_free_vgpr 1
		.amdhsa_next_free_sgpr 0
		.amdhsa_accum_offset 4
		.amdhsa_reserve_vcc 0
		.amdhsa_reserve_flat_scratch 0
		.amdhsa_float_round_mode_32 0
		.amdhsa_float_round_mode_16_64 0
		.amdhsa_float_denorm_mode_32 3
		.amdhsa_float_denorm_mode_16_64 3
		.amdhsa_dx10_clamp 1
		.amdhsa_ieee_mode 1
		.amdhsa_fp16_overflow 0
		.amdhsa_tg_split 0
		.amdhsa_exception_fp_ieee_invalid_op 0
		.amdhsa_exception_fp_denorm_src 0
		.amdhsa_exception_fp_ieee_div_zero 0
		.amdhsa_exception_fp_ieee_overflow 0
		.amdhsa_exception_fp_ieee_underflow 0
		.amdhsa_exception_fp_ieee_inexact 0
		.amdhsa_exception_int_div_zero 0
	.end_amdhsa_kernel
	.section	.text._ZN7rocprim17ROCPRIM_400000_NS6detail17trampoline_kernelINS0_14default_configENS1_27upper_bound_config_selectorIiN6thrust23THRUST_200600_302600_NS6detail10any_assignEEEZNS1_14transform_implILb0ES3_S9_NS7_15normal_iteratorINS6_10device_ptrIiEEEENS6_16discard_iteratorINS6_11use_defaultEEEZNS1_13binary_searchIS3_S9_SE_SE_SH_NS1_21upper_bound_search_opENS7_16wrapped_functionINS0_4lessIvEEbEEEE10hipError_tPvRmT1_T2_T3_mmT4_T5_P12ihipStream_tbEUlRKiE_EESO_SS_ST_mSU_SX_bEUlT_E_NS1_11comp_targetILNS1_3genE5ELNS1_11target_archE942ELNS1_3gpuE9ELNS1_3repE0EEENS1_30default_config_static_selectorELNS0_4arch9wavefront6targetE1EEEvSR_,"axG",@progbits,_ZN7rocprim17ROCPRIM_400000_NS6detail17trampoline_kernelINS0_14default_configENS1_27upper_bound_config_selectorIiN6thrust23THRUST_200600_302600_NS6detail10any_assignEEEZNS1_14transform_implILb0ES3_S9_NS7_15normal_iteratorINS6_10device_ptrIiEEEENS6_16discard_iteratorINS6_11use_defaultEEEZNS1_13binary_searchIS3_S9_SE_SE_SH_NS1_21upper_bound_search_opENS7_16wrapped_functionINS0_4lessIvEEbEEEE10hipError_tPvRmT1_T2_T3_mmT4_T5_P12ihipStream_tbEUlRKiE_EESO_SS_ST_mSU_SX_bEUlT_E_NS1_11comp_targetILNS1_3genE5ELNS1_11target_archE942ELNS1_3gpuE9ELNS1_3repE0EEENS1_30default_config_static_selectorELNS0_4arch9wavefront6targetE1EEEvSR_,comdat
.Lfunc_end583:
	.size	_ZN7rocprim17ROCPRIM_400000_NS6detail17trampoline_kernelINS0_14default_configENS1_27upper_bound_config_selectorIiN6thrust23THRUST_200600_302600_NS6detail10any_assignEEEZNS1_14transform_implILb0ES3_S9_NS7_15normal_iteratorINS6_10device_ptrIiEEEENS6_16discard_iteratorINS6_11use_defaultEEEZNS1_13binary_searchIS3_S9_SE_SE_SH_NS1_21upper_bound_search_opENS7_16wrapped_functionINS0_4lessIvEEbEEEE10hipError_tPvRmT1_T2_T3_mmT4_T5_P12ihipStream_tbEUlRKiE_EESO_SS_ST_mSU_SX_bEUlT_E_NS1_11comp_targetILNS1_3genE5ELNS1_11target_archE942ELNS1_3gpuE9ELNS1_3repE0EEENS1_30default_config_static_selectorELNS0_4arch9wavefront6targetE1EEEvSR_, .Lfunc_end583-_ZN7rocprim17ROCPRIM_400000_NS6detail17trampoline_kernelINS0_14default_configENS1_27upper_bound_config_selectorIiN6thrust23THRUST_200600_302600_NS6detail10any_assignEEEZNS1_14transform_implILb0ES3_S9_NS7_15normal_iteratorINS6_10device_ptrIiEEEENS6_16discard_iteratorINS6_11use_defaultEEEZNS1_13binary_searchIS3_S9_SE_SE_SH_NS1_21upper_bound_search_opENS7_16wrapped_functionINS0_4lessIvEEbEEEE10hipError_tPvRmT1_T2_T3_mmT4_T5_P12ihipStream_tbEUlRKiE_EESO_SS_ST_mSU_SX_bEUlT_E_NS1_11comp_targetILNS1_3genE5ELNS1_11target_archE942ELNS1_3gpuE9ELNS1_3repE0EEENS1_30default_config_static_selectorELNS0_4arch9wavefront6targetE1EEEvSR_
                                        ; -- End function
	.section	.AMDGPU.csdata,"",@progbits
; Kernel info:
; codeLenInByte = 0
; NumSgprs: 4
; NumVgprs: 0
; NumAgprs: 0
; TotalNumVgprs: 0
; ScratchSize: 0
; MemoryBound: 0
; FloatMode: 240
; IeeeMode: 1
; LDSByteSize: 0 bytes/workgroup (compile time only)
; SGPRBlocks: 0
; VGPRBlocks: 0
; NumSGPRsForWavesPerEU: 4
; NumVGPRsForWavesPerEU: 1
; AccumOffset: 4
; Occupancy: 8
; WaveLimiterHint : 0
; COMPUTE_PGM_RSRC2:SCRATCH_EN: 0
; COMPUTE_PGM_RSRC2:USER_SGPR: 6
; COMPUTE_PGM_RSRC2:TRAP_HANDLER: 0
; COMPUTE_PGM_RSRC2:TGID_X_EN: 1
; COMPUTE_PGM_RSRC2:TGID_Y_EN: 0
; COMPUTE_PGM_RSRC2:TGID_Z_EN: 0
; COMPUTE_PGM_RSRC2:TIDIG_COMP_CNT: 0
; COMPUTE_PGM_RSRC3_GFX90A:ACCUM_OFFSET: 0
; COMPUTE_PGM_RSRC3_GFX90A:TG_SPLIT: 0
	.section	.text._ZN7rocprim17ROCPRIM_400000_NS6detail17trampoline_kernelINS0_14default_configENS1_27upper_bound_config_selectorIiN6thrust23THRUST_200600_302600_NS6detail10any_assignEEEZNS1_14transform_implILb0ES3_S9_NS7_15normal_iteratorINS6_10device_ptrIiEEEENS6_16discard_iteratorINS6_11use_defaultEEEZNS1_13binary_searchIS3_S9_SE_SE_SH_NS1_21upper_bound_search_opENS7_16wrapped_functionINS0_4lessIvEEbEEEE10hipError_tPvRmT1_T2_T3_mmT4_T5_P12ihipStream_tbEUlRKiE_EESO_SS_ST_mSU_SX_bEUlT_E_NS1_11comp_targetILNS1_3genE4ELNS1_11target_archE910ELNS1_3gpuE8ELNS1_3repE0EEENS1_30default_config_static_selectorELNS0_4arch9wavefront6targetE1EEEvSR_,"axG",@progbits,_ZN7rocprim17ROCPRIM_400000_NS6detail17trampoline_kernelINS0_14default_configENS1_27upper_bound_config_selectorIiN6thrust23THRUST_200600_302600_NS6detail10any_assignEEEZNS1_14transform_implILb0ES3_S9_NS7_15normal_iteratorINS6_10device_ptrIiEEEENS6_16discard_iteratorINS6_11use_defaultEEEZNS1_13binary_searchIS3_S9_SE_SE_SH_NS1_21upper_bound_search_opENS7_16wrapped_functionINS0_4lessIvEEbEEEE10hipError_tPvRmT1_T2_T3_mmT4_T5_P12ihipStream_tbEUlRKiE_EESO_SS_ST_mSU_SX_bEUlT_E_NS1_11comp_targetILNS1_3genE4ELNS1_11target_archE910ELNS1_3gpuE8ELNS1_3repE0EEENS1_30default_config_static_selectorELNS0_4arch9wavefront6targetE1EEEvSR_,comdat
	.protected	_ZN7rocprim17ROCPRIM_400000_NS6detail17trampoline_kernelINS0_14default_configENS1_27upper_bound_config_selectorIiN6thrust23THRUST_200600_302600_NS6detail10any_assignEEEZNS1_14transform_implILb0ES3_S9_NS7_15normal_iteratorINS6_10device_ptrIiEEEENS6_16discard_iteratorINS6_11use_defaultEEEZNS1_13binary_searchIS3_S9_SE_SE_SH_NS1_21upper_bound_search_opENS7_16wrapped_functionINS0_4lessIvEEbEEEE10hipError_tPvRmT1_T2_T3_mmT4_T5_P12ihipStream_tbEUlRKiE_EESO_SS_ST_mSU_SX_bEUlT_E_NS1_11comp_targetILNS1_3genE4ELNS1_11target_archE910ELNS1_3gpuE8ELNS1_3repE0EEENS1_30default_config_static_selectorELNS0_4arch9wavefront6targetE1EEEvSR_ ; -- Begin function _ZN7rocprim17ROCPRIM_400000_NS6detail17trampoline_kernelINS0_14default_configENS1_27upper_bound_config_selectorIiN6thrust23THRUST_200600_302600_NS6detail10any_assignEEEZNS1_14transform_implILb0ES3_S9_NS7_15normal_iteratorINS6_10device_ptrIiEEEENS6_16discard_iteratorINS6_11use_defaultEEEZNS1_13binary_searchIS3_S9_SE_SE_SH_NS1_21upper_bound_search_opENS7_16wrapped_functionINS0_4lessIvEEbEEEE10hipError_tPvRmT1_T2_T3_mmT4_T5_P12ihipStream_tbEUlRKiE_EESO_SS_ST_mSU_SX_bEUlT_E_NS1_11comp_targetILNS1_3genE4ELNS1_11target_archE910ELNS1_3gpuE8ELNS1_3repE0EEENS1_30default_config_static_selectorELNS0_4arch9wavefront6targetE1EEEvSR_
	.globl	_ZN7rocprim17ROCPRIM_400000_NS6detail17trampoline_kernelINS0_14default_configENS1_27upper_bound_config_selectorIiN6thrust23THRUST_200600_302600_NS6detail10any_assignEEEZNS1_14transform_implILb0ES3_S9_NS7_15normal_iteratorINS6_10device_ptrIiEEEENS6_16discard_iteratorINS6_11use_defaultEEEZNS1_13binary_searchIS3_S9_SE_SE_SH_NS1_21upper_bound_search_opENS7_16wrapped_functionINS0_4lessIvEEbEEEE10hipError_tPvRmT1_T2_T3_mmT4_T5_P12ihipStream_tbEUlRKiE_EESO_SS_ST_mSU_SX_bEUlT_E_NS1_11comp_targetILNS1_3genE4ELNS1_11target_archE910ELNS1_3gpuE8ELNS1_3repE0EEENS1_30default_config_static_selectorELNS0_4arch9wavefront6targetE1EEEvSR_
	.p2align	8
	.type	_ZN7rocprim17ROCPRIM_400000_NS6detail17trampoline_kernelINS0_14default_configENS1_27upper_bound_config_selectorIiN6thrust23THRUST_200600_302600_NS6detail10any_assignEEEZNS1_14transform_implILb0ES3_S9_NS7_15normal_iteratorINS6_10device_ptrIiEEEENS6_16discard_iteratorINS6_11use_defaultEEEZNS1_13binary_searchIS3_S9_SE_SE_SH_NS1_21upper_bound_search_opENS7_16wrapped_functionINS0_4lessIvEEbEEEE10hipError_tPvRmT1_T2_T3_mmT4_T5_P12ihipStream_tbEUlRKiE_EESO_SS_ST_mSU_SX_bEUlT_E_NS1_11comp_targetILNS1_3genE4ELNS1_11target_archE910ELNS1_3gpuE8ELNS1_3repE0EEENS1_30default_config_static_selectorELNS0_4arch9wavefront6targetE1EEEvSR_,@function
_ZN7rocprim17ROCPRIM_400000_NS6detail17trampoline_kernelINS0_14default_configENS1_27upper_bound_config_selectorIiN6thrust23THRUST_200600_302600_NS6detail10any_assignEEEZNS1_14transform_implILb0ES3_S9_NS7_15normal_iteratorINS6_10device_ptrIiEEEENS6_16discard_iteratorINS6_11use_defaultEEEZNS1_13binary_searchIS3_S9_SE_SE_SH_NS1_21upper_bound_search_opENS7_16wrapped_functionINS0_4lessIvEEbEEEE10hipError_tPvRmT1_T2_T3_mmT4_T5_P12ihipStream_tbEUlRKiE_EESO_SS_ST_mSU_SX_bEUlT_E_NS1_11comp_targetILNS1_3genE4ELNS1_11target_archE910ELNS1_3gpuE8ELNS1_3repE0EEENS1_30default_config_static_selectorELNS0_4arch9wavefront6targetE1EEEvSR_: ; @_ZN7rocprim17ROCPRIM_400000_NS6detail17trampoline_kernelINS0_14default_configENS1_27upper_bound_config_selectorIiN6thrust23THRUST_200600_302600_NS6detail10any_assignEEEZNS1_14transform_implILb0ES3_S9_NS7_15normal_iteratorINS6_10device_ptrIiEEEENS6_16discard_iteratorINS6_11use_defaultEEEZNS1_13binary_searchIS3_S9_SE_SE_SH_NS1_21upper_bound_search_opENS7_16wrapped_functionINS0_4lessIvEEbEEEE10hipError_tPvRmT1_T2_T3_mmT4_T5_P12ihipStream_tbEUlRKiE_EESO_SS_ST_mSU_SX_bEUlT_E_NS1_11comp_targetILNS1_3genE4ELNS1_11target_archE910ELNS1_3gpuE8ELNS1_3repE0EEENS1_30default_config_static_selectorELNS0_4arch9wavefront6targetE1EEEvSR_
; %bb.0:
	s_endpgm
	.section	.rodata,"a",@progbits
	.p2align	6, 0x0
	.amdhsa_kernel _ZN7rocprim17ROCPRIM_400000_NS6detail17trampoline_kernelINS0_14default_configENS1_27upper_bound_config_selectorIiN6thrust23THRUST_200600_302600_NS6detail10any_assignEEEZNS1_14transform_implILb0ES3_S9_NS7_15normal_iteratorINS6_10device_ptrIiEEEENS6_16discard_iteratorINS6_11use_defaultEEEZNS1_13binary_searchIS3_S9_SE_SE_SH_NS1_21upper_bound_search_opENS7_16wrapped_functionINS0_4lessIvEEbEEEE10hipError_tPvRmT1_T2_T3_mmT4_T5_P12ihipStream_tbEUlRKiE_EESO_SS_ST_mSU_SX_bEUlT_E_NS1_11comp_targetILNS1_3genE4ELNS1_11target_archE910ELNS1_3gpuE8ELNS1_3repE0EEENS1_30default_config_static_selectorELNS0_4arch9wavefront6targetE1EEEvSR_
		.amdhsa_group_segment_fixed_size 0
		.amdhsa_private_segment_fixed_size 0
		.amdhsa_kernarg_size 64
		.amdhsa_user_sgpr_count 6
		.amdhsa_user_sgpr_private_segment_buffer 1
		.amdhsa_user_sgpr_dispatch_ptr 0
		.amdhsa_user_sgpr_queue_ptr 0
		.amdhsa_user_sgpr_kernarg_segment_ptr 1
		.amdhsa_user_sgpr_dispatch_id 0
		.amdhsa_user_sgpr_flat_scratch_init 0
		.amdhsa_user_sgpr_kernarg_preload_length 0
		.amdhsa_user_sgpr_kernarg_preload_offset 0
		.amdhsa_user_sgpr_private_segment_size 0
		.amdhsa_uses_dynamic_stack 0
		.amdhsa_system_sgpr_private_segment_wavefront_offset 0
		.amdhsa_system_sgpr_workgroup_id_x 1
		.amdhsa_system_sgpr_workgroup_id_y 0
		.amdhsa_system_sgpr_workgroup_id_z 0
		.amdhsa_system_sgpr_workgroup_info 0
		.amdhsa_system_vgpr_workitem_id 0
		.amdhsa_next_free_vgpr 1
		.amdhsa_next_free_sgpr 0
		.amdhsa_accum_offset 4
		.amdhsa_reserve_vcc 0
		.amdhsa_reserve_flat_scratch 0
		.amdhsa_float_round_mode_32 0
		.amdhsa_float_round_mode_16_64 0
		.amdhsa_float_denorm_mode_32 3
		.amdhsa_float_denorm_mode_16_64 3
		.amdhsa_dx10_clamp 1
		.amdhsa_ieee_mode 1
		.amdhsa_fp16_overflow 0
		.amdhsa_tg_split 0
		.amdhsa_exception_fp_ieee_invalid_op 0
		.amdhsa_exception_fp_denorm_src 0
		.amdhsa_exception_fp_ieee_div_zero 0
		.amdhsa_exception_fp_ieee_overflow 0
		.amdhsa_exception_fp_ieee_underflow 0
		.amdhsa_exception_fp_ieee_inexact 0
		.amdhsa_exception_int_div_zero 0
	.end_amdhsa_kernel
	.section	.text._ZN7rocprim17ROCPRIM_400000_NS6detail17trampoline_kernelINS0_14default_configENS1_27upper_bound_config_selectorIiN6thrust23THRUST_200600_302600_NS6detail10any_assignEEEZNS1_14transform_implILb0ES3_S9_NS7_15normal_iteratorINS6_10device_ptrIiEEEENS6_16discard_iteratorINS6_11use_defaultEEEZNS1_13binary_searchIS3_S9_SE_SE_SH_NS1_21upper_bound_search_opENS7_16wrapped_functionINS0_4lessIvEEbEEEE10hipError_tPvRmT1_T2_T3_mmT4_T5_P12ihipStream_tbEUlRKiE_EESO_SS_ST_mSU_SX_bEUlT_E_NS1_11comp_targetILNS1_3genE4ELNS1_11target_archE910ELNS1_3gpuE8ELNS1_3repE0EEENS1_30default_config_static_selectorELNS0_4arch9wavefront6targetE1EEEvSR_,"axG",@progbits,_ZN7rocprim17ROCPRIM_400000_NS6detail17trampoline_kernelINS0_14default_configENS1_27upper_bound_config_selectorIiN6thrust23THRUST_200600_302600_NS6detail10any_assignEEEZNS1_14transform_implILb0ES3_S9_NS7_15normal_iteratorINS6_10device_ptrIiEEEENS6_16discard_iteratorINS6_11use_defaultEEEZNS1_13binary_searchIS3_S9_SE_SE_SH_NS1_21upper_bound_search_opENS7_16wrapped_functionINS0_4lessIvEEbEEEE10hipError_tPvRmT1_T2_T3_mmT4_T5_P12ihipStream_tbEUlRKiE_EESO_SS_ST_mSU_SX_bEUlT_E_NS1_11comp_targetILNS1_3genE4ELNS1_11target_archE910ELNS1_3gpuE8ELNS1_3repE0EEENS1_30default_config_static_selectorELNS0_4arch9wavefront6targetE1EEEvSR_,comdat
.Lfunc_end584:
	.size	_ZN7rocprim17ROCPRIM_400000_NS6detail17trampoline_kernelINS0_14default_configENS1_27upper_bound_config_selectorIiN6thrust23THRUST_200600_302600_NS6detail10any_assignEEEZNS1_14transform_implILb0ES3_S9_NS7_15normal_iteratorINS6_10device_ptrIiEEEENS6_16discard_iteratorINS6_11use_defaultEEEZNS1_13binary_searchIS3_S9_SE_SE_SH_NS1_21upper_bound_search_opENS7_16wrapped_functionINS0_4lessIvEEbEEEE10hipError_tPvRmT1_T2_T3_mmT4_T5_P12ihipStream_tbEUlRKiE_EESO_SS_ST_mSU_SX_bEUlT_E_NS1_11comp_targetILNS1_3genE4ELNS1_11target_archE910ELNS1_3gpuE8ELNS1_3repE0EEENS1_30default_config_static_selectorELNS0_4arch9wavefront6targetE1EEEvSR_, .Lfunc_end584-_ZN7rocprim17ROCPRIM_400000_NS6detail17trampoline_kernelINS0_14default_configENS1_27upper_bound_config_selectorIiN6thrust23THRUST_200600_302600_NS6detail10any_assignEEEZNS1_14transform_implILb0ES3_S9_NS7_15normal_iteratorINS6_10device_ptrIiEEEENS6_16discard_iteratorINS6_11use_defaultEEEZNS1_13binary_searchIS3_S9_SE_SE_SH_NS1_21upper_bound_search_opENS7_16wrapped_functionINS0_4lessIvEEbEEEE10hipError_tPvRmT1_T2_T3_mmT4_T5_P12ihipStream_tbEUlRKiE_EESO_SS_ST_mSU_SX_bEUlT_E_NS1_11comp_targetILNS1_3genE4ELNS1_11target_archE910ELNS1_3gpuE8ELNS1_3repE0EEENS1_30default_config_static_selectorELNS0_4arch9wavefront6targetE1EEEvSR_
                                        ; -- End function
	.section	.AMDGPU.csdata,"",@progbits
; Kernel info:
; codeLenInByte = 4
; NumSgprs: 4
; NumVgprs: 0
; NumAgprs: 0
; TotalNumVgprs: 0
; ScratchSize: 0
; MemoryBound: 0
; FloatMode: 240
; IeeeMode: 1
; LDSByteSize: 0 bytes/workgroup (compile time only)
; SGPRBlocks: 0
; VGPRBlocks: 0
; NumSGPRsForWavesPerEU: 4
; NumVGPRsForWavesPerEU: 1
; AccumOffset: 4
; Occupancy: 8
; WaveLimiterHint : 0
; COMPUTE_PGM_RSRC2:SCRATCH_EN: 0
; COMPUTE_PGM_RSRC2:USER_SGPR: 6
; COMPUTE_PGM_RSRC2:TRAP_HANDLER: 0
; COMPUTE_PGM_RSRC2:TGID_X_EN: 1
; COMPUTE_PGM_RSRC2:TGID_Y_EN: 0
; COMPUTE_PGM_RSRC2:TGID_Z_EN: 0
; COMPUTE_PGM_RSRC2:TIDIG_COMP_CNT: 0
; COMPUTE_PGM_RSRC3_GFX90A:ACCUM_OFFSET: 0
; COMPUTE_PGM_RSRC3_GFX90A:TG_SPLIT: 0
	.section	.text._ZN7rocprim17ROCPRIM_400000_NS6detail17trampoline_kernelINS0_14default_configENS1_27upper_bound_config_selectorIiN6thrust23THRUST_200600_302600_NS6detail10any_assignEEEZNS1_14transform_implILb0ES3_S9_NS7_15normal_iteratorINS6_10device_ptrIiEEEENS6_16discard_iteratorINS6_11use_defaultEEEZNS1_13binary_searchIS3_S9_SE_SE_SH_NS1_21upper_bound_search_opENS7_16wrapped_functionINS0_4lessIvEEbEEEE10hipError_tPvRmT1_T2_T3_mmT4_T5_P12ihipStream_tbEUlRKiE_EESO_SS_ST_mSU_SX_bEUlT_E_NS1_11comp_targetILNS1_3genE3ELNS1_11target_archE908ELNS1_3gpuE7ELNS1_3repE0EEENS1_30default_config_static_selectorELNS0_4arch9wavefront6targetE1EEEvSR_,"axG",@progbits,_ZN7rocprim17ROCPRIM_400000_NS6detail17trampoline_kernelINS0_14default_configENS1_27upper_bound_config_selectorIiN6thrust23THRUST_200600_302600_NS6detail10any_assignEEEZNS1_14transform_implILb0ES3_S9_NS7_15normal_iteratorINS6_10device_ptrIiEEEENS6_16discard_iteratorINS6_11use_defaultEEEZNS1_13binary_searchIS3_S9_SE_SE_SH_NS1_21upper_bound_search_opENS7_16wrapped_functionINS0_4lessIvEEbEEEE10hipError_tPvRmT1_T2_T3_mmT4_T5_P12ihipStream_tbEUlRKiE_EESO_SS_ST_mSU_SX_bEUlT_E_NS1_11comp_targetILNS1_3genE3ELNS1_11target_archE908ELNS1_3gpuE7ELNS1_3repE0EEENS1_30default_config_static_selectorELNS0_4arch9wavefront6targetE1EEEvSR_,comdat
	.protected	_ZN7rocprim17ROCPRIM_400000_NS6detail17trampoline_kernelINS0_14default_configENS1_27upper_bound_config_selectorIiN6thrust23THRUST_200600_302600_NS6detail10any_assignEEEZNS1_14transform_implILb0ES3_S9_NS7_15normal_iteratorINS6_10device_ptrIiEEEENS6_16discard_iteratorINS6_11use_defaultEEEZNS1_13binary_searchIS3_S9_SE_SE_SH_NS1_21upper_bound_search_opENS7_16wrapped_functionINS0_4lessIvEEbEEEE10hipError_tPvRmT1_T2_T3_mmT4_T5_P12ihipStream_tbEUlRKiE_EESO_SS_ST_mSU_SX_bEUlT_E_NS1_11comp_targetILNS1_3genE3ELNS1_11target_archE908ELNS1_3gpuE7ELNS1_3repE0EEENS1_30default_config_static_selectorELNS0_4arch9wavefront6targetE1EEEvSR_ ; -- Begin function _ZN7rocprim17ROCPRIM_400000_NS6detail17trampoline_kernelINS0_14default_configENS1_27upper_bound_config_selectorIiN6thrust23THRUST_200600_302600_NS6detail10any_assignEEEZNS1_14transform_implILb0ES3_S9_NS7_15normal_iteratorINS6_10device_ptrIiEEEENS6_16discard_iteratorINS6_11use_defaultEEEZNS1_13binary_searchIS3_S9_SE_SE_SH_NS1_21upper_bound_search_opENS7_16wrapped_functionINS0_4lessIvEEbEEEE10hipError_tPvRmT1_T2_T3_mmT4_T5_P12ihipStream_tbEUlRKiE_EESO_SS_ST_mSU_SX_bEUlT_E_NS1_11comp_targetILNS1_3genE3ELNS1_11target_archE908ELNS1_3gpuE7ELNS1_3repE0EEENS1_30default_config_static_selectorELNS0_4arch9wavefront6targetE1EEEvSR_
	.globl	_ZN7rocprim17ROCPRIM_400000_NS6detail17trampoline_kernelINS0_14default_configENS1_27upper_bound_config_selectorIiN6thrust23THRUST_200600_302600_NS6detail10any_assignEEEZNS1_14transform_implILb0ES3_S9_NS7_15normal_iteratorINS6_10device_ptrIiEEEENS6_16discard_iteratorINS6_11use_defaultEEEZNS1_13binary_searchIS3_S9_SE_SE_SH_NS1_21upper_bound_search_opENS7_16wrapped_functionINS0_4lessIvEEbEEEE10hipError_tPvRmT1_T2_T3_mmT4_T5_P12ihipStream_tbEUlRKiE_EESO_SS_ST_mSU_SX_bEUlT_E_NS1_11comp_targetILNS1_3genE3ELNS1_11target_archE908ELNS1_3gpuE7ELNS1_3repE0EEENS1_30default_config_static_selectorELNS0_4arch9wavefront6targetE1EEEvSR_
	.p2align	8
	.type	_ZN7rocprim17ROCPRIM_400000_NS6detail17trampoline_kernelINS0_14default_configENS1_27upper_bound_config_selectorIiN6thrust23THRUST_200600_302600_NS6detail10any_assignEEEZNS1_14transform_implILb0ES3_S9_NS7_15normal_iteratorINS6_10device_ptrIiEEEENS6_16discard_iteratorINS6_11use_defaultEEEZNS1_13binary_searchIS3_S9_SE_SE_SH_NS1_21upper_bound_search_opENS7_16wrapped_functionINS0_4lessIvEEbEEEE10hipError_tPvRmT1_T2_T3_mmT4_T5_P12ihipStream_tbEUlRKiE_EESO_SS_ST_mSU_SX_bEUlT_E_NS1_11comp_targetILNS1_3genE3ELNS1_11target_archE908ELNS1_3gpuE7ELNS1_3repE0EEENS1_30default_config_static_selectorELNS0_4arch9wavefront6targetE1EEEvSR_,@function
_ZN7rocprim17ROCPRIM_400000_NS6detail17trampoline_kernelINS0_14default_configENS1_27upper_bound_config_selectorIiN6thrust23THRUST_200600_302600_NS6detail10any_assignEEEZNS1_14transform_implILb0ES3_S9_NS7_15normal_iteratorINS6_10device_ptrIiEEEENS6_16discard_iteratorINS6_11use_defaultEEEZNS1_13binary_searchIS3_S9_SE_SE_SH_NS1_21upper_bound_search_opENS7_16wrapped_functionINS0_4lessIvEEbEEEE10hipError_tPvRmT1_T2_T3_mmT4_T5_P12ihipStream_tbEUlRKiE_EESO_SS_ST_mSU_SX_bEUlT_E_NS1_11comp_targetILNS1_3genE3ELNS1_11target_archE908ELNS1_3gpuE7ELNS1_3repE0EEENS1_30default_config_static_selectorELNS0_4arch9wavefront6targetE1EEEvSR_: ; @_ZN7rocprim17ROCPRIM_400000_NS6detail17trampoline_kernelINS0_14default_configENS1_27upper_bound_config_selectorIiN6thrust23THRUST_200600_302600_NS6detail10any_assignEEEZNS1_14transform_implILb0ES3_S9_NS7_15normal_iteratorINS6_10device_ptrIiEEEENS6_16discard_iteratorINS6_11use_defaultEEEZNS1_13binary_searchIS3_S9_SE_SE_SH_NS1_21upper_bound_search_opENS7_16wrapped_functionINS0_4lessIvEEbEEEE10hipError_tPvRmT1_T2_T3_mmT4_T5_P12ihipStream_tbEUlRKiE_EESO_SS_ST_mSU_SX_bEUlT_E_NS1_11comp_targetILNS1_3genE3ELNS1_11target_archE908ELNS1_3gpuE7ELNS1_3repE0EEENS1_30default_config_static_selectorELNS0_4arch9wavefront6targetE1EEEvSR_
; %bb.0:
	.section	.rodata,"a",@progbits
	.p2align	6, 0x0
	.amdhsa_kernel _ZN7rocprim17ROCPRIM_400000_NS6detail17trampoline_kernelINS0_14default_configENS1_27upper_bound_config_selectorIiN6thrust23THRUST_200600_302600_NS6detail10any_assignEEEZNS1_14transform_implILb0ES3_S9_NS7_15normal_iteratorINS6_10device_ptrIiEEEENS6_16discard_iteratorINS6_11use_defaultEEEZNS1_13binary_searchIS3_S9_SE_SE_SH_NS1_21upper_bound_search_opENS7_16wrapped_functionINS0_4lessIvEEbEEEE10hipError_tPvRmT1_T2_T3_mmT4_T5_P12ihipStream_tbEUlRKiE_EESO_SS_ST_mSU_SX_bEUlT_E_NS1_11comp_targetILNS1_3genE3ELNS1_11target_archE908ELNS1_3gpuE7ELNS1_3repE0EEENS1_30default_config_static_selectorELNS0_4arch9wavefront6targetE1EEEvSR_
		.amdhsa_group_segment_fixed_size 0
		.amdhsa_private_segment_fixed_size 0
		.amdhsa_kernarg_size 64
		.amdhsa_user_sgpr_count 6
		.amdhsa_user_sgpr_private_segment_buffer 1
		.amdhsa_user_sgpr_dispatch_ptr 0
		.amdhsa_user_sgpr_queue_ptr 0
		.amdhsa_user_sgpr_kernarg_segment_ptr 1
		.amdhsa_user_sgpr_dispatch_id 0
		.amdhsa_user_sgpr_flat_scratch_init 0
		.amdhsa_user_sgpr_kernarg_preload_length 0
		.amdhsa_user_sgpr_kernarg_preload_offset 0
		.amdhsa_user_sgpr_private_segment_size 0
		.amdhsa_uses_dynamic_stack 0
		.amdhsa_system_sgpr_private_segment_wavefront_offset 0
		.amdhsa_system_sgpr_workgroup_id_x 1
		.amdhsa_system_sgpr_workgroup_id_y 0
		.amdhsa_system_sgpr_workgroup_id_z 0
		.amdhsa_system_sgpr_workgroup_info 0
		.amdhsa_system_vgpr_workitem_id 0
		.amdhsa_next_free_vgpr 1
		.amdhsa_next_free_sgpr 0
		.amdhsa_accum_offset 4
		.amdhsa_reserve_vcc 0
		.amdhsa_reserve_flat_scratch 0
		.amdhsa_float_round_mode_32 0
		.amdhsa_float_round_mode_16_64 0
		.amdhsa_float_denorm_mode_32 3
		.amdhsa_float_denorm_mode_16_64 3
		.amdhsa_dx10_clamp 1
		.amdhsa_ieee_mode 1
		.amdhsa_fp16_overflow 0
		.amdhsa_tg_split 0
		.amdhsa_exception_fp_ieee_invalid_op 0
		.amdhsa_exception_fp_denorm_src 0
		.amdhsa_exception_fp_ieee_div_zero 0
		.amdhsa_exception_fp_ieee_overflow 0
		.amdhsa_exception_fp_ieee_underflow 0
		.amdhsa_exception_fp_ieee_inexact 0
		.amdhsa_exception_int_div_zero 0
	.end_amdhsa_kernel
	.section	.text._ZN7rocprim17ROCPRIM_400000_NS6detail17trampoline_kernelINS0_14default_configENS1_27upper_bound_config_selectorIiN6thrust23THRUST_200600_302600_NS6detail10any_assignEEEZNS1_14transform_implILb0ES3_S9_NS7_15normal_iteratorINS6_10device_ptrIiEEEENS6_16discard_iteratorINS6_11use_defaultEEEZNS1_13binary_searchIS3_S9_SE_SE_SH_NS1_21upper_bound_search_opENS7_16wrapped_functionINS0_4lessIvEEbEEEE10hipError_tPvRmT1_T2_T3_mmT4_T5_P12ihipStream_tbEUlRKiE_EESO_SS_ST_mSU_SX_bEUlT_E_NS1_11comp_targetILNS1_3genE3ELNS1_11target_archE908ELNS1_3gpuE7ELNS1_3repE0EEENS1_30default_config_static_selectorELNS0_4arch9wavefront6targetE1EEEvSR_,"axG",@progbits,_ZN7rocprim17ROCPRIM_400000_NS6detail17trampoline_kernelINS0_14default_configENS1_27upper_bound_config_selectorIiN6thrust23THRUST_200600_302600_NS6detail10any_assignEEEZNS1_14transform_implILb0ES3_S9_NS7_15normal_iteratorINS6_10device_ptrIiEEEENS6_16discard_iteratorINS6_11use_defaultEEEZNS1_13binary_searchIS3_S9_SE_SE_SH_NS1_21upper_bound_search_opENS7_16wrapped_functionINS0_4lessIvEEbEEEE10hipError_tPvRmT1_T2_T3_mmT4_T5_P12ihipStream_tbEUlRKiE_EESO_SS_ST_mSU_SX_bEUlT_E_NS1_11comp_targetILNS1_3genE3ELNS1_11target_archE908ELNS1_3gpuE7ELNS1_3repE0EEENS1_30default_config_static_selectorELNS0_4arch9wavefront6targetE1EEEvSR_,comdat
.Lfunc_end585:
	.size	_ZN7rocprim17ROCPRIM_400000_NS6detail17trampoline_kernelINS0_14default_configENS1_27upper_bound_config_selectorIiN6thrust23THRUST_200600_302600_NS6detail10any_assignEEEZNS1_14transform_implILb0ES3_S9_NS7_15normal_iteratorINS6_10device_ptrIiEEEENS6_16discard_iteratorINS6_11use_defaultEEEZNS1_13binary_searchIS3_S9_SE_SE_SH_NS1_21upper_bound_search_opENS7_16wrapped_functionINS0_4lessIvEEbEEEE10hipError_tPvRmT1_T2_T3_mmT4_T5_P12ihipStream_tbEUlRKiE_EESO_SS_ST_mSU_SX_bEUlT_E_NS1_11comp_targetILNS1_3genE3ELNS1_11target_archE908ELNS1_3gpuE7ELNS1_3repE0EEENS1_30default_config_static_selectorELNS0_4arch9wavefront6targetE1EEEvSR_, .Lfunc_end585-_ZN7rocprim17ROCPRIM_400000_NS6detail17trampoline_kernelINS0_14default_configENS1_27upper_bound_config_selectorIiN6thrust23THRUST_200600_302600_NS6detail10any_assignEEEZNS1_14transform_implILb0ES3_S9_NS7_15normal_iteratorINS6_10device_ptrIiEEEENS6_16discard_iteratorINS6_11use_defaultEEEZNS1_13binary_searchIS3_S9_SE_SE_SH_NS1_21upper_bound_search_opENS7_16wrapped_functionINS0_4lessIvEEbEEEE10hipError_tPvRmT1_T2_T3_mmT4_T5_P12ihipStream_tbEUlRKiE_EESO_SS_ST_mSU_SX_bEUlT_E_NS1_11comp_targetILNS1_3genE3ELNS1_11target_archE908ELNS1_3gpuE7ELNS1_3repE0EEENS1_30default_config_static_selectorELNS0_4arch9wavefront6targetE1EEEvSR_
                                        ; -- End function
	.section	.AMDGPU.csdata,"",@progbits
; Kernel info:
; codeLenInByte = 0
; NumSgprs: 4
; NumVgprs: 0
; NumAgprs: 0
; TotalNumVgprs: 0
; ScratchSize: 0
; MemoryBound: 0
; FloatMode: 240
; IeeeMode: 1
; LDSByteSize: 0 bytes/workgroup (compile time only)
; SGPRBlocks: 0
; VGPRBlocks: 0
; NumSGPRsForWavesPerEU: 4
; NumVGPRsForWavesPerEU: 1
; AccumOffset: 4
; Occupancy: 8
; WaveLimiterHint : 0
; COMPUTE_PGM_RSRC2:SCRATCH_EN: 0
; COMPUTE_PGM_RSRC2:USER_SGPR: 6
; COMPUTE_PGM_RSRC2:TRAP_HANDLER: 0
; COMPUTE_PGM_RSRC2:TGID_X_EN: 1
; COMPUTE_PGM_RSRC2:TGID_Y_EN: 0
; COMPUTE_PGM_RSRC2:TGID_Z_EN: 0
; COMPUTE_PGM_RSRC2:TIDIG_COMP_CNT: 0
; COMPUTE_PGM_RSRC3_GFX90A:ACCUM_OFFSET: 0
; COMPUTE_PGM_RSRC3_GFX90A:TG_SPLIT: 0
	.section	.text._ZN7rocprim17ROCPRIM_400000_NS6detail17trampoline_kernelINS0_14default_configENS1_27upper_bound_config_selectorIiN6thrust23THRUST_200600_302600_NS6detail10any_assignEEEZNS1_14transform_implILb0ES3_S9_NS7_15normal_iteratorINS6_10device_ptrIiEEEENS6_16discard_iteratorINS6_11use_defaultEEEZNS1_13binary_searchIS3_S9_SE_SE_SH_NS1_21upper_bound_search_opENS7_16wrapped_functionINS0_4lessIvEEbEEEE10hipError_tPvRmT1_T2_T3_mmT4_T5_P12ihipStream_tbEUlRKiE_EESO_SS_ST_mSU_SX_bEUlT_E_NS1_11comp_targetILNS1_3genE2ELNS1_11target_archE906ELNS1_3gpuE6ELNS1_3repE0EEENS1_30default_config_static_selectorELNS0_4arch9wavefront6targetE1EEEvSR_,"axG",@progbits,_ZN7rocprim17ROCPRIM_400000_NS6detail17trampoline_kernelINS0_14default_configENS1_27upper_bound_config_selectorIiN6thrust23THRUST_200600_302600_NS6detail10any_assignEEEZNS1_14transform_implILb0ES3_S9_NS7_15normal_iteratorINS6_10device_ptrIiEEEENS6_16discard_iteratorINS6_11use_defaultEEEZNS1_13binary_searchIS3_S9_SE_SE_SH_NS1_21upper_bound_search_opENS7_16wrapped_functionINS0_4lessIvEEbEEEE10hipError_tPvRmT1_T2_T3_mmT4_T5_P12ihipStream_tbEUlRKiE_EESO_SS_ST_mSU_SX_bEUlT_E_NS1_11comp_targetILNS1_3genE2ELNS1_11target_archE906ELNS1_3gpuE6ELNS1_3repE0EEENS1_30default_config_static_selectorELNS0_4arch9wavefront6targetE1EEEvSR_,comdat
	.protected	_ZN7rocprim17ROCPRIM_400000_NS6detail17trampoline_kernelINS0_14default_configENS1_27upper_bound_config_selectorIiN6thrust23THRUST_200600_302600_NS6detail10any_assignEEEZNS1_14transform_implILb0ES3_S9_NS7_15normal_iteratorINS6_10device_ptrIiEEEENS6_16discard_iteratorINS6_11use_defaultEEEZNS1_13binary_searchIS3_S9_SE_SE_SH_NS1_21upper_bound_search_opENS7_16wrapped_functionINS0_4lessIvEEbEEEE10hipError_tPvRmT1_T2_T3_mmT4_T5_P12ihipStream_tbEUlRKiE_EESO_SS_ST_mSU_SX_bEUlT_E_NS1_11comp_targetILNS1_3genE2ELNS1_11target_archE906ELNS1_3gpuE6ELNS1_3repE0EEENS1_30default_config_static_selectorELNS0_4arch9wavefront6targetE1EEEvSR_ ; -- Begin function _ZN7rocprim17ROCPRIM_400000_NS6detail17trampoline_kernelINS0_14default_configENS1_27upper_bound_config_selectorIiN6thrust23THRUST_200600_302600_NS6detail10any_assignEEEZNS1_14transform_implILb0ES3_S9_NS7_15normal_iteratorINS6_10device_ptrIiEEEENS6_16discard_iteratorINS6_11use_defaultEEEZNS1_13binary_searchIS3_S9_SE_SE_SH_NS1_21upper_bound_search_opENS7_16wrapped_functionINS0_4lessIvEEbEEEE10hipError_tPvRmT1_T2_T3_mmT4_T5_P12ihipStream_tbEUlRKiE_EESO_SS_ST_mSU_SX_bEUlT_E_NS1_11comp_targetILNS1_3genE2ELNS1_11target_archE906ELNS1_3gpuE6ELNS1_3repE0EEENS1_30default_config_static_selectorELNS0_4arch9wavefront6targetE1EEEvSR_
	.globl	_ZN7rocprim17ROCPRIM_400000_NS6detail17trampoline_kernelINS0_14default_configENS1_27upper_bound_config_selectorIiN6thrust23THRUST_200600_302600_NS6detail10any_assignEEEZNS1_14transform_implILb0ES3_S9_NS7_15normal_iteratorINS6_10device_ptrIiEEEENS6_16discard_iteratorINS6_11use_defaultEEEZNS1_13binary_searchIS3_S9_SE_SE_SH_NS1_21upper_bound_search_opENS7_16wrapped_functionINS0_4lessIvEEbEEEE10hipError_tPvRmT1_T2_T3_mmT4_T5_P12ihipStream_tbEUlRKiE_EESO_SS_ST_mSU_SX_bEUlT_E_NS1_11comp_targetILNS1_3genE2ELNS1_11target_archE906ELNS1_3gpuE6ELNS1_3repE0EEENS1_30default_config_static_selectorELNS0_4arch9wavefront6targetE1EEEvSR_
	.p2align	8
	.type	_ZN7rocprim17ROCPRIM_400000_NS6detail17trampoline_kernelINS0_14default_configENS1_27upper_bound_config_selectorIiN6thrust23THRUST_200600_302600_NS6detail10any_assignEEEZNS1_14transform_implILb0ES3_S9_NS7_15normal_iteratorINS6_10device_ptrIiEEEENS6_16discard_iteratorINS6_11use_defaultEEEZNS1_13binary_searchIS3_S9_SE_SE_SH_NS1_21upper_bound_search_opENS7_16wrapped_functionINS0_4lessIvEEbEEEE10hipError_tPvRmT1_T2_T3_mmT4_T5_P12ihipStream_tbEUlRKiE_EESO_SS_ST_mSU_SX_bEUlT_E_NS1_11comp_targetILNS1_3genE2ELNS1_11target_archE906ELNS1_3gpuE6ELNS1_3repE0EEENS1_30default_config_static_selectorELNS0_4arch9wavefront6targetE1EEEvSR_,@function
_ZN7rocprim17ROCPRIM_400000_NS6detail17trampoline_kernelINS0_14default_configENS1_27upper_bound_config_selectorIiN6thrust23THRUST_200600_302600_NS6detail10any_assignEEEZNS1_14transform_implILb0ES3_S9_NS7_15normal_iteratorINS6_10device_ptrIiEEEENS6_16discard_iteratorINS6_11use_defaultEEEZNS1_13binary_searchIS3_S9_SE_SE_SH_NS1_21upper_bound_search_opENS7_16wrapped_functionINS0_4lessIvEEbEEEE10hipError_tPvRmT1_T2_T3_mmT4_T5_P12ihipStream_tbEUlRKiE_EESO_SS_ST_mSU_SX_bEUlT_E_NS1_11comp_targetILNS1_3genE2ELNS1_11target_archE906ELNS1_3gpuE6ELNS1_3repE0EEENS1_30default_config_static_selectorELNS0_4arch9wavefront6targetE1EEEvSR_: ; @_ZN7rocprim17ROCPRIM_400000_NS6detail17trampoline_kernelINS0_14default_configENS1_27upper_bound_config_selectorIiN6thrust23THRUST_200600_302600_NS6detail10any_assignEEEZNS1_14transform_implILb0ES3_S9_NS7_15normal_iteratorINS6_10device_ptrIiEEEENS6_16discard_iteratorINS6_11use_defaultEEEZNS1_13binary_searchIS3_S9_SE_SE_SH_NS1_21upper_bound_search_opENS7_16wrapped_functionINS0_4lessIvEEbEEEE10hipError_tPvRmT1_T2_T3_mmT4_T5_P12ihipStream_tbEUlRKiE_EESO_SS_ST_mSU_SX_bEUlT_E_NS1_11comp_targetILNS1_3genE2ELNS1_11target_archE906ELNS1_3gpuE6ELNS1_3repE0EEENS1_30default_config_static_selectorELNS0_4arch9wavefront6targetE1EEEvSR_
; %bb.0:
	.section	.rodata,"a",@progbits
	.p2align	6, 0x0
	.amdhsa_kernel _ZN7rocprim17ROCPRIM_400000_NS6detail17trampoline_kernelINS0_14default_configENS1_27upper_bound_config_selectorIiN6thrust23THRUST_200600_302600_NS6detail10any_assignEEEZNS1_14transform_implILb0ES3_S9_NS7_15normal_iteratorINS6_10device_ptrIiEEEENS6_16discard_iteratorINS6_11use_defaultEEEZNS1_13binary_searchIS3_S9_SE_SE_SH_NS1_21upper_bound_search_opENS7_16wrapped_functionINS0_4lessIvEEbEEEE10hipError_tPvRmT1_T2_T3_mmT4_T5_P12ihipStream_tbEUlRKiE_EESO_SS_ST_mSU_SX_bEUlT_E_NS1_11comp_targetILNS1_3genE2ELNS1_11target_archE906ELNS1_3gpuE6ELNS1_3repE0EEENS1_30default_config_static_selectorELNS0_4arch9wavefront6targetE1EEEvSR_
		.amdhsa_group_segment_fixed_size 0
		.amdhsa_private_segment_fixed_size 0
		.amdhsa_kernarg_size 64
		.amdhsa_user_sgpr_count 6
		.amdhsa_user_sgpr_private_segment_buffer 1
		.amdhsa_user_sgpr_dispatch_ptr 0
		.amdhsa_user_sgpr_queue_ptr 0
		.amdhsa_user_sgpr_kernarg_segment_ptr 1
		.amdhsa_user_sgpr_dispatch_id 0
		.amdhsa_user_sgpr_flat_scratch_init 0
		.amdhsa_user_sgpr_kernarg_preload_length 0
		.amdhsa_user_sgpr_kernarg_preload_offset 0
		.amdhsa_user_sgpr_private_segment_size 0
		.amdhsa_uses_dynamic_stack 0
		.amdhsa_system_sgpr_private_segment_wavefront_offset 0
		.amdhsa_system_sgpr_workgroup_id_x 1
		.amdhsa_system_sgpr_workgroup_id_y 0
		.amdhsa_system_sgpr_workgroup_id_z 0
		.amdhsa_system_sgpr_workgroup_info 0
		.amdhsa_system_vgpr_workitem_id 0
		.amdhsa_next_free_vgpr 1
		.amdhsa_next_free_sgpr 0
		.amdhsa_accum_offset 4
		.amdhsa_reserve_vcc 0
		.amdhsa_reserve_flat_scratch 0
		.amdhsa_float_round_mode_32 0
		.amdhsa_float_round_mode_16_64 0
		.amdhsa_float_denorm_mode_32 3
		.amdhsa_float_denorm_mode_16_64 3
		.amdhsa_dx10_clamp 1
		.amdhsa_ieee_mode 1
		.amdhsa_fp16_overflow 0
		.amdhsa_tg_split 0
		.amdhsa_exception_fp_ieee_invalid_op 0
		.amdhsa_exception_fp_denorm_src 0
		.amdhsa_exception_fp_ieee_div_zero 0
		.amdhsa_exception_fp_ieee_overflow 0
		.amdhsa_exception_fp_ieee_underflow 0
		.amdhsa_exception_fp_ieee_inexact 0
		.amdhsa_exception_int_div_zero 0
	.end_amdhsa_kernel
	.section	.text._ZN7rocprim17ROCPRIM_400000_NS6detail17trampoline_kernelINS0_14default_configENS1_27upper_bound_config_selectorIiN6thrust23THRUST_200600_302600_NS6detail10any_assignEEEZNS1_14transform_implILb0ES3_S9_NS7_15normal_iteratorINS6_10device_ptrIiEEEENS6_16discard_iteratorINS6_11use_defaultEEEZNS1_13binary_searchIS3_S9_SE_SE_SH_NS1_21upper_bound_search_opENS7_16wrapped_functionINS0_4lessIvEEbEEEE10hipError_tPvRmT1_T2_T3_mmT4_T5_P12ihipStream_tbEUlRKiE_EESO_SS_ST_mSU_SX_bEUlT_E_NS1_11comp_targetILNS1_3genE2ELNS1_11target_archE906ELNS1_3gpuE6ELNS1_3repE0EEENS1_30default_config_static_selectorELNS0_4arch9wavefront6targetE1EEEvSR_,"axG",@progbits,_ZN7rocprim17ROCPRIM_400000_NS6detail17trampoline_kernelINS0_14default_configENS1_27upper_bound_config_selectorIiN6thrust23THRUST_200600_302600_NS6detail10any_assignEEEZNS1_14transform_implILb0ES3_S9_NS7_15normal_iteratorINS6_10device_ptrIiEEEENS6_16discard_iteratorINS6_11use_defaultEEEZNS1_13binary_searchIS3_S9_SE_SE_SH_NS1_21upper_bound_search_opENS7_16wrapped_functionINS0_4lessIvEEbEEEE10hipError_tPvRmT1_T2_T3_mmT4_T5_P12ihipStream_tbEUlRKiE_EESO_SS_ST_mSU_SX_bEUlT_E_NS1_11comp_targetILNS1_3genE2ELNS1_11target_archE906ELNS1_3gpuE6ELNS1_3repE0EEENS1_30default_config_static_selectorELNS0_4arch9wavefront6targetE1EEEvSR_,comdat
.Lfunc_end586:
	.size	_ZN7rocprim17ROCPRIM_400000_NS6detail17trampoline_kernelINS0_14default_configENS1_27upper_bound_config_selectorIiN6thrust23THRUST_200600_302600_NS6detail10any_assignEEEZNS1_14transform_implILb0ES3_S9_NS7_15normal_iteratorINS6_10device_ptrIiEEEENS6_16discard_iteratorINS6_11use_defaultEEEZNS1_13binary_searchIS3_S9_SE_SE_SH_NS1_21upper_bound_search_opENS7_16wrapped_functionINS0_4lessIvEEbEEEE10hipError_tPvRmT1_T2_T3_mmT4_T5_P12ihipStream_tbEUlRKiE_EESO_SS_ST_mSU_SX_bEUlT_E_NS1_11comp_targetILNS1_3genE2ELNS1_11target_archE906ELNS1_3gpuE6ELNS1_3repE0EEENS1_30default_config_static_selectorELNS0_4arch9wavefront6targetE1EEEvSR_, .Lfunc_end586-_ZN7rocprim17ROCPRIM_400000_NS6detail17trampoline_kernelINS0_14default_configENS1_27upper_bound_config_selectorIiN6thrust23THRUST_200600_302600_NS6detail10any_assignEEEZNS1_14transform_implILb0ES3_S9_NS7_15normal_iteratorINS6_10device_ptrIiEEEENS6_16discard_iteratorINS6_11use_defaultEEEZNS1_13binary_searchIS3_S9_SE_SE_SH_NS1_21upper_bound_search_opENS7_16wrapped_functionINS0_4lessIvEEbEEEE10hipError_tPvRmT1_T2_T3_mmT4_T5_P12ihipStream_tbEUlRKiE_EESO_SS_ST_mSU_SX_bEUlT_E_NS1_11comp_targetILNS1_3genE2ELNS1_11target_archE906ELNS1_3gpuE6ELNS1_3repE0EEENS1_30default_config_static_selectorELNS0_4arch9wavefront6targetE1EEEvSR_
                                        ; -- End function
	.section	.AMDGPU.csdata,"",@progbits
; Kernel info:
; codeLenInByte = 0
; NumSgprs: 4
; NumVgprs: 0
; NumAgprs: 0
; TotalNumVgprs: 0
; ScratchSize: 0
; MemoryBound: 0
; FloatMode: 240
; IeeeMode: 1
; LDSByteSize: 0 bytes/workgroup (compile time only)
; SGPRBlocks: 0
; VGPRBlocks: 0
; NumSGPRsForWavesPerEU: 4
; NumVGPRsForWavesPerEU: 1
; AccumOffset: 4
; Occupancy: 8
; WaveLimiterHint : 0
; COMPUTE_PGM_RSRC2:SCRATCH_EN: 0
; COMPUTE_PGM_RSRC2:USER_SGPR: 6
; COMPUTE_PGM_RSRC2:TRAP_HANDLER: 0
; COMPUTE_PGM_RSRC2:TGID_X_EN: 1
; COMPUTE_PGM_RSRC2:TGID_Y_EN: 0
; COMPUTE_PGM_RSRC2:TGID_Z_EN: 0
; COMPUTE_PGM_RSRC2:TIDIG_COMP_CNT: 0
; COMPUTE_PGM_RSRC3_GFX90A:ACCUM_OFFSET: 0
; COMPUTE_PGM_RSRC3_GFX90A:TG_SPLIT: 0
	.section	.text._ZN7rocprim17ROCPRIM_400000_NS6detail17trampoline_kernelINS0_14default_configENS1_27upper_bound_config_selectorIiN6thrust23THRUST_200600_302600_NS6detail10any_assignEEEZNS1_14transform_implILb0ES3_S9_NS7_15normal_iteratorINS6_10device_ptrIiEEEENS6_16discard_iteratorINS6_11use_defaultEEEZNS1_13binary_searchIS3_S9_SE_SE_SH_NS1_21upper_bound_search_opENS7_16wrapped_functionINS0_4lessIvEEbEEEE10hipError_tPvRmT1_T2_T3_mmT4_T5_P12ihipStream_tbEUlRKiE_EESO_SS_ST_mSU_SX_bEUlT_E_NS1_11comp_targetILNS1_3genE10ELNS1_11target_archE1201ELNS1_3gpuE5ELNS1_3repE0EEENS1_30default_config_static_selectorELNS0_4arch9wavefront6targetE1EEEvSR_,"axG",@progbits,_ZN7rocprim17ROCPRIM_400000_NS6detail17trampoline_kernelINS0_14default_configENS1_27upper_bound_config_selectorIiN6thrust23THRUST_200600_302600_NS6detail10any_assignEEEZNS1_14transform_implILb0ES3_S9_NS7_15normal_iteratorINS6_10device_ptrIiEEEENS6_16discard_iteratorINS6_11use_defaultEEEZNS1_13binary_searchIS3_S9_SE_SE_SH_NS1_21upper_bound_search_opENS7_16wrapped_functionINS0_4lessIvEEbEEEE10hipError_tPvRmT1_T2_T3_mmT4_T5_P12ihipStream_tbEUlRKiE_EESO_SS_ST_mSU_SX_bEUlT_E_NS1_11comp_targetILNS1_3genE10ELNS1_11target_archE1201ELNS1_3gpuE5ELNS1_3repE0EEENS1_30default_config_static_selectorELNS0_4arch9wavefront6targetE1EEEvSR_,comdat
	.protected	_ZN7rocprim17ROCPRIM_400000_NS6detail17trampoline_kernelINS0_14default_configENS1_27upper_bound_config_selectorIiN6thrust23THRUST_200600_302600_NS6detail10any_assignEEEZNS1_14transform_implILb0ES3_S9_NS7_15normal_iteratorINS6_10device_ptrIiEEEENS6_16discard_iteratorINS6_11use_defaultEEEZNS1_13binary_searchIS3_S9_SE_SE_SH_NS1_21upper_bound_search_opENS7_16wrapped_functionINS0_4lessIvEEbEEEE10hipError_tPvRmT1_T2_T3_mmT4_T5_P12ihipStream_tbEUlRKiE_EESO_SS_ST_mSU_SX_bEUlT_E_NS1_11comp_targetILNS1_3genE10ELNS1_11target_archE1201ELNS1_3gpuE5ELNS1_3repE0EEENS1_30default_config_static_selectorELNS0_4arch9wavefront6targetE1EEEvSR_ ; -- Begin function _ZN7rocprim17ROCPRIM_400000_NS6detail17trampoline_kernelINS0_14default_configENS1_27upper_bound_config_selectorIiN6thrust23THRUST_200600_302600_NS6detail10any_assignEEEZNS1_14transform_implILb0ES3_S9_NS7_15normal_iteratorINS6_10device_ptrIiEEEENS6_16discard_iteratorINS6_11use_defaultEEEZNS1_13binary_searchIS3_S9_SE_SE_SH_NS1_21upper_bound_search_opENS7_16wrapped_functionINS0_4lessIvEEbEEEE10hipError_tPvRmT1_T2_T3_mmT4_T5_P12ihipStream_tbEUlRKiE_EESO_SS_ST_mSU_SX_bEUlT_E_NS1_11comp_targetILNS1_3genE10ELNS1_11target_archE1201ELNS1_3gpuE5ELNS1_3repE0EEENS1_30default_config_static_selectorELNS0_4arch9wavefront6targetE1EEEvSR_
	.globl	_ZN7rocprim17ROCPRIM_400000_NS6detail17trampoline_kernelINS0_14default_configENS1_27upper_bound_config_selectorIiN6thrust23THRUST_200600_302600_NS6detail10any_assignEEEZNS1_14transform_implILb0ES3_S9_NS7_15normal_iteratorINS6_10device_ptrIiEEEENS6_16discard_iteratorINS6_11use_defaultEEEZNS1_13binary_searchIS3_S9_SE_SE_SH_NS1_21upper_bound_search_opENS7_16wrapped_functionINS0_4lessIvEEbEEEE10hipError_tPvRmT1_T2_T3_mmT4_T5_P12ihipStream_tbEUlRKiE_EESO_SS_ST_mSU_SX_bEUlT_E_NS1_11comp_targetILNS1_3genE10ELNS1_11target_archE1201ELNS1_3gpuE5ELNS1_3repE0EEENS1_30default_config_static_selectorELNS0_4arch9wavefront6targetE1EEEvSR_
	.p2align	8
	.type	_ZN7rocprim17ROCPRIM_400000_NS6detail17trampoline_kernelINS0_14default_configENS1_27upper_bound_config_selectorIiN6thrust23THRUST_200600_302600_NS6detail10any_assignEEEZNS1_14transform_implILb0ES3_S9_NS7_15normal_iteratorINS6_10device_ptrIiEEEENS6_16discard_iteratorINS6_11use_defaultEEEZNS1_13binary_searchIS3_S9_SE_SE_SH_NS1_21upper_bound_search_opENS7_16wrapped_functionINS0_4lessIvEEbEEEE10hipError_tPvRmT1_T2_T3_mmT4_T5_P12ihipStream_tbEUlRKiE_EESO_SS_ST_mSU_SX_bEUlT_E_NS1_11comp_targetILNS1_3genE10ELNS1_11target_archE1201ELNS1_3gpuE5ELNS1_3repE0EEENS1_30default_config_static_selectorELNS0_4arch9wavefront6targetE1EEEvSR_,@function
_ZN7rocprim17ROCPRIM_400000_NS6detail17trampoline_kernelINS0_14default_configENS1_27upper_bound_config_selectorIiN6thrust23THRUST_200600_302600_NS6detail10any_assignEEEZNS1_14transform_implILb0ES3_S9_NS7_15normal_iteratorINS6_10device_ptrIiEEEENS6_16discard_iteratorINS6_11use_defaultEEEZNS1_13binary_searchIS3_S9_SE_SE_SH_NS1_21upper_bound_search_opENS7_16wrapped_functionINS0_4lessIvEEbEEEE10hipError_tPvRmT1_T2_T3_mmT4_T5_P12ihipStream_tbEUlRKiE_EESO_SS_ST_mSU_SX_bEUlT_E_NS1_11comp_targetILNS1_3genE10ELNS1_11target_archE1201ELNS1_3gpuE5ELNS1_3repE0EEENS1_30default_config_static_selectorELNS0_4arch9wavefront6targetE1EEEvSR_: ; @_ZN7rocprim17ROCPRIM_400000_NS6detail17trampoline_kernelINS0_14default_configENS1_27upper_bound_config_selectorIiN6thrust23THRUST_200600_302600_NS6detail10any_assignEEEZNS1_14transform_implILb0ES3_S9_NS7_15normal_iteratorINS6_10device_ptrIiEEEENS6_16discard_iteratorINS6_11use_defaultEEEZNS1_13binary_searchIS3_S9_SE_SE_SH_NS1_21upper_bound_search_opENS7_16wrapped_functionINS0_4lessIvEEbEEEE10hipError_tPvRmT1_T2_T3_mmT4_T5_P12ihipStream_tbEUlRKiE_EESO_SS_ST_mSU_SX_bEUlT_E_NS1_11comp_targetILNS1_3genE10ELNS1_11target_archE1201ELNS1_3gpuE5ELNS1_3repE0EEENS1_30default_config_static_selectorELNS0_4arch9wavefront6targetE1EEEvSR_
; %bb.0:
	.section	.rodata,"a",@progbits
	.p2align	6, 0x0
	.amdhsa_kernel _ZN7rocprim17ROCPRIM_400000_NS6detail17trampoline_kernelINS0_14default_configENS1_27upper_bound_config_selectorIiN6thrust23THRUST_200600_302600_NS6detail10any_assignEEEZNS1_14transform_implILb0ES3_S9_NS7_15normal_iteratorINS6_10device_ptrIiEEEENS6_16discard_iteratorINS6_11use_defaultEEEZNS1_13binary_searchIS3_S9_SE_SE_SH_NS1_21upper_bound_search_opENS7_16wrapped_functionINS0_4lessIvEEbEEEE10hipError_tPvRmT1_T2_T3_mmT4_T5_P12ihipStream_tbEUlRKiE_EESO_SS_ST_mSU_SX_bEUlT_E_NS1_11comp_targetILNS1_3genE10ELNS1_11target_archE1201ELNS1_3gpuE5ELNS1_3repE0EEENS1_30default_config_static_selectorELNS0_4arch9wavefront6targetE1EEEvSR_
		.amdhsa_group_segment_fixed_size 0
		.amdhsa_private_segment_fixed_size 0
		.amdhsa_kernarg_size 64
		.amdhsa_user_sgpr_count 6
		.amdhsa_user_sgpr_private_segment_buffer 1
		.amdhsa_user_sgpr_dispatch_ptr 0
		.amdhsa_user_sgpr_queue_ptr 0
		.amdhsa_user_sgpr_kernarg_segment_ptr 1
		.amdhsa_user_sgpr_dispatch_id 0
		.amdhsa_user_sgpr_flat_scratch_init 0
		.amdhsa_user_sgpr_kernarg_preload_length 0
		.amdhsa_user_sgpr_kernarg_preload_offset 0
		.amdhsa_user_sgpr_private_segment_size 0
		.amdhsa_uses_dynamic_stack 0
		.amdhsa_system_sgpr_private_segment_wavefront_offset 0
		.amdhsa_system_sgpr_workgroup_id_x 1
		.amdhsa_system_sgpr_workgroup_id_y 0
		.amdhsa_system_sgpr_workgroup_id_z 0
		.amdhsa_system_sgpr_workgroup_info 0
		.amdhsa_system_vgpr_workitem_id 0
		.amdhsa_next_free_vgpr 1
		.amdhsa_next_free_sgpr 0
		.amdhsa_accum_offset 4
		.amdhsa_reserve_vcc 0
		.amdhsa_reserve_flat_scratch 0
		.amdhsa_float_round_mode_32 0
		.amdhsa_float_round_mode_16_64 0
		.amdhsa_float_denorm_mode_32 3
		.amdhsa_float_denorm_mode_16_64 3
		.amdhsa_dx10_clamp 1
		.amdhsa_ieee_mode 1
		.amdhsa_fp16_overflow 0
		.amdhsa_tg_split 0
		.amdhsa_exception_fp_ieee_invalid_op 0
		.amdhsa_exception_fp_denorm_src 0
		.amdhsa_exception_fp_ieee_div_zero 0
		.amdhsa_exception_fp_ieee_overflow 0
		.amdhsa_exception_fp_ieee_underflow 0
		.amdhsa_exception_fp_ieee_inexact 0
		.amdhsa_exception_int_div_zero 0
	.end_amdhsa_kernel
	.section	.text._ZN7rocprim17ROCPRIM_400000_NS6detail17trampoline_kernelINS0_14default_configENS1_27upper_bound_config_selectorIiN6thrust23THRUST_200600_302600_NS6detail10any_assignEEEZNS1_14transform_implILb0ES3_S9_NS7_15normal_iteratorINS6_10device_ptrIiEEEENS6_16discard_iteratorINS6_11use_defaultEEEZNS1_13binary_searchIS3_S9_SE_SE_SH_NS1_21upper_bound_search_opENS7_16wrapped_functionINS0_4lessIvEEbEEEE10hipError_tPvRmT1_T2_T3_mmT4_T5_P12ihipStream_tbEUlRKiE_EESO_SS_ST_mSU_SX_bEUlT_E_NS1_11comp_targetILNS1_3genE10ELNS1_11target_archE1201ELNS1_3gpuE5ELNS1_3repE0EEENS1_30default_config_static_selectorELNS0_4arch9wavefront6targetE1EEEvSR_,"axG",@progbits,_ZN7rocprim17ROCPRIM_400000_NS6detail17trampoline_kernelINS0_14default_configENS1_27upper_bound_config_selectorIiN6thrust23THRUST_200600_302600_NS6detail10any_assignEEEZNS1_14transform_implILb0ES3_S9_NS7_15normal_iteratorINS6_10device_ptrIiEEEENS6_16discard_iteratorINS6_11use_defaultEEEZNS1_13binary_searchIS3_S9_SE_SE_SH_NS1_21upper_bound_search_opENS7_16wrapped_functionINS0_4lessIvEEbEEEE10hipError_tPvRmT1_T2_T3_mmT4_T5_P12ihipStream_tbEUlRKiE_EESO_SS_ST_mSU_SX_bEUlT_E_NS1_11comp_targetILNS1_3genE10ELNS1_11target_archE1201ELNS1_3gpuE5ELNS1_3repE0EEENS1_30default_config_static_selectorELNS0_4arch9wavefront6targetE1EEEvSR_,comdat
.Lfunc_end587:
	.size	_ZN7rocprim17ROCPRIM_400000_NS6detail17trampoline_kernelINS0_14default_configENS1_27upper_bound_config_selectorIiN6thrust23THRUST_200600_302600_NS6detail10any_assignEEEZNS1_14transform_implILb0ES3_S9_NS7_15normal_iteratorINS6_10device_ptrIiEEEENS6_16discard_iteratorINS6_11use_defaultEEEZNS1_13binary_searchIS3_S9_SE_SE_SH_NS1_21upper_bound_search_opENS7_16wrapped_functionINS0_4lessIvEEbEEEE10hipError_tPvRmT1_T2_T3_mmT4_T5_P12ihipStream_tbEUlRKiE_EESO_SS_ST_mSU_SX_bEUlT_E_NS1_11comp_targetILNS1_3genE10ELNS1_11target_archE1201ELNS1_3gpuE5ELNS1_3repE0EEENS1_30default_config_static_selectorELNS0_4arch9wavefront6targetE1EEEvSR_, .Lfunc_end587-_ZN7rocprim17ROCPRIM_400000_NS6detail17trampoline_kernelINS0_14default_configENS1_27upper_bound_config_selectorIiN6thrust23THRUST_200600_302600_NS6detail10any_assignEEEZNS1_14transform_implILb0ES3_S9_NS7_15normal_iteratorINS6_10device_ptrIiEEEENS6_16discard_iteratorINS6_11use_defaultEEEZNS1_13binary_searchIS3_S9_SE_SE_SH_NS1_21upper_bound_search_opENS7_16wrapped_functionINS0_4lessIvEEbEEEE10hipError_tPvRmT1_T2_T3_mmT4_T5_P12ihipStream_tbEUlRKiE_EESO_SS_ST_mSU_SX_bEUlT_E_NS1_11comp_targetILNS1_3genE10ELNS1_11target_archE1201ELNS1_3gpuE5ELNS1_3repE0EEENS1_30default_config_static_selectorELNS0_4arch9wavefront6targetE1EEEvSR_
                                        ; -- End function
	.section	.AMDGPU.csdata,"",@progbits
; Kernel info:
; codeLenInByte = 0
; NumSgprs: 4
; NumVgprs: 0
; NumAgprs: 0
; TotalNumVgprs: 0
; ScratchSize: 0
; MemoryBound: 0
; FloatMode: 240
; IeeeMode: 1
; LDSByteSize: 0 bytes/workgroup (compile time only)
; SGPRBlocks: 0
; VGPRBlocks: 0
; NumSGPRsForWavesPerEU: 4
; NumVGPRsForWavesPerEU: 1
; AccumOffset: 4
; Occupancy: 8
; WaveLimiterHint : 0
; COMPUTE_PGM_RSRC2:SCRATCH_EN: 0
; COMPUTE_PGM_RSRC2:USER_SGPR: 6
; COMPUTE_PGM_RSRC2:TRAP_HANDLER: 0
; COMPUTE_PGM_RSRC2:TGID_X_EN: 1
; COMPUTE_PGM_RSRC2:TGID_Y_EN: 0
; COMPUTE_PGM_RSRC2:TGID_Z_EN: 0
; COMPUTE_PGM_RSRC2:TIDIG_COMP_CNT: 0
; COMPUTE_PGM_RSRC3_GFX90A:ACCUM_OFFSET: 0
; COMPUTE_PGM_RSRC3_GFX90A:TG_SPLIT: 0
	.section	.text._ZN7rocprim17ROCPRIM_400000_NS6detail17trampoline_kernelINS0_14default_configENS1_27upper_bound_config_selectorIiN6thrust23THRUST_200600_302600_NS6detail10any_assignEEEZNS1_14transform_implILb0ES3_S9_NS7_15normal_iteratorINS6_10device_ptrIiEEEENS6_16discard_iteratorINS6_11use_defaultEEEZNS1_13binary_searchIS3_S9_SE_SE_SH_NS1_21upper_bound_search_opENS7_16wrapped_functionINS0_4lessIvEEbEEEE10hipError_tPvRmT1_T2_T3_mmT4_T5_P12ihipStream_tbEUlRKiE_EESO_SS_ST_mSU_SX_bEUlT_E_NS1_11comp_targetILNS1_3genE10ELNS1_11target_archE1200ELNS1_3gpuE4ELNS1_3repE0EEENS1_30default_config_static_selectorELNS0_4arch9wavefront6targetE1EEEvSR_,"axG",@progbits,_ZN7rocprim17ROCPRIM_400000_NS6detail17trampoline_kernelINS0_14default_configENS1_27upper_bound_config_selectorIiN6thrust23THRUST_200600_302600_NS6detail10any_assignEEEZNS1_14transform_implILb0ES3_S9_NS7_15normal_iteratorINS6_10device_ptrIiEEEENS6_16discard_iteratorINS6_11use_defaultEEEZNS1_13binary_searchIS3_S9_SE_SE_SH_NS1_21upper_bound_search_opENS7_16wrapped_functionINS0_4lessIvEEbEEEE10hipError_tPvRmT1_T2_T3_mmT4_T5_P12ihipStream_tbEUlRKiE_EESO_SS_ST_mSU_SX_bEUlT_E_NS1_11comp_targetILNS1_3genE10ELNS1_11target_archE1200ELNS1_3gpuE4ELNS1_3repE0EEENS1_30default_config_static_selectorELNS0_4arch9wavefront6targetE1EEEvSR_,comdat
	.protected	_ZN7rocprim17ROCPRIM_400000_NS6detail17trampoline_kernelINS0_14default_configENS1_27upper_bound_config_selectorIiN6thrust23THRUST_200600_302600_NS6detail10any_assignEEEZNS1_14transform_implILb0ES3_S9_NS7_15normal_iteratorINS6_10device_ptrIiEEEENS6_16discard_iteratorINS6_11use_defaultEEEZNS1_13binary_searchIS3_S9_SE_SE_SH_NS1_21upper_bound_search_opENS7_16wrapped_functionINS0_4lessIvEEbEEEE10hipError_tPvRmT1_T2_T3_mmT4_T5_P12ihipStream_tbEUlRKiE_EESO_SS_ST_mSU_SX_bEUlT_E_NS1_11comp_targetILNS1_3genE10ELNS1_11target_archE1200ELNS1_3gpuE4ELNS1_3repE0EEENS1_30default_config_static_selectorELNS0_4arch9wavefront6targetE1EEEvSR_ ; -- Begin function _ZN7rocprim17ROCPRIM_400000_NS6detail17trampoline_kernelINS0_14default_configENS1_27upper_bound_config_selectorIiN6thrust23THRUST_200600_302600_NS6detail10any_assignEEEZNS1_14transform_implILb0ES3_S9_NS7_15normal_iteratorINS6_10device_ptrIiEEEENS6_16discard_iteratorINS6_11use_defaultEEEZNS1_13binary_searchIS3_S9_SE_SE_SH_NS1_21upper_bound_search_opENS7_16wrapped_functionINS0_4lessIvEEbEEEE10hipError_tPvRmT1_T2_T3_mmT4_T5_P12ihipStream_tbEUlRKiE_EESO_SS_ST_mSU_SX_bEUlT_E_NS1_11comp_targetILNS1_3genE10ELNS1_11target_archE1200ELNS1_3gpuE4ELNS1_3repE0EEENS1_30default_config_static_selectorELNS0_4arch9wavefront6targetE1EEEvSR_
	.globl	_ZN7rocprim17ROCPRIM_400000_NS6detail17trampoline_kernelINS0_14default_configENS1_27upper_bound_config_selectorIiN6thrust23THRUST_200600_302600_NS6detail10any_assignEEEZNS1_14transform_implILb0ES3_S9_NS7_15normal_iteratorINS6_10device_ptrIiEEEENS6_16discard_iteratorINS6_11use_defaultEEEZNS1_13binary_searchIS3_S9_SE_SE_SH_NS1_21upper_bound_search_opENS7_16wrapped_functionINS0_4lessIvEEbEEEE10hipError_tPvRmT1_T2_T3_mmT4_T5_P12ihipStream_tbEUlRKiE_EESO_SS_ST_mSU_SX_bEUlT_E_NS1_11comp_targetILNS1_3genE10ELNS1_11target_archE1200ELNS1_3gpuE4ELNS1_3repE0EEENS1_30default_config_static_selectorELNS0_4arch9wavefront6targetE1EEEvSR_
	.p2align	8
	.type	_ZN7rocprim17ROCPRIM_400000_NS6detail17trampoline_kernelINS0_14default_configENS1_27upper_bound_config_selectorIiN6thrust23THRUST_200600_302600_NS6detail10any_assignEEEZNS1_14transform_implILb0ES3_S9_NS7_15normal_iteratorINS6_10device_ptrIiEEEENS6_16discard_iteratorINS6_11use_defaultEEEZNS1_13binary_searchIS3_S9_SE_SE_SH_NS1_21upper_bound_search_opENS7_16wrapped_functionINS0_4lessIvEEbEEEE10hipError_tPvRmT1_T2_T3_mmT4_T5_P12ihipStream_tbEUlRKiE_EESO_SS_ST_mSU_SX_bEUlT_E_NS1_11comp_targetILNS1_3genE10ELNS1_11target_archE1200ELNS1_3gpuE4ELNS1_3repE0EEENS1_30default_config_static_selectorELNS0_4arch9wavefront6targetE1EEEvSR_,@function
_ZN7rocprim17ROCPRIM_400000_NS6detail17trampoline_kernelINS0_14default_configENS1_27upper_bound_config_selectorIiN6thrust23THRUST_200600_302600_NS6detail10any_assignEEEZNS1_14transform_implILb0ES3_S9_NS7_15normal_iteratorINS6_10device_ptrIiEEEENS6_16discard_iteratorINS6_11use_defaultEEEZNS1_13binary_searchIS3_S9_SE_SE_SH_NS1_21upper_bound_search_opENS7_16wrapped_functionINS0_4lessIvEEbEEEE10hipError_tPvRmT1_T2_T3_mmT4_T5_P12ihipStream_tbEUlRKiE_EESO_SS_ST_mSU_SX_bEUlT_E_NS1_11comp_targetILNS1_3genE10ELNS1_11target_archE1200ELNS1_3gpuE4ELNS1_3repE0EEENS1_30default_config_static_selectorELNS0_4arch9wavefront6targetE1EEEvSR_: ; @_ZN7rocprim17ROCPRIM_400000_NS6detail17trampoline_kernelINS0_14default_configENS1_27upper_bound_config_selectorIiN6thrust23THRUST_200600_302600_NS6detail10any_assignEEEZNS1_14transform_implILb0ES3_S9_NS7_15normal_iteratorINS6_10device_ptrIiEEEENS6_16discard_iteratorINS6_11use_defaultEEEZNS1_13binary_searchIS3_S9_SE_SE_SH_NS1_21upper_bound_search_opENS7_16wrapped_functionINS0_4lessIvEEbEEEE10hipError_tPvRmT1_T2_T3_mmT4_T5_P12ihipStream_tbEUlRKiE_EESO_SS_ST_mSU_SX_bEUlT_E_NS1_11comp_targetILNS1_3genE10ELNS1_11target_archE1200ELNS1_3gpuE4ELNS1_3repE0EEENS1_30default_config_static_selectorELNS0_4arch9wavefront6targetE1EEEvSR_
; %bb.0:
	.section	.rodata,"a",@progbits
	.p2align	6, 0x0
	.amdhsa_kernel _ZN7rocprim17ROCPRIM_400000_NS6detail17trampoline_kernelINS0_14default_configENS1_27upper_bound_config_selectorIiN6thrust23THRUST_200600_302600_NS6detail10any_assignEEEZNS1_14transform_implILb0ES3_S9_NS7_15normal_iteratorINS6_10device_ptrIiEEEENS6_16discard_iteratorINS6_11use_defaultEEEZNS1_13binary_searchIS3_S9_SE_SE_SH_NS1_21upper_bound_search_opENS7_16wrapped_functionINS0_4lessIvEEbEEEE10hipError_tPvRmT1_T2_T3_mmT4_T5_P12ihipStream_tbEUlRKiE_EESO_SS_ST_mSU_SX_bEUlT_E_NS1_11comp_targetILNS1_3genE10ELNS1_11target_archE1200ELNS1_3gpuE4ELNS1_3repE0EEENS1_30default_config_static_selectorELNS0_4arch9wavefront6targetE1EEEvSR_
		.amdhsa_group_segment_fixed_size 0
		.amdhsa_private_segment_fixed_size 0
		.amdhsa_kernarg_size 64
		.amdhsa_user_sgpr_count 6
		.amdhsa_user_sgpr_private_segment_buffer 1
		.amdhsa_user_sgpr_dispatch_ptr 0
		.amdhsa_user_sgpr_queue_ptr 0
		.amdhsa_user_sgpr_kernarg_segment_ptr 1
		.amdhsa_user_sgpr_dispatch_id 0
		.amdhsa_user_sgpr_flat_scratch_init 0
		.amdhsa_user_sgpr_kernarg_preload_length 0
		.amdhsa_user_sgpr_kernarg_preload_offset 0
		.amdhsa_user_sgpr_private_segment_size 0
		.amdhsa_uses_dynamic_stack 0
		.amdhsa_system_sgpr_private_segment_wavefront_offset 0
		.amdhsa_system_sgpr_workgroup_id_x 1
		.amdhsa_system_sgpr_workgroup_id_y 0
		.amdhsa_system_sgpr_workgroup_id_z 0
		.amdhsa_system_sgpr_workgroup_info 0
		.amdhsa_system_vgpr_workitem_id 0
		.amdhsa_next_free_vgpr 1
		.amdhsa_next_free_sgpr 0
		.amdhsa_accum_offset 4
		.amdhsa_reserve_vcc 0
		.amdhsa_reserve_flat_scratch 0
		.amdhsa_float_round_mode_32 0
		.amdhsa_float_round_mode_16_64 0
		.amdhsa_float_denorm_mode_32 3
		.amdhsa_float_denorm_mode_16_64 3
		.amdhsa_dx10_clamp 1
		.amdhsa_ieee_mode 1
		.amdhsa_fp16_overflow 0
		.amdhsa_tg_split 0
		.amdhsa_exception_fp_ieee_invalid_op 0
		.amdhsa_exception_fp_denorm_src 0
		.amdhsa_exception_fp_ieee_div_zero 0
		.amdhsa_exception_fp_ieee_overflow 0
		.amdhsa_exception_fp_ieee_underflow 0
		.amdhsa_exception_fp_ieee_inexact 0
		.amdhsa_exception_int_div_zero 0
	.end_amdhsa_kernel
	.section	.text._ZN7rocprim17ROCPRIM_400000_NS6detail17trampoline_kernelINS0_14default_configENS1_27upper_bound_config_selectorIiN6thrust23THRUST_200600_302600_NS6detail10any_assignEEEZNS1_14transform_implILb0ES3_S9_NS7_15normal_iteratorINS6_10device_ptrIiEEEENS6_16discard_iteratorINS6_11use_defaultEEEZNS1_13binary_searchIS3_S9_SE_SE_SH_NS1_21upper_bound_search_opENS7_16wrapped_functionINS0_4lessIvEEbEEEE10hipError_tPvRmT1_T2_T3_mmT4_T5_P12ihipStream_tbEUlRKiE_EESO_SS_ST_mSU_SX_bEUlT_E_NS1_11comp_targetILNS1_3genE10ELNS1_11target_archE1200ELNS1_3gpuE4ELNS1_3repE0EEENS1_30default_config_static_selectorELNS0_4arch9wavefront6targetE1EEEvSR_,"axG",@progbits,_ZN7rocprim17ROCPRIM_400000_NS6detail17trampoline_kernelINS0_14default_configENS1_27upper_bound_config_selectorIiN6thrust23THRUST_200600_302600_NS6detail10any_assignEEEZNS1_14transform_implILb0ES3_S9_NS7_15normal_iteratorINS6_10device_ptrIiEEEENS6_16discard_iteratorINS6_11use_defaultEEEZNS1_13binary_searchIS3_S9_SE_SE_SH_NS1_21upper_bound_search_opENS7_16wrapped_functionINS0_4lessIvEEbEEEE10hipError_tPvRmT1_T2_T3_mmT4_T5_P12ihipStream_tbEUlRKiE_EESO_SS_ST_mSU_SX_bEUlT_E_NS1_11comp_targetILNS1_3genE10ELNS1_11target_archE1200ELNS1_3gpuE4ELNS1_3repE0EEENS1_30default_config_static_selectorELNS0_4arch9wavefront6targetE1EEEvSR_,comdat
.Lfunc_end588:
	.size	_ZN7rocprim17ROCPRIM_400000_NS6detail17trampoline_kernelINS0_14default_configENS1_27upper_bound_config_selectorIiN6thrust23THRUST_200600_302600_NS6detail10any_assignEEEZNS1_14transform_implILb0ES3_S9_NS7_15normal_iteratorINS6_10device_ptrIiEEEENS6_16discard_iteratorINS6_11use_defaultEEEZNS1_13binary_searchIS3_S9_SE_SE_SH_NS1_21upper_bound_search_opENS7_16wrapped_functionINS0_4lessIvEEbEEEE10hipError_tPvRmT1_T2_T3_mmT4_T5_P12ihipStream_tbEUlRKiE_EESO_SS_ST_mSU_SX_bEUlT_E_NS1_11comp_targetILNS1_3genE10ELNS1_11target_archE1200ELNS1_3gpuE4ELNS1_3repE0EEENS1_30default_config_static_selectorELNS0_4arch9wavefront6targetE1EEEvSR_, .Lfunc_end588-_ZN7rocprim17ROCPRIM_400000_NS6detail17trampoline_kernelINS0_14default_configENS1_27upper_bound_config_selectorIiN6thrust23THRUST_200600_302600_NS6detail10any_assignEEEZNS1_14transform_implILb0ES3_S9_NS7_15normal_iteratorINS6_10device_ptrIiEEEENS6_16discard_iteratorINS6_11use_defaultEEEZNS1_13binary_searchIS3_S9_SE_SE_SH_NS1_21upper_bound_search_opENS7_16wrapped_functionINS0_4lessIvEEbEEEE10hipError_tPvRmT1_T2_T3_mmT4_T5_P12ihipStream_tbEUlRKiE_EESO_SS_ST_mSU_SX_bEUlT_E_NS1_11comp_targetILNS1_3genE10ELNS1_11target_archE1200ELNS1_3gpuE4ELNS1_3repE0EEENS1_30default_config_static_selectorELNS0_4arch9wavefront6targetE1EEEvSR_
                                        ; -- End function
	.section	.AMDGPU.csdata,"",@progbits
; Kernel info:
; codeLenInByte = 0
; NumSgprs: 4
; NumVgprs: 0
; NumAgprs: 0
; TotalNumVgprs: 0
; ScratchSize: 0
; MemoryBound: 0
; FloatMode: 240
; IeeeMode: 1
; LDSByteSize: 0 bytes/workgroup (compile time only)
; SGPRBlocks: 0
; VGPRBlocks: 0
; NumSGPRsForWavesPerEU: 4
; NumVGPRsForWavesPerEU: 1
; AccumOffset: 4
; Occupancy: 8
; WaveLimiterHint : 0
; COMPUTE_PGM_RSRC2:SCRATCH_EN: 0
; COMPUTE_PGM_RSRC2:USER_SGPR: 6
; COMPUTE_PGM_RSRC2:TRAP_HANDLER: 0
; COMPUTE_PGM_RSRC2:TGID_X_EN: 1
; COMPUTE_PGM_RSRC2:TGID_Y_EN: 0
; COMPUTE_PGM_RSRC2:TGID_Z_EN: 0
; COMPUTE_PGM_RSRC2:TIDIG_COMP_CNT: 0
; COMPUTE_PGM_RSRC3_GFX90A:ACCUM_OFFSET: 0
; COMPUTE_PGM_RSRC3_GFX90A:TG_SPLIT: 0
	.section	.text._ZN7rocprim17ROCPRIM_400000_NS6detail17trampoline_kernelINS0_14default_configENS1_27upper_bound_config_selectorIiN6thrust23THRUST_200600_302600_NS6detail10any_assignEEEZNS1_14transform_implILb0ES3_S9_NS7_15normal_iteratorINS6_10device_ptrIiEEEENS6_16discard_iteratorINS6_11use_defaultEEEZNS1_13binary_searchIS3_S9_SE_SE_SH_NS1_21upper_bound_search_opENS7_16wrapped_functionINS0_4lessIvEEbEEEE10hipError_tPvRmT1_T2_T3_mmT4_T5_P12ihipStream_tbEUlRKiE_EESO_SS_ST_mSU_SX_bEUlT_E_NS1_11comp_targetILNS1_3genE9ELNS1_11target_archE1100ELNS1_3gpuE3ELNS1_3repE0EEENS1_30default_config_static_selectorELNS0_4arch9wavefront6targetE1EEEvSR_,"axG",@progbits,_ZN7rocprim17ROCPRIM_400000_NS6detail17trampoline_kernelINS0_14default_configENS1_27upper_bound_config_selectorIiN6thrust23THRUST_200600_302600_NS6detail10any_assignEEEZNS1_14transform_implILb0ES3_S9_NS7_15normal_iteratorINS6_10device_ptrIiEEEENS6_16discard_iteratorINS6_11use_defaultEEEZNS1_13binary_searchIS3_S9_SE_SE_SH_NS1_21upper_bound_search_opENS7_16wrapped_functionINS0_4lessIvEEbEEEE10hipError_tPvRmT1_T2_T3_mmT4_T5_P12ihipStream_tbEUlRKiE_EESO_SS_ST_mSU_SX_bEUlT_E_NS1_11comp_targetILNS1_3genE9ELNS1_11target_archE1100ELNS1_3gpuE3ELNS1_3repE0EEENS1_30default_config_static_selectorELNS0_4arch9wavefront6targetE1EEEvSR_,comdat
	.protected	_ZN7rocprim17ROCPRIM_400000_NS6detail17trampoline_kernelINS0_14default_configENS1_27upper_bound_config_selectorIiN6thrust23THRUST_200600_302600_NS6detail10any_assignEEEZNS1_14transform_implILb0ES3_S9_NS7_15normal_iteratorINS6_10device_ptrIiEEEENS6_16discard_iteratorINS6_11use_defaultEEEZNS1_13binary_searchIS3_S9_SE_SE_SH_NS1_21upper_bound_search_opENS7_16wrapped_functionINS0_4lessIvEEbEEEE10hipError_tPvRmT1_T2_T3_mmT4_T5_P12ihipStream_tbEUlRKiE_EESO_SS_ST_mSU_SX_bEUlT_E_NS1_11comp_targetILNS1_3genE9ELNS1_11target_archE1100ELNS1_3gpuE3ELNS1_3repE0EEENS1_30default_config_static_selectorELNS0_4arch9wavefront6targetE1EEEvSR_ ; -- Begin function _ZN7rocprim17ROCPRIM_400000_NS6detail17trampoline_kernelINS0_14default_configENS1_27upper_bound_config_selectorIiN6thrust23THRUST_200600_302600_NS6detail10any_assignEEEZNS1_14transform_implILb0ES3_S9_NS7_15normal_iteratorINS6_10device_ptrIiEEEENS6_16discard_iteratorINS6_11use_defaultEEEZNS1_13binary_searchIS3_S9_SE_SE_SH_NS1_21upper_bound_search_opENS7_16wrapped_functionINS0_4lessIvEEbEEEE10hipError_tPvRmT1_T2_T3_mmT4_T5_P12ihipStream_tbEUlRKiE_EESO_SS_ST_mSU_SX_bEUlT_E_NS1_11comp_targetILNS1_3genE9ELNS1_11target_archE1100ELNS1_3gpuE3ELNS1_3repE0EEENS1_30default_config_static_selectorELNS0_4arch9wavefront6targetE1EEEvSR_
	.globl	_ZN7rocprim17ROCPRIM_400000_NS6detail17trampoline_kernelINS0_14default_configENS1_27upper_bound_config_selectorIiN6thrust23THRUST_200600_302600_NS6detail10any_assignEEEZNS1_14transform_implILb0ES3_S9_NS7_15normal_iteratorINS6_10device_ptrIiEEEENS6_16discard_iteratorINS6_11use_defaultEEEZNS1_13binary_searchIS3_S9_SE_SE_SH_NS1_21upper_bound_search_opENS7_16wrapped_functionINS0_4lessIvEEbEEEE10hipError_tPvRmT1_T2_T3_mmT4_T5_P12ihipStream_tbEUlRKiE_EESO_SS_ST_mSU_SX_bEUlT_E_NS1_11comp_targetILNS1_3genE9ELNS1_11target_archE1100ELNS1_3gpuE3ELNS1_3repE0EEENS1_30default_config_static_selectorELNS0_4arch9wavefront6targetE1EEEvSR_
	.p2align	8
	.type	_ZN7rocprim17ROCPRIM_400000_NS6detail17trampoline_kernelINS0_14default_configENS1_27upper_bound_config_selectorIiN6thrust23THRUST_200600_302600_NS6detail10any_assignEEEZNS1_14transform_implILb0ES3_S9_NS7_15normal_iteratorINS6_10device_ptrIiEEEENS6_16discard_iteratorINS6_11use_defaultEEEZNS1_13binary_searchIS3_S9_SE_SE_SH_NS1_21upper_bound_search_opENS7_16wrapped_functionINS0_4lessIvEEbEEEE10hipError_tPvRmT1_T2_T3_mmT4_T5_P12ihipStream_tbEUlRKiE_EESO_SS_ST_mSU_SX_bEUlT_E_NS1_11comp_targetILNS1_3genE9ELNS1_11target_archE1100ELNS1_3gpuE3ELNS1_3repE0EEENS1_30default_config_static_selectorELNS0_4arch9wavefront6targetE1EEEvSR_,@function
_ZN7rocprim17ROCPRIM_400000_NS6detail17trampoline_kernelINS0_14default_configENS1_27upper_bound_config_selectorIiN6thrust23THRUST_200600_302600_NS6detail10any_assignEEEZNS1_14transform_implILb0ES3_S9_NS7_15normal_iteratorINS6_10device_ptrIiEEEENS6_16discard_iteratorINS6_11use_defaultEEEZNS1_13binary_searchIS3_S9_SE_SE_SH_NS1_21upper_bound_search_opENS7_16wrapped_functionINS0_4lessIvEEbEEEE10hipError_tPvRmT1_T2_T3_mmT4_T5_P12ihipStream_tbEUlRKiE_EESO_SS_ST_mSU_SX_bEUlT_E_NS1_11comp_targetILNS1_3genE9ELNS1_11target_archE1100ELNS1_3gpuE3ELNS1_3repE0EEENS1_30default_config_static_selectorELNS0_4arch9wavefront6targetE1EEEvSR_: ; @_ZN7rocprim17ROCPRIM_400000_NS6detail17trampoline_kernelINS0_14default_configENS1_27upper_bound_config_selectorIiN6thrust23THRUST_200600_302600_NS6detail10any_assignEEEZNS1_14transform_implILb0ES3_S9_NS7_15normal_iteratorINS6_10device_ptrIiEEEENS6_16discard_iteratorINS6_11use_defaultEEEZNS1_13binary_searchIS3_S9_SE_SE_SH_NS1_21upper_bound_search_opENS7_16wrapped_functionINS0_4lessIvEEbEEEE10hipError_tPvRmT1_T2_T3_mmT4_T5_P12ihipStream_tbEUlRKiE_EESO_SS_ST_mSU_SX_bEUlT_E_NS1_11comp_targetILNS1_3genE9ELNS1_11target_archE1100ELNS1_3gpuE3ELNS1_3repE0EEENS1_30default_config_static_selectorELNS0_4arch9wavefront6targetE1EEEvSR_
; %bb.0:
	.section	.rodata,"a",@progbits
	.p2align	6, 0x0
	.amdhsa_kernel _ZN7rocprim17ROCPRIM_400000_NS6detail17trampoline_kernelINS0_14default_configENS1_27upper_bound_config_selectorIiN6thrust23THRUST_200600_302600_NS6detail10any_assignEEEZNS1_14transform_implILb0ES3_S9_NS7_15normal_iteratorINS6_10device_ptrIiEEEENS6_16discard_iteratorINS6_11use_defaultEEEZNS1_13binary_searchIS3_S9_SE_SE_SH_NS1_21upper_bound_search_opENS7_16wrapped_functionINS0_4lessIvEEbEEEE10hipError_tPvRmT1_T2_T3_mmT4_T5_P12ihipStream_tbEUlRKiE_EESO_SS_ST_mSU_SX_bEUlT_E_NS1_11comp_targetILNS1_3genE9ELNS1_11target_archE1100ELNS1_3gpuE3ELNS1_3repE0EEENS1_30default_config_static_selectorELNS0_4arch9wavefront6targetE1EEEvSR_
		.amdhsa_group_segment_fixed_size 0
		.amdhsa_private_segment_fixed_size 0
		.amdhsa_kernarg_size 64
		.amdhsa_user_sgpr_count 6
		.amdhsa_user_sgpr_private_segment_buffer 1
		.amdhsa_user_sgpr_dispatch_ptr 0
		.amdhsa_user_sgpr_queue_ptr 0
		.amdhsa_user_sgpr_kernarg_segment_ptr 1
		.amdhsa_user_sgpr_dispatch_id 0
		.amdhsa_user_sgpr_flat_scratch_init 0
		.amdhsa_user_sgpr_kernarg_preload_length 0
		.amdhsa_user_sgpr_kernarg_preload_offset 0
		.amdhsa_user_sgpr_private_segment_size 0
		.amdhsa_uses_dynamic_stack 0
		.amdhsa_system_sgpr_private_segment_wavefront_offset 0
		.amdhsa_system_sgpr_workgroup_id_x 1
		.amdhsa_system_sgpr_workgroup_id_y 0
		.amdhsa_system_sgpr_workgroup_id_z 0
		.amdhsa_system_sgpr_workgroup_info 0
		.amdhsa_system_vgpr_workitem_id 0
		.amdhsa_next_free_vgpr 1
		.amdhsa_next_free_sgpr 0
		.amdhsa_accum_offset 4
		.amdhsa_reserve_vcc 0
		.amdhsa_reserve_flat_scratch 0
		.amdhsa_float_round_mode_32 0
		.amdhsa_float_round_mode_16_64 0
		.amdhsa_float_denorm_mode_32 3
		.amdhsa_float_denorm_mode_16_64 3
		.amdhsa_dx10_clamp 1
		.amdhsa_ieee_mode 1
		.amdhsa_fp16_overflow 0
		.amdhsa_tg_split 0
		.amdhsa_exception_fp_ieee_invalid_op 0
		.amdhsa_exception_fp_denorm_src 0
		.amdhsa_exception_fp_ieee_div_zero 0
		.amdhsa_exception_fp_ieee_overflow 0
		.amdhsa_exception_fp_ieee_underflow 0
		.amdhsa_exception_fp_ieee_inexact 0
		.amdhsa_exception_int_div_zero 0
	.end_amdhsa_kernel
	.section	.text._ZN7rocprim17ROCPRIM_400000_NS6detail17trampoline_kernelINS0_14default_configENS1_27upper_bound_config_selectorIiN6thrust23THRUST_200600_302600_NS6detail10any_assignEEEZNS1_14transform_implILb0ES3_S9_NS7_15normal_iteratorINS6_10device_ptrIiEEEENS6_16discard_iteratorINS6_11use_defaultEEEZNS1_13binary_searchIS3_S9_SE_SE_SH_NS1_21upper_bound_search_opENS7_16wrapped_functionINS0_4lessIvEEbEEEE10hipError_tPvRmT1_T2_T3_mmT4_T5_P12ihipStream_tbEUlRKiE_EESO_SS_ST_mSU_SX_bEUlT_E_NS1_11comp_targetILNS1_3genE9ELNS1_11target_archE1100ELNS1_3gpuE3ELNS1_3repE0EEENS1_30default_config_static_selectorELNS0_4arch9wavefront6targetE1EEEvSR_,"axG",@progbits,_ZN7rocprim17ROCPRIM_400000_NS6detail17trampoline_kernelINS0_14default_configENS1_27upper_bound_config_selectorIiN6thrust23THRUST_200600_302600_NS6detail10any_assignEEEZNS1_14transform_implILb0ES3_S9_NS7_15normal_iteratorINS6_10device_ptrIiEEEENS6_16discard_iteratorINS6_11use_defaultEEEZNS1_13binary_searchIS3_S9_SE_SE_SH_NS1_21upper_bound_search_opENS7_16wrapped_functionINS0_4lessIvEEbEEEE10hipError_tPvRmT1_T2_T3_mmT4_T5_P12ihipStream_tbEUlRKiE_EESO_SS_ST_mSU_SX_bEUlT_E_NS1_11comp_targetILNS1_3genE9ELNS1_11target_archE1100ELNS1_3gpuE3ELNS1_3repE0EEENS1_30default_config_static_selectorELNS0_4arch9wavefront6targetE1EEEvSR_,comdat
.Lfunc_end589:
	.size	_ZN7rocprim17ROCPRIM_400000_NS6detail17trampoline_kernelINS0_14default_configENS1_27upper_bound_config_selectorIiN6thrust23THRUST_200600_302600_NS6detail10any_assignEEEZNS1_14transform_implILb0ES3_S9_NS7_15normal_iteratorINS6_10device_ptrIiEEEENS6_16discard_iteratorINS6_11use_defaultEEEZNS1_13binary_searchIS3_S9_SE_SE_SH_NS1_21upper_bound_search_opENS7_16wrapped_functionINS0_4lessIvEEbEEEE10hipError_tPvRmT1_T2_T3_mmT4_T5_P12ihipStream_tbEUlRKiE_EESO_SS_ST_mSU_SX_bEUlT_E_NS1_11comp_targetILNS1_3genE9ELNS1_11target_archE1100ELNS1_3gpuE3ELNS1_3repE0EEENS1_30default_config_static_selectorELNS0_4arch9wavefront6targetE1EEEvSR_, .Lfunc_end589-_ZN7rocprim17ROCPRIM_400000_NS6detail17trampoline_kernelINS0_14default_configENS1_27upper_bound_config_selectorIiN6thrust23THRUST_200600_302600_NS6detail10any_assignEEEZNS1_14transform_implILb0ES3_S9_NS7_15normal_iteratorINS6_10device_ptrIiEEEENS6_16discard_iteratorINS6_11use_defaultEEEZNS1_13binary_searchIS3_S9_SE_SE_SH_NS1_21upper_bound_search_opENS7_16wrapped_functionINS0_4lessIvEEbEEEE10hipError_tPvRmT1_T2_T3_mmT4_T5_P12ihipStream_tbEUlRKiE_EESO_SS_ST_mSU_SX_bEUlT_E_NS1_11comp_targetILNS1_3genE9ELNS1_11target_archE1100ELNS1_3gpuE3ELNS1_3repE0EEENS1_30default_config_static_selectorELNS0_4arch9wavefront6targetE1EEEvSR_
                                        ; -- End function
	.section	.AMDGPU.csdata,"",@progbits
; Kernel info:
; codeLenInByte = 0
; NumSgprs: 4
; NumVgprs: 0
; NumAgprs: 0
; TotalNumVgprs: 0
; ScratchSize: 0
; MemoryBound: 0
; FloatMode: 240
; IeeeMode: 1
; LDSByteSize: 0 bytes/workgroup (compile time only)
; SGPRBlocks: 0
; VGPRBlocks: 0
; NumSGPRsForWavesPerEU: 4
; NumVGPRsForWavesPerEU: 1
; AccumOffset: 4
; Occupancy: 8
; WaveLimiterHint : 0
; COMPUTE_PGM_RSRC2:SCRATCH_EN: 0
; COMPUTE_PGM_RSRC2:USER_SGPR: 6
; COMPUTE_PGM_RSRC2:TRAP_HANDLER: 0
; COMPUTE_PGM_RSRC2:TGID_X_EN: 1
; COMPUTE_PGM_RSRC2:TGID_Y_EN: 0
; COMPUTE_PGM_RSRC2:TGID_Z_EN: 0
; COMPUTE_PGM_RSRC2:TIDIG_COMP_CNT: 0
; COMPUTE_PGM_RSRC3_GFX90A:ACCUM_OFFSET: 0
; COMPUTE_PGM_RSRC3_GFX90A:TG_SPLIT: 0
	.section	.text._ZN7rocprim17ROCPRIM_400000_NS6detail17trampoline_kernelINS0_14default_configENS1_27upper_bound_config_selectorIiN6thrust23THRUST_200600_302600_NS6detail10any_assignEEEZNS1_14transform_implILb0ES3_S9_NS7_15normal_iteratorINS6_10device_ptrIiEEEENS6_16discard_iteratorINS6_11use_defaultEEEZNS1_13binary_searchIS3_S9_SE_SE_SH_NS1_21upper_bound_search_opENS7_16wrapped_functionINS0_4lessIvEEbEEEE10hipError_tPvRmT1_T2_T3_mmT4_T5_P12ihipStream_tbEUlRKiE_EESO_SS_ST_mSU_SX_bEUlT_E_NS1_11comp_targetILNS1_3genE8ELNS1_11target_archE1030ELNS1_3gpuE2ELNS1_3repE0EEENS1_30default_config_static_selectorELNS0_4arch9wavefront6targetE1EEEvSR_,"axG",@progbits,_ZN7rocprim17ROCPRIM_400000_NS6detail17trampoline_kernelINS0_14default_configENS1_27upper_bound_config_selectorIiN6thrust23THRUST_200600_302600_NS6detail10any_assignEEEZNS1_14transform_implILb0ES3_S9_NS7_15normal_iteratorINS6_10device_ptrIiEEEENS6_16discard_iteratorINS6_11use_defaultEEEZNS1_13binary_searchIS3_S9_SE_SE_SH_NS1_21upper_bound_search_opENS7_16wrapped_functionINS0_4lessIvEEbEEEE10hipError_tPvRmT1_T2_T3_mmT4_T5_P12ihipStream_tbEUlRKiE_EESO_SS_ST_mSU_SX_bEUlT_E_NS1_11comp_targetILNS1_3genE8ELNS1_11target_archE1030ELNS1_3gpuE2ELNS1_3repE0EEENS1_30default_config_static_selectorELNS0_4arch9wavefront6targetE1EEEvSR_,comdat
	.protected	_ZN7rocprim17ROCPRIM_400000_NS6detail17trampoline_kernelINS0_14default_configENS1_27upper_bound_config_selectorIiN6thrust23THRUST_200600_302600_NS6detail10any_assignEEEZNS1_14transform_implILb0ES3_S9_NS7_15normal_iteratorINS6_10device_ptrIiEEEENS6_16discard_iteratorINS6_11use_defaultEEEZNS1_13binary_searchIS3_S9_SE_SE_SH_NS1_21upper_bound_search_opENS7_16wrapped_functionINS0_4lessIvEEbEEEE10hipError_tPvRmT1_T2_T3_mmT4_T5_P12ihipStream_tbEUlRKiE_EESO_SS_ST_mSU_SX_bEUlT_E_NS1_11comp_targetILNS1_3genE8ELNS1_11target_archE1030ELNS1_3gpuE2ELNS1_3repE0EEENS1_30default_config_static_selectorELNS0_4arch9wavefront6targetE1EEEvSR_ ; -- Begin function _ZN7rocprim17ROCPRIM_400000_NS6detail17trampoline_kernelINS0_14default_configENS1_27upper_bound_config_selectorIiN6thrust23THRUST_200600_302600_NS6detail10any_assignEEEZNS1_14transform_implILb0ES3_S9_NS7_15normal_iteratorINS6_10device_ptrIiEEEENS6_16discard_iteratorINS6_11use_defaultEEEZNS1_13binary_searchIS3_S9_SE_SE_SH_NS1_21upper_bound_search_opENS7_16wrapped_functionINS0_4lessIvEEbEEEE10hipError_tPvRmT1_T2_T3_mmT4_T5_P12ihipStream_tbEUlRKiE_EESO_SS_ST_mSU_SX_bEUlT_E_NS1_11comp_targetILNS1_3genE8ELNS1_11target_archE1030ELNS1_3gpuE2ELNS1_3repE0EEENS1_30default_config_static_selectorELNS0_4arch9wavefront6targetE1EEEvSR_
	.globl	_ZN7rocprim17ROCPRIM_400000_NS6detail17trampoline_kernelINS0_14default_configENS1_27upper_bound_config_selectorIiN6thrust23THRUST_200600_302600_NS6detail10any_assignEEEZNS1_14transform_implILb0ES3_S9_NS7_15normal_iteratorINS6_10device_ptrIiEEEENS6_16discard_iteratorINS6_11use_defaultEEEZNS1_13binary_searchIS3_S9_SE_SE_SH_NS1_21upper_bound_search_opENS7_16wrapped_functionINS0_4lessIvEEbEEEE10hipError_tPvRmT1_T2_T3_mmT4_T5_P12ihipStream_tbEUlRKiE_EESO_SS_ST_mSU_SX_bEUlT_E_NS1_11comp_targetILNS1_3genE8ELNS1_11target_archE1030ELNS1_3gpuE2ELNS1_3repE0EEENS1_30default_config_static_selectorELNS0_4arch9wavefront6targetE1EEEvSR_
	.p2align	8
	.type	_ZN7rocprim17ROCPRIM_400000_NS6detail17trampoline_kernelINS0_14default_configENS1_27upper_bound_config_selectorIiN6thrust23THRUST_200600_302600_NS6detail10any_assignEEEZNS1_14transform_implILb0ES3_S9_NS7_15normal_iteratorINS6_10device_ptrIiEEEENS6_16discard_iteratorINS6_11use_defaultEEEZNS1_13binary_searchIS3_S9_SE_SE_SH_NS1_21upper_bound_search_opENS7_16wrapped_functionINS0_4lessIvEEbEEEE10hipError_tPvRmT1_T2_T3_mmT4_T5_P12ihipStream_tbEUlRKiE_EESO_SS_ST_mSU_SX_bEUlT_E_NS1_11comp_targetILNS1_3genE8ELNS1_11target_archE1030ELNS1_3gpuE2ELNS1_3repE0EEENS1_30default_config_static_selectorELNS0_4arch9wavefront6targetE1EEEvSR_,@function
_ZN7rocprim17ROCPRIM_400000_NS6detail17trampoline_kernelINS0_14default_configENS1_27upper_bound_config_selectorIiN6thrust23THRUST_200600_302600_NS6detail10any_assignEEEZNS1_14transform_implILb0ES3_S9_NS7_15normal_iteratorINS6_10device_ptrIiEEEENS6_16discard_iteratorINS6_11use_defaultEEEZNS1_13binary_searchIS3_S9_SE_SE_SH_NS1_21upper_bound_search_opENS7_16wrapped_functionINS0_4lessIvEEbEEEE10hipError_tPvRmT1_T2_T3_mmT4_T5_P12ihipStream_tbEUlRKiE_EESO_SS_ST_mSU_SX_bEUlT_E_NS1_11comp_targetILNS1_3genE8ELNS1_11target_archE1030ELNS1_3gpuE2ELNS1_3repE0EEENS1_30default_config_static_selectorELNS0_4arch9wavefront6targetE1EEEvSR_: ; @_ZN7rocprim17ROCPRIM_400000_NS6detail17trampoline_kernelINS0_14default_configENS1_27upper_bound_config_selectorIiN6thrust23THRUST_200600_302600_NS6detail10any_assignEEEZNS1_14transform_implILb0ES3_S9_NS7_15normal_iteratorINS6_10device_ptrIiEEEENS6_16discard_iteratorINS6_11use_defaultEEEZNS1_13binary_searchIS3_S9_SE_SE_SH_NS1_21upper_bound_search_opENS7_16wrapped_functionINS0_4lessIvEEbEEEE10hipError_tPvRmT1_T2_T3_mmT4_T5_P12ihipStream_tbEUlRKiE_EESO_SS_ST_mSU_SX_bEUlT_E_NS1_11comp_targetILNS1_3genE8ELNS1_11target_archE1030ELNS1_3gpuE2ELNS1_3repE0EEENS1_30default_config_static_selectorELNS0_4arch9wavefront6targetE1EEEvSR_
; %bb.0:
	.section	.rodata,"a",@progbits
	.p2align	6, 0x0
	.amdhsa_kernel _ZN7rocprim17ROCPRIM_400000_NS6detail17trampoline_kernelINS0_14default_configENS1_27upper_bound_config_selectorIiN6thrust23THRUST_200600_302600_NS6detail10any_assignEEEZNS1_14transform_implILb0ES3_S9_NS7_15normal_iteratorINS6_10device_ptrIiEEEENS6_16discard_iteratorINS6_11use_defaultEEEZNS1_13binary_searchIS3_S9_SE_SE_SH_NS1_21upper_bound_search_opENS7_16wrapped_functionINS0_4lessIvEEbEEEE10hipError_tPvRmT1_T2_T3_mmT4_T5_P12ihipStream_tbEUlRKiE_EESO_SS_ST_mSU_SX_bEUlT_E_NS1_11comp_targetILNS1_3genE8ELNS1_11target_archE1030ELNS1_3gpuE2ELNS1_3repE0EEENS1_30default_config_static_selectorELNS0_4arch9wavefront6targetE1EEEvSR_
		.amdhsa_group_segment_fixed_size 0
		.amdhsa_private_segment_fixed_size 0
		.amdhsa_kernarg_size 64
		.amdhsa_user_sgpr_count 6
		.amdhsa_user_sgpr_private_segment_buffer 1
		.amdhsa_user_sgpr_dispatch_ptr 0
		.amdhsa_user_sgpr_queue_ptr 0
		.amdhsa_user_sgpr_kernarg_segment_ptr 1
		.amdhsa_user_sgpr_dispatch_id 0
		.amdhsa_user_sgpr_flat_scratch_init 0
		.amdhsa_user_sgpr_kernarg_preload_length 0
		.amdhsa_user_sgpr_kernarg_preload_offset 0
		.amdhsa_user_sgpr_private_segment_size 0
		.amdhsa_uses_dynamic_stack 0
		.amdhsa_system_sgpr_private_segment_wavefront_offset 0
		.amdhsa_system_sgpr_workgroup_id_x 1
		.amdhsa_system_sgpr_workgroup_id_y 0
		.amdhsa_system_sgpr_workgroup_id_z 0
		.amdhsa_system_sgpr_workgroup_info 0
		.amdhsa_system_vgpr_workitem_id 0
		.amdhsa_next_free_vgpr 1
		.amdhsa_next_free_sgpr 0
		.amdhsa_accum_offset 4
		.amdhsa_reserve_vcc 0
		.amdhsa_reserve_flat_scratch 0
		.amdhsa_float_round_mode_32 0
		.amdhsa_float_round_mode_16_64 0
		.amdhsa_float_denorm_mode_32 3
		.amdhsa_float_denorm_mode_16_64 3
		.amdhsa_dx10_clamp 1
		.amdhsa_ieee_mode 1
		.amdhsa_fp16_overflow 0
		.amdhsa_tg_split 0
		.amdhsa_exception_fp_ieee_invalid_op 0
		.amdhsa_exception_fp_denorm_src 0
		.amdhsa_exception_fp_ieee_div_zero 0
		.amdhsa_exception_fp_ieee_overflow 0
		.amdhsa_exception_fp_ieee_underflow 0
		.amdhsa_exception_fp_ieee_inexact 0
		.amdhsa_exception_int_div_zero 0
	.end_amdhsa_kernel
	.section	.text._ZN7rocprim17ROCPRIM_400000_NS6detail17trampoline_kernelINS0_14default_configENS1_27upper_bound_config_selectorIiN6thrust23THRUST_200600_302600_NS6detail10any_assignEEEZNS1_14transform_implILb0ES3_S9_NS7_15normal_iteratorINS6_10device_ptrIiEEEENS6_16discard_iteratorINS6_11use_defaultEEEZNS1_13binary_searchIS3_S9_SE_SE_SH_NS1_21upper_bound_search_opENS7_16wrapped_functionINS0_4lessIvEEbEEEE10hipError_tPvRmT1_T2_T3_mmT4_T5_P12ihipStream_tbEUlRKiE_EESO_SS_ST_mSU_SX_bEUlT_E_NS1_11comp_targetILNS1_3genE8ELNS1_11target_archE1030ELNS1_3gpuE2ELNS1_3repE0EEENS1_30default_config_static_selectorELNS0_4arch9wavefront6targetE1EEEvSR_,"axG",@progbits,_ZN7rocprim17ROCPRIM_400000_NS6detail17trampoline_kernelINS0_14default_configENS1_27upper_bound_config_selectorIiN6thrust23THRUST_200600_302600_NS6detail10any_assignEEEZNS1_14transform_implILb0ES3_S9_NS7_15normal_iteratorINS6_10device_ptrIiEEEENS6_16discard_iteratorINS6_11use_defaultEEEZNS1_13binary_searchIS3_S9_SE_SE_SH_NS1_21upper_bound_search_opENS7_16wrapped_functionINS0_4lessIvEEbEEEE10hipError_tPvRmT1_T2_T3_mmT4_T5_P12ihipStream_tbEUlRKiE_EESO_SS_ST_mSU_SX_bEUlT_E_NS1_11comp_targetILNS1_3genE8ELNS1_11target_archE1030ELNS1_3gpuE2ELNS1_3repE0EEENS1_30default_config_static_selectorELNS0_4arch9wavefront6targetE1EEEvSR_,comdat
.Lfunc_end590:
	.size	_ZN7rocprim17ROCPRIM_400000_NS6detail17trampoline_kernelINS0_14default_configENS1_27upper_bound_config_selectorIiN6thrust23THRUST_200600_302600_NS6detail10any_assignEEEZNS1_14transform_implILb0ES3_S9_NS7_15normal_iteratorINS6_10device_ptrIiEEEENS6_16discard_iteratorINS6_11use_defaultEEEZNS1_13binary_searchIS3_S9_SE_SE_SH_NS1_21upper_bound_search_opENS7_16wrapped_functionINS0_4lessIvEEbEEEE10hipError_tPvRmT1_T2_T3_mmT4_T5_P12ihipStream_tbEUlRKiE_EESO_SS_ST_mSU_SX_bEUlT_E_NS1_11comp_targetILNS1_3genE8ELNS1_11target_archE1030ELNS1_3gpuE2ELNS1_3repE0EEENS1_30default_config_static_selectorELNS0_4arch9wavefront6targetE1EEEvSR_, .Lfunc_end590-_ZN7rocprim17ROCPRIM_400000_NS6detail17trampoline_kernelINS0_14default_configENS1_27upper_bound_config_selectorIiN6thrust23THRUST_200600_302600_NS6detail10any_assignEEEZNS1_14transform_implILb0ES3_S9_NS7_15normal_iteratorINS6_10device_ptrIiEEEENS6_16discard_iteratorINS6_11use_defaultEEEZNS1_13binary_searchIS3_S9_SE_SE_SH_NS1_21upper_bound_search_opENS7_16wrapped_functionINS0_4lessIvEEbEEEE10hipError_tPvRmT1_T2_T3_mmT4_T5_P12ihipStream_tbEUlRKiE_EESO_SS_ST_mSU_SX_bEUlT_E_NS1_11comp_targetILNS1_3genE8ELNS1_11target_archE1030ELNS1_3gpuE2ELNS1_3repE0EEENS1_30default_config_static_selectorELNS0_4arch9wavefront6targetE1EEEvSR_
                                        ; -- End function
	.section	.AMDGPU.csdata,"",@progbits
; Kernel info:
; codeLenInByte = 0
; NumSgprs: 4
; NumVgprs: 0
; NumAgprs: 0
; TotalNumVgprs: 0
; ScratchSize: 0
; MemoryBound: 0
; FloatMode: 240
; IeeeMode: 1
; LDSByteSize: 0 bytes/workgroup (compile time only)
; SGPRBlocks: 0
; VGPRBlocks: 0
; NumSGPRsForWavesPerEU: 4
; NumVGPRsForWavesPerEU: 1
; AccumOffset: 4
; Occupancy: 8
; WaveLimiterHint : 0
; COMPUTE_PGM_RSRC2:SCRATCH_EN: 0
; COMPUTE_PGM_RSRC2:USER_SGPR: 6
; COMPUTE_PGM_RSRC2:TRAP_HANDLER: 0
; COMPUTE_PGM_RSRC2:TGID_X_EN: 1
; COMPUTE_PGM_RSRC2:TGID_Y_EN: 0
; COMPUTE_PGM_RSRC2:TGID_Z_EN: 0
; COMPUTE_PGM_RSRC2:TIDIG_COMP_CNT: 0
; COMPUTE_PGM_RSRC3_GFX90A:ACCUM_OFFSET: 0
; COMPUTE_PGM_RSRC3_GFX90A:TG_SPLIT: 0
	.section	.text._ZN7rocprim17ROCPRIM_400000_NS6detail17trampoline_kernelINS0_14default_configENS1_27upper_bound_config_selectorIsN6thrust23THRUST_200600_302600_NS6detail10any_assignEEEZNS1_14transform_implILb0ES3_S9_NS7_15normal_iteratorINS6_10device_ptrIsEEEENS6_16discard_iteratorINS6_11use_defaultEEEZNS1_13binary_searchIS3_S9_SE_SE_SH_NS1_21upper_bound_search_opENS7_16wrapped_functionINS0_4lessIvEEbEEEE10hipError_tPvRmT1_T2_T3_mmT4_T5_P12ihipStream_tbEUlRKsE_EESO_SS_ST_mSU_SX_bEUlT_E_NS1_11comp_targetILNS1_3genE0ELNS1_11target_archE4294967295ELNS1_3gpuE0ELNS1_3repE0EEENS1_30default_config_static_selectorELNS0_4arch9wavefront6targetE1EEEvSR_,"axG",@progbits,_ZN7rocprim17ROCPRIM_400000_NS6detail17trampoline_kernelINS0_14default_configENS1_27upper_bound_config_selectorIsN6thrust23THRUST_200600_302600_NS6detail10any_assignEEEZNS1_14transform_implILb0ES3_S9_NS7_15normal_iteratorINS6_10device_ptrIsEEEENS6_16discard_iteratorINS6_11use_defaultEEEZNS1_13binary_searchIS3_S9_SE_SE_SH_NS1_21upper_bound_search_opENS7_16wrapped_functionINS0_4lessIvEEbEEEE10hipError_tPvRmT1_T2_T3_mmT4_T5_P12ihipStream_tbEUlRKsE_EESO_SS_ST_mSU_SX_bEUlT_E_NS1_11comp_targetILNS1_3genE0ELNS1_11target_archE4294967295ELNS1_3gpuE0ELNS1_3repE0EEENS1_30default_config_static_selectorELNS0_4arch9wavefront6targetE1EEEvSR_,comdat
	.protected	_ZN7rocprim17ROCPRIM_400000_NS6detail17trampoline_kernelINS0_14default_configENS1_27upper_bound_config_selectorIsN6thrust23THRUST_200600_302600_NS6detail10any_assignEEEZNS1_14transform_implILb0ES3_S9_NS7_15normal_iteratorINS6_10device_ptrIsEEEENS6_16discard_iteratorINS6_11use_defaultEEEZNS1_13binary_searchIS3_S9_SE_SE_SH_NS1_21upper_bound_search_opENS7_16wrapped_functionINS0_4lessIvEEbEEEE10hipError_tPvRmT1_T2_T3_mmT4_T5_P12ihipStream_tbEUlRKsE_EESO_SS_ST_mSU_SX_bEUlT_E_NS1_11comp_targetILNS1_3genE0ELNS1_11target_archE4294967295ELNS1_3gpuE0ELNS1_3repE0EEENS1_30default_config_static_selectorELNS0_4arch9wavefront6targetE1EEEvSR_ ; -- Begin function _ZN7rocprim17ROCPRIM_400000_NS6detail17trampoline_kernelINS0_14default_configENS1_27upper_bound_config_selectorIsN6thrust23THRUST_200600_302600_NS6detail10any_assignEEEZNS1_14transform_implILb0ES3_S9_NS7_15normal_iteratorINS6_10device_ptrIsEEEENS6_16discard_iteratorINS6_11use_defaultEEEZNS1_13binary_searchIS3_S9_SE_SE_SH_NS1_21upper_bound_search_opENS7_16wrapped_functionINS0_4lessIvEEbEEEE10hipError_tPvRmT1_T2_T3_mmT4_T5_P12ihipStream_tbEUlRKsE_EESO_SS_ST_mSU_SX_bEUlT_E_NS1_11comp_targetILNS1_3genE0ELNS1_11target_archE4294967295ELNS1_3gpuE0ELNS1_3repE0EEENS1_30default_config_static_selectorELNS0_4arch9wavefront6targetE1EEEvSR_
	.globl	_ZN7rocprim17ROCPRIM_400000_NS6detail17trampoline_kernelINS0_14default_configENS1_27upper_bound_config_selectorIsN6thrust23THRUST_200600_302600_NS6detail10any_assignEEEZNS1_14transform_implILb0ES3_S9_NS7_15normal_iteratorINS6_10device_ptrIsEEEENS6_16discard_iteratorINS6_11use_defaultEEEZNS1_13binary_searchIS3_S9_SE_SE_SH_NS1_21upper_bound_search_opENS7_16wrapped_functionINS0_4lessIvEEbEEEE10hipError_tPvRmT1_T2_T3_mmT4_T5_P12ihipStream_tbEUlRKsE_EESO_SS_ST_mSU_SX_bEUlT_E_NS1_11comp_targetILNS1_3genE0ELNS1_11target_archE4294967295ELNS1_3gpuE0ELNS1_3repE0EEENS1_30default_config_static_selectorELNS0_4arch9wavefront6targetE1EEEvSR_
	.p2align	8
	.type	_ZN7rocprim17ROCPRIM_400000_NS6detail17trampoline_kernelINS0_14default_configENS1_27upper_bound_config_selectorIsN6thrust23THRUST_200600_302600_NS6detail10any_assignEEEZNS1_14transform_implILb0ES3_S9_NS7_15normal_iteratorINS6_10device_ptrIsEEEENS6_16discard_iteratorINS6_11use_defaultEEEZNS1_13binary_searchIS3_S9_SE_SE_SH_NS1_21upper_bound_search_opENS7_16wrapped_functionINS0_4lessIvEEbEEEE10hipError_tPvRmT1_T2_T3_mmT4_T5_P12ihipStream_tbEUlRKsE_EESO_SS_ST_mSU_SX_bEUlT_E_NS1_11comp_targetILNS1_3genE0ELNS1_11target_archE4294967295ELNS1_3gpuE0ELNS1_3repE0EEENS1_30default_config_static_selectorELNS0_4arch9wavefront6targetE1EEEvSR_,@function
_ZN7rocprim17ROCPRIM_400000_NS6detail17trampoline_kernelINS0_14default_configENS1_27upper_bound_config_selectorIsN6thrust23THRUST_200600_302600_NS6detail10any_assignEEEZNS1_14transform_implILb0ES3_S9_NS7_15normal_iteratorINS6_10device_ptrIsEEEENS6_16discard_iteratorINS6_11use_defaultEEEZNS1_13binary_searchIS3_S9_SE_SE_SH_NS1_21upper_bound_search_opENS7_16wrapped_functionINS0_4lessIvEEbEEEE10hipError_tPvRmT1_T2_T3_mmT4_T5_P12ihipStream_tbEUlRKsE_EESO_SS_ST_mSU_SX_bEUlT_E_NS1_11comp_targetILNS1_3genE0ELNS1_11target_archE4294967295ELNS1_3gpuE0ELNS1_3repE0EEENS1_30default_config_static_selectorELNS0_4arch9wavefront6targetE1EEEvSR_: ; @_ZN7rocprim17ROCPRIM_400000_NS6detail17trampoline_kernelINS0_14default_configENS1_27upper_bound_config_selectorIsN6thrust23THRUST_200600_302600_NS6detail10any_assignEEEZNS1_14transform_implILb0ES3_S9_NS7_15normal_iteratorINS6_10device_ptrIsEEEENS6_16discard_iteratorINS6_11use_defaultEEEZNS1_13binary_searchIS3_S9_SE_SE_SH_NS1_21upper_bound_search_opENS7_16wrapped_functionINS0_4lessIvEEbEEEE10hipError_tPvRmT1_T2_T3_mmT4_T5_P12ihipStream_tbEUlRKsE_EESO_SS_ST_mSU_SX_bEUlT_E_NS1_11comp_targetILNS1_3genE0ELNS1_11target_archE4294967295ELNS1_3gpuE0ELNS1_3repE0EEENS1_30default_config_static_selectorELNS0_4arch9wavefront6targetE1EEEvSR_
; %bb.0:
	.section	.rodata,"a",@progbits
	.p2align	6, 0x0
	.amdhsa_kernel _ZN7rocprim17ROCPRIM_400000_NS6detail17trampoline_kernelINS0_14default_configENS1_27upper_bound_config_selectorIsN6thrust23THRUST_200600_302600_NS6detail10any_assignEEEZNS1_14transform_implILb0ES3_S9_NS7_15normal_iteratorINS6_10device_ptrIsEEEENS6_16discard_iteratorINS6_11use_defaultEEEZNS1_13binary_searchIS3_S9_SE_SE_SH_NS1_21upper_bound_search_opENS7_16wrapped_functionINS0_4lessIvEEbEEEE10hipError_tPvRmT1_T2_T3_mmT4_T5_P12ihipStream_tbEUlRKsE_EESO_SS_ST_mSU_SX_bEUlT_E_NS1_11comp_targetILNS1_3genE0ELNS1_11target_archE4294967295ELNS1_3gpuE0ELNS1_3repE0EEENS1_30default_config_static_selectorELNS0_4arch9wavefront6targetE1EEEvSR_
		.amdhsa_group_segment_fixed_size 0
		.amdhsa_private_segment_fixed_size 0
		.amdhsa_kernarg_size 64
		.amdhsa_user_sgpr_count 6
		.amdhsa_user_sgpr_private_segment_buffer 1
		.amdhsa_user_sgpr_dispatch_ptr 0
		.amdhsa_user_sgpr_queue_ptr 0
		.amdhsa_user_sgpr_kernarg_segment_ptr 1
		.amdhsa_user_sgpr_dispatch_id 0
		.amdhsa_user_sgpr_flat_scratch_init 0
		.amdhsa_user_sgpr_kernarg_preload_length 0
		.amdhsa_user_sgpr_kernarg_preload_offset 0
		.amdhsa_user_sgpr_private_segment_size 0
		.amdhsa_uses_dynamic_stack 0
		.amdhsa_system_sgpr_private_segment_wavefront_offset 0
		.amdhsa_system_sgpr_workgroup_id_x 1
		.amdhsa_system_sgpr_workgroup_id_y 0
		.amdhsa_system_sgpr_workgroup_id_z 0
		.amdhsa_system_sgpr_workgroup_info 0
		.amdhsa_system_vgpr_workitem_id 0
		.amdhsa_next_free_vgpr 1
		.amdhsa_next_free_sgpr 0
		.amdhsa_accum_offset 4
		.amdhsa_reserve_vcc 0
		.amdhsa_reserve_flat_scratch 0
		.amdhsa_float_round_mode_32 0
		.amdhsa_float_round_mode_16_64 0
		.amdhsa_float_denorm_mode_32 3
		.amdhsa_float_denorm_mode_16_64 3
		.amdhsa_dx10_clamp 1
		.amdhsa_ieee_mode 1
		.amdhsa_fp16_overflow 0
		.amdhsa_tg_split 0
		.amdhsa_exception_fp_ieee_invalid_op 0
		.amdhsa_exception_fp_denorm_src 0
		.amdhsa_exception_fp_ieee_div_zero 0
		.amdhsa_exception_fp_ieee_overflow 0
		.amdhsa_exception_fp_ieee_underflow 0
		.amdhsa_exception_fp_ieee_inexact 0
		.amdhsa_exception_int_div_zero 0
	.end_amdhsa_kernel
	.section	.text._ZN7rocprim17ROCPRIM_400000_NS6detail17trampoline_kernelINS0_14default_configENS1_27upper_bound_config_selectorIsN6thrust23THRUST_200600_302600_NS6detail10any_assignEEEZNS1_14transform_implILb0ES3_S9_NS7_15normal_iteratorINS6_10device_ptrIsEEEENS6_16discard_iteratorINS6_11use_defaultEEEZNS1_13binary_searchIS3_S9_SE_SE_SH_NS1_21upper_bound_search_opENS7_16wrapped_functionINS0_4lessIvEEbEEEE10hipError_tPvRmT1_T2_T3_mmT4_T5_P12ihipStream_tbEUlRKsE_EESO_SS_ST_mSU_SX_bEUlT_E_NS1_11comp_targetILNS1_3genE0ELNS1_11target_archE4294967295ELNS1_3gpuE0ELNS1_3repE0EEENS1_30default_config_static_selectorELNS0_4arch9wavefront6targetE1EEEvSR_,"axG",@progbits,_ZN7rocprim17ROCPRIM_400000_NS6detail17trampoline_kernelINS0_14default_configENS1_27upper_bound_config_selectorIsN6thrust23THRUST_200600_302600_NS6detail10any_assignEEEZNS1_14transform_implILb0ES3_S9_NS7_15normal_iteratorINS6_10device_ptrIsEEEENS6_16discard_iteratorINS6_11use_defaultEEEZNS1_13binary_searchIS3_S9_SE_SE_SH_NS1_21upper_bound_search_opENS7_16wrapped_functionINS0_4lessIvEEbEEEE10hipError_tPvRmT1_T2_T3_mmT4_T5_P12ihipStream_tbEUlRKsE_EESO_SS_ST_mSU_SX_bEUlT_E_NS1_11comp_targetILNS1_3genE0ELNS1_11target_archE4294967295ELNS1_3gpuE0ELNS1_3repE0EEENS1_30default_config_static_selectorELNS0_4arch9wavefront6targetE1EEEvSR_,comdat
.Lfunc_end591:
	.size	_ZN7rocprim17ROCPRIM_400000_NS6detail17trampoline_kernelINS0_14default_configENS1_27upper_bound_config_selectorIsN6thrust23THRUST_200600_302600_NS6detail10any_assignEEEZNS1_14transform_implILb0ES3_S9_NS7_15normal_iteratorINS6_10device_ptrIsEEEENS6_16discard_iteratorINS6_11use_defaultEEEZNS1_13binary_searchIS3_S9_SE_SE_SH_NS1_21upper_bound_search_opENS7_16wrapped_functionINS0_4lessIvEEbEEEE10hipError_tPvRmT1_T2_T3_mmT4_T5_P12ihipStream_tbEUlRKsE_EESO_SS_ST_mSU_SX_bEUlT_E_NS1_11comp_targetILNS1_3genE0ELNS1_11target_archE4294967295ELNS1_3gpuE0ELNS1_3repE0EEENS1_30default_config_static_selectorELNS0_4arch9wavefront6targetE1EEEvSR_, .Lfunc_end591-_ZN7rocprim17ROCPRIM_400000_NS6detail17trampoline_kernelINS0_14default_configENS1_27upper_bound_config_selectorIsN6thrust23THRUST_200600_302600_NS6detail10any_assignEEEZNS1_14transform_implILb0ES3_S9_NS7_15normal_iteratorINS6_10device_ptrIsEEEENS6_16discard_iteratorINS6_11use_defaultEEEZNS1_13binary_searchIS3_S9_SE_SE_SH_NS1_21upper_bound_search_opENS7_16wrapped_functionINS0_4lessIvEEbEEEE10hipError_tPvRmT1_T2_T3_mmT4_T5_P12ihipStream_tbEUlRKsE_EESO_SS_ST_mSU_SX_bEUlT_E_NS1_11comp_targetILNS1_3genE0ELNS1_11target_archE4294967295ELNS1_3gpuE0ELNS1_3repE0EEENS1_30default_config_static_selectorELNS0_4arch9wavefront6targetE1EEEvSR_
                                        ; -- End function
	.section	.AMDGPU.csdata,"",@progbits
; Kernel info:
; codeLenInByte = 0
; NumSgprs: 4
; NumVgprs: 0
; NumAgprs: 0
; TotalNumVgprs: 0
; ScratchSize: 0
; MemoryBound: 0
; FloatMode: 240
; IeeeMode: 1
; LDSByteSize: 0 bytes/workgroup (compile time only)
; SGPRBlocks: 0
; VGPRBlocks: 0
; NumSGPRsForWavesPerEU: 4
; NumVGPRsForWavesPerEU: 1
; AccumOffset: 4
; Occupancy: 8
; WaveLimiterHint : 0
; COMPUTE_PGM_RSRC2:SCRATCH_EN: 0
; COMPUTE_PGM_RSRC2:USER_SGPR: 6
; COMPUTE_PGM_RSRC2:TRAP_HANDLER: 0
; COMPUTE_PGM_RSRC2:TGID_X_EN: 1
; COMPUTE_PGM_RSRC2:TGID_Y_EN: 0
; COMPUTE_PGM_RSRC2:TGID_Z_EN: 0
; COMPUTE_PGM_RSRC2:TIDIG_COMP_CNT: 0
; COMPUTE_PGM_RSRC3_GFX90A:ACCUM_OFFSET: 0
; COMPUTE_PGM_RSRC3_GFX90A:TG_SPLIT: 0
	.section	.text._ZN7rocprim17ROCPRIM_400000_NS6detail17trampoline_kernelINS0_14default_configENS1_27upper_bound_config_selectorIsN6thrust23THRUST_200600_302600_NS6detail10any_assignEEEZNS1_14transform_implILb0ES3_S9_NS7_15normal_iteratorINS6_10device_ptrIsEEEENS6_16discard_iteratorINS6_11use_defaultEEEZNS1_13binary_searchIS3_S9_SE_SE_SH_NS1_21upper_bound_search_opENS7_16wrapped_functionINS0_4lessIvEEbEEEE10hipError_tPvRmT1_T2_T3_mmT4_T5_P12ihipStream_tbEUlRKsE_EESO_SS_ST_mSU_SX_bEUlT_E_NS1_11comp_targetILNS1_3genE5ELNS1_11target_archE942ELNS1_3gpuE9ELNS1_3repE0EEENS1_30default_config_static_selectorELNS0_4arch9wavefront6targetE1EEEvSR_,"axG",@progbits,_ZN7rocprim17ROCPRIM_400000_NS6detail17trampoline_kernelINS0_14default_configENS1_27upper_bound_config_selectorIsN6thrust23THRUST_200600_302600_NS6detail10any_assignEEEZNS1_14transform_implILb0ES3_S9_NS7_15normal_iteratorINS6_10device_ptrIsEEEENS6_16discard_iteratorINS6_11use_defaultEEEZNS1_13binary_searchIS3_S9_SE_SE_SH_NS1_21upper_bound_search_opENS7_16wrapped_functionINS0_4lessIvEEbEEEE10hipError_tPvRmT1_T2_T3_mmT4_T5_P12ihipStream_tbEUlRKsE_EESO_SS_ST_mSU_SX_bEUlT_E_NS1_11comp_targetILNS1_3genE5ELNS1_11target_archE942ELNS1_3gpuE9ELNS1_3repE0EEENS1_30default_config_static_selectorELNS0_4arch9wavefront6targetE1EEEvSR_,comdat
	.protected	_ZN7rocprim17ROCPRIM_400000_NS6detail17trampoline_kernelINS0_14default_configENS1_27upper_bound_config_selectorIsN6thrust23THRUST_200600_302600_NS6detail10any_assignEEEZNS1_14transform_implILb0ES3_S9_NS7_15normal_iteratorINS6_10device_ptrIsEEEENS6_16discard_iteratorINS6_11use_defaultEEEZNS1_13binary_searchIS3_S9_SE_SE_SH_NS1_21upper_bound_search_opENS7_16wrapped_functionINS0_4lessIvEEbEEEE10hipError_tPvRmT1_T2_T3_mmT4_T5_P12ihipStream_tbEUlRKsE_EESO_SS_ST_mSU_SX_bEUlT_E_NS1_11comp_targetILNS1_3genE5ELNS1_11target_archE942ELNS1_3gpuE9ELNS1_3repE0EEENS1_30default_config_static_selectorELNS0_4arch9wavefront6targetE1EEEvSR_ ; -- Begin function _ZN7rocprim17ROCPRIM_400000_NS6detail17trampoline_kernelINS0_14default_configENS1_27upper_bound_config_selectorIsN6thrust23THRUST_200600_302600_NS6detail10any_assignEEEZNS1_14transform_implILb0ES3_S9_NS7_15normal_iteratorINS6_10device_ptrIsEEEENS6_16discard_iteratorINS6_11use_defaultEEEZNS1_13binary_searchIS3_S9_SE_SE_SH_NS1_21upper_bound_search_opENS7_16wrapped_functionINS0_4lessIvEEbEEEE10hipError_tPvRmT1_T2_T3_mmT4_T5_P12ihipStream_tbEUlRKsE_EESO_SS_ST_mSU_SX_bEUlT_E_NS1_11comp_targetILNS1_3genE5ELNS1_11target_archE942ELNS1_3gpuE9ELNS1_3repE0EEENS1_30default_config_static_selectorELNS0_4arch9wavefront6targetE1EEEvSR_
	.globl	_ZN7rocprim17ROCPRIM_400000_NS6detail17trampoline_kernelINS0_14default_configENS1_27upper_bound_config_selectorIsN6thrust23THRUST_200600_302600_NS6detail10any_assignEEEZNS1_14transform_implILb0ES3_S9_NS7_15normal_iteratorINS6_10device_ptrIsEEEENS6_16discard_iteratorINS6_11use_defaultEEEZNS1_13binary_searchIS3_S9_SE_SE_SH_NS1_21upper_bound_search_opENS7_16wrapped_functionINS0_4lessIvEEbEEEE10hipError_tPvRmT1_T2_T3_mmT4_T5_P12ihipStream_tbEUlRKsE_EESO_SS_ST_mSU_SX_bEUlT_E_NS1_11comp_targetILNS1_3genE5ELNS1_11target_archE942ELNS1_3gpuE9ELNS1_3repE0EEENS1_30default_config_static_selectorELNS0_4arch9wavefront6targetE1EEEvSR_
	.p2align	8
	.type	_ZN7rocprim17ROCPRIM_400000_NS6detail17trampoline_kernelINS0_14default_configENS1_27upper_bound_config_selectorIsN6thrust23THRUST_200600_302600_NS6detail10any_assignEEEZNS1_14transform_implILb0ES3_S9_NS7_15normal_iteratorINS6_10device_ptrIsEEEENS6_16discard_iteratorINS6_11use_defaultEEEZNS1_13binary_searchIS3_S9_SE_SE_SH_NS1_21upper_bound_search_opENS7_16wrapped_functionINS0_4lessIvEEbEEEE10hipError_tPvRmT1_T2_T3_mmT4_T5_P12ihipStream_tbEUlRKsE_EESO_SS_ST_mSU_SX_bEUlT_E_NS1_11comp_targetILNS1_3genE5ELNS1_11target_archE942ELNS1_3gpuE9ELNS1_3repE0EEENS1_30default_config_static_selectorELNS0_4arch9wavefront6targetE1EEEvSR_,@function
_ZN7rocprim17ROCPRIM_400000_NS6detail17trampoline_kernelINS0_14default_configENS1_27upper_bound_config_selectorIsN6thrust23THRUST_200600_302600_NS6detail10any_assignEEEZNS1_14transform_implILb0ES3_S9_NS7_15normal_iteratorINS6_10device_ptrIsEEEENS6_16discard_iteratorINS6_11use_defaultEEEZNS1_13binary_searchIS3_S9_SE_SE_SH_NS1_21upper_bound_search_opENS7_16wrapped_functionINS0_4lessIvEEbEEEE10hipError_tPvRmT1_T2_T3_mmT4_T5_P12ihipStream_tbEUlRKsE_EESO_SS_ST_mSU_SX_bEUlT_E_NS1_11comp_targetILNS1_3genE5ELNS1_11target_archE942ELNS1_3gpuE9ELNS1_3repE0EEENS1_30default_config_static_selectorELNS0_4arch9wavefront6targetE1EEEvSR_: ; @_ZN7rocprim17ROCPRIM_400000_NS6detail17trampoline_kernelINS0_14default_configENS1_27upper_bound_config_selectorIsN6thrust23THRUST_200600_302600_NS6detail10any_assignEEEZNS1_14transform_implILb0ES3_S9_NS7_15normal_iteratorINS6_10device_ptrIsEEEENS6_16discard_iteratorINS6_11use_defaultEEEZNS1_13binary_searchIS3_S9_SE_SE_SH_NS1_21upper_bound_search_opENS7_16wrapped_functionINS0_4lessIvEEbEEEE10hipError_tPvRmT1_T2_T3_mmT4_T5_P12ihipStream_tbEUlRKsE_EESO_SS_ST_mSU_SX_bEUlT_E_NS1_11comp_targetILNS1_3genE5ELNS1_11target_archE942ELNS1_3gpuE9ELNS1_3repE0EEENS1_30default_config_static_selectorELNS0_4arch9wavefront6targetE1EEEvSR_
; %bb.0:
	.section	.rodata,"a",@progbits
	.p2align	6, 0x0
	.amdhsa_kernel _ZN7rocprim17ROCPRIM_400000_NS6detail17trampoline_kernelINS0_14default_configENS1_27upper_bound_config_selectorIsN6thrust23THRUST_200600_302600_NS6detail10any_assignEEEZNS1_14transform_implILb0ES3_S9_NS7_15normal_iteratorINS6_10device_ptrIsEEEENS6_16discard_iteratorINS6_11use_defaultEEEZNS1_13binary_searchIS3_S9_SE_SE_SH_NS1_21upper_bound_search_opENS7_16wrapped_functionINS0_4lessIvEEbEEEE10hipError_tPvRmT1_T2_T3_mmT4_T5_P12ihipStream_tbEUlRKsE_EESO_SS_ST_mSU_SX_bEUlT_E_NS1_11comp_targetILNS1_3genE5ELNS1_11target_archE942ELNS1_3gpuE9ELNS1_3repE0EEENS1_30default_config_static_selectorELNS0_4arch9wavefront6targetE1EEEvSR_
		.amdhsa_group_segment_fixed_size 0
		.amdhsa_private_segment_fixed_size 0
		.amdhsa_kernarg_size 64
		.amdhsa_user_sgpr_count 6
		.amdhsa_user_sgpr_private_segment_buffer 1
		.amdhsa_user_sgpr_dispatch_ptr 0
		.amdhsa_user_sgpr_queue_ptr 0
		.amdhsa_user_sgpr_kernarg_segment_ptr 1
		.amdhsa_user_sgpr_dispatch_id 0
		.amdhsa_user_sgpr_flat_scratch_init 0
		.amdhsa_user_sgpr_kernarg_preload_length 0
		.amdhsa_user_sgpr_kernarg_preload_offset 0
		.amdhsa_user_sgpr_private_segment_size 0
		.amdhsa_uses_dynamic_stack 0
		.amdhsa_system_sgpr_private_segment_wavefront_offset 0
		.amdhsa_system_sgpr_workgroup_id_x 1
		.amdhsa_system_sgpr_workgroup_id_y 0
		.amdhsa_system_sgpr_workgroup_id_z 0
		.amdhsa_system_sgpr_workgroup_info 0
		.amdhsa_system_vgpr_workitem_id 0
		.amdhsa_next_free_vgpr 1
		.amdhsa_next_free_sgpr 0
		.amdhsa_accum_offset 4
		.amdhsa_reserve_vcc 0
		.amdhsa_reserve_flat_scratch 0
		.amdhsa_float_round_mode_32 0
		.amdhsa_float_round_mode_16_64 0
		.amdhsa_float_denorm_mode_32 3
		.amdhsa_float_denorm_mode_16_64 3
		.amdhsa_dx10_clamp 1
		.amdhsa_ieee_mode 1
		.amdhsa_fp16_overflow 0
		.amdhsa_tg_split 0
		.amdhsa_exception_fp_ieee_invalid_op 0
		.amdhsa_exception_fp_denorm_src 0
		.amdhsa_exception_fp_ieee_div_zero 0
		.amdhsa_exception_fp_ieee_overflow 0
		.amdhsa_exception_fp_ieee_underflow 0
		.amdhsa_exception_fp_ieee_inexact 0
		.amdhsa_exception_int_div_zero 0
	.end_amdhsa_kernel
	.section	.text._ZN7rocprim17ROCPRIM_400000_NS6detail17trampoline_kernelINS0_14default_configENS1_27upper_bound_config_selectorIsN6thrust23THRUST_200600_302600_NS6detail10any_assignEEEZNS1_14transform_implILb0ES3_S9_NS7_15normal_iteratorINS6_10device_ptrIsEEEENS6_16discard_iteratorINS6_11use_defaultEEEZNS1_13binary_searchIS3_S9_SE_SE_SH_NS1_21upper_bound_search_opENS7_16wrapped_functionINS0_4lessIvEEbEEEE10hipError_tPvRmT1_T2_T3_mmT4_T5_P12ihipStream_tbEUlRKsE_EESO_SS_ST_mSU_SX_bEUlT_E_NS1_11comp_targetILNS1_3genE5ELNS1_11target_archE942ELNS1_3gpuE9ELNS1_3repE0EEENS1_30default_config_static_selectorELNS0_4arch9wavefront6targetE1EEEvSR_,"axG",@progbits,_ZN7rocprim17ROCPRIM_400000_NS6detail17trampoline_kernelINS0_14default_configENS1_27upper_bound_config_selectorIsN6thrust23THRUST_200600_302600_NS6detail10any_assignEEEZNS1_14transform_implILb0ES3_S9_NS7_15normal_iteratorINS6_10device_ptrIsEEEENS6_16discard_iteratorINS6_11use_defaultEEEZNS1_13binary_searchIS3_S9_SE_SE_SH_NS1_21upper_bound_search_opENS7_16wrapped_functionINS0_4lessIvEEbEEEE10hipError_tPvRmT1_T2_T3_mmT4_T5_P12ihipStream_tbEUlRKsE_EESO_SS_ST_mSU_SX_bEUlT_E_NS1_11comp_targetILNS1_3genE5ELNS1_11target_archE942ELNS1_3gpuE9ELNS1_3repE0EEENS1_30default_config_static_selectorELNS0_4arch9wavefront6targetE1EEEvSR_,comdat
.Lfunc_end592:
	.size	_ZN7rocprim17ROCPRIM_400000_NS6detail17trampoline_kernelINS0_14default_configENS1_27upper_bound_config_selectorIsN6thrust23THRUST_200600_302600_NS6detail10any_assignEEEZNS1_14transform_implILb0ES3_S9_NS7_15normal_iteratorINS6_10device_ptrIsEEEENS6_16discard_iteratorINS6_11use_defaultEEEZNS1_13binary_searchIS3_S9_SE_SE_SH_NS1_21upper_bound_search_opENS7_16wrapped_functionINS0_4lessIvEEbEEEE10hipError_tPvRmT1_T2_T3_mmT4_T5_P12ihipStream_tbEUlRKsE_EESO_SS_ST_mSU_SX_bEUlT_E_NS1_11comp_targetILNS1_3genE5ELNS1_11target_archE942ELNS1_3gpuE9ELNS1_3repE0EEENS1_30default_config_static_selectorELNS0_4arch9wavefront6targetE1EEEvSR_, .Lfunc_end592-_ZN7rocprim17ROCPRIM_400000_NS6detail17trampoline_kernelINS0_14default_configENS1_27upper_bound_config_selectorIsN6thrust23THRUST_200600_302600_NS6detail10any_assignEEEZNS1_14transform_implILb0ES3_S9_NS7_15normal_iteratorINS6_10device_ptrIsEEEENS6_16discard_iteratorINS6_11use_defaultEEEZNS1_13binary_searchIS3_S9_SE_SE_SH_NS1_21upper_bound_search_opENS7_16wrapped_functionINS0_4lessIvEEbEEEE10hipError_tPvRmT1_T2_T3_mmT4_T5_P12ihipStream_tbEUlRKsE_EESO_SS_ST_mSU_SX_bEUlT_E_NS1_11comp_targetILNS1_3genE5ELNS1_11target_archE942ELNS1_3gpuE9ELNS1_3repE0EEENS1_30default_config_static_selectorELNS0_4arch9wavefront6targetE1EEEvSR_
                                        ; -- End function
	.section	.AMDGPU.csdata,"",@progbits
; Kernel info:
; codeLenInByte = 0
; NumSgprs: 4
; NumVgprs: 0
; NumAgprs: 0
; TotalNumVgprs: 0
; ScratchSize: 0
; MemoryBound: 0
; FloatMode: 240
; IeeeMode: 1
; LDSByteSize: 0 bytes/workgroup (compile time only)
; SGPRBlocks: 0
; VGPRBlocks: 0
; NumSGPRsForWavesPerEU: 4
; NumVGPRsForWavesPerEU: 1
; AccumOffset: 4
; Occupancy: 8
; WaveLimiterHint : 0
; COMPUTE_PGM_RSRC2:SCRATCH_EN: 0
; COMPUTE_PGM_RSRC2:USER_SGPR: 6
; COMPUTE_PGM_RSRC2:TRAP_HANDLER: 0
; COMPUTE_PGM_RSRC2:TGID_X_EN: 1
; COMPUTE_PGM_RSRC2:TGID_Y_EN: 0
; COMPUTE_PGM_RSRC2:TGID_Z_EN: 0
; COMPUTE_PGM_RSRC2:TIDIG_COMP_CNT: 0
; COMPUTE_PGM_RSRC3_GFX90A:ACCUM_OFFSET: 0
; COMPUTE_PGM_RSRC3_GFX90A:TG_SPLIT: 0
	.section	.text._ZN7rocprim17ROCPRIM_400000_NS6detail17trampoline_kernelINS0_14default_configENS1_27upper_bound_config_selectorIsN6thrust23THRUST_200600_302600_NS6detail10any_assignEEEZNS1_14transform_implILb0ES3_S9_NS7_15normal_iteratorINS6_10device_ptrIsEEEENS6_16discard_iteratorINS6_11use_defaultEEEZNS1_13binary_searchIS3_S9_SE_SE_SH_NS1_21upper_bound_search_opENS7_16wrapped_functionINS0_4lessIvEEbEEEE10hipError_tPvRmT1_T2_T3_mmT4_T5_P12ihipStream_tbEUlRKsE_EESO_SS_ST_mSU_SX_bEUlT_E_NS1_11comp_targetILNS1_3genE4ELNS1_11target_archE910ELNS1_3gpuE8ELNS1_3repE0EEENS1_30default_config_static_selectorELNS0_4arch9wavefront6targetE1EEEvSR_,"axG",@progbits,_ZN7rocprim17ROCPRIM_400000_NS6detail17trampoline_kernelINS0_14default_configENS1_27upper_bound_config_selectorIsN6thrust23THRUST_200600_302600_NS6detail10any_assignEEEZNS1_14transform_implILb0ES3_S9_NS7_15normal_iteratorINS6_10device_ptrIsEEEENS6_16discard_iteratorINS6_11use_defaultEEEZNS1_13binary_searchIS3_S9_SE_SE_SH_NS1_21upper_bound_search_opENS7_16wrapped_functionINS0_4lessIvEEbEEEE10hipError_tPvRmT1_T2_T3_mmT4_T5_P12ihipStream_tbEUlRKsE_EESO_SS_ST_mSU_SX_bEUlT_E_NS1_11comp_targetILNS1_3genE4ELNS1_11target_archE910ELNS1_3gpuE8ELNS1_3repE0EEENS1_30default_config_static_selectorELNS0_4arch9wavefront6targetE1EEEvSR_,comdat
	.protected	_ZN7rocprim17ROCPRIM_400000_NS6detail17trampoline_kernelINS0_14default_configENS1_27upper_bound_config_selectorIsN6thrust23THRUST_200600_302600_NS6detail10any_assignEEEZNS1_14transform_implILb0ES3_S9_NS7_15normal_iteratorINS6_10device_ptrIsEEEENS6_16discard_iteratorINS6_11use_defaultEEEZNS1_13binary_searchIS3_S9_SE_SE_SH_NS1_21upper_bound_search_opENS7_16wrapped_functionINS0_4lessIvEEbEEEE10hipError_tPvRmT1_T2_T3_mmT4_T5_P12ihipStream_tbEUlRKsE_EESO_SS_ST_mSU_SX_bEUlT_E_NS1_11comp_targetILNS1_3genE4ELNS1_11target_archE910ELNS1_3gpuE8ELNS1_3repE0EEENS1_30default_config_static_selectorELNS0_4arch9wavefront6targetE1EEEvSR_ ; -- Begin function _ZN7rocprim17ROCPRIM_400000_NS6detail17trampoline_kernelINS0_14default_configENS1_27upper_bound_config_selectorIsN6thrust23THRUST_200600_302600_NS6detail10any_assignEEEZNS1_14transform_implILb0ES3_S9_NS7_15normal_iteratorINS6_10device_ptrIsEEEENS6_16discard_iteratorINS6_11use_defaultEEEZNS1_13binary_searchIS3_S9_SE_SE_SH_NS1_21upper_bound_search_opENS7_16wrapped_functionINS0_4lessIvEEbEEEE10hipError_tPvRmT1_T2_T3_mmT4_T5_P12ihipStream_tbEUlRKsE_EESO_SS_ST_mSU_SX_bEUlT_E_NS1_11comp_targetILNS1_3genE4ELNS1_11target_archE910ELNS1_3gpuE8ELNS1_3repE0EEENS1_30default_config_static_selectorELNS0_4arch9wavefront6targetE1EEEvSR_
	.globl	_ZN7rocprim17ROCPRIM_400000_NS6detail17trampoline_kernelINS0_14default_configENS1_27upper_bound_config_selectorIsN6thrust23THRUST_200600_302600_NS6detail10any_assignEEEZNS1_14transform_implILb0ES3_S9_NS7_15normal_iteratorINS6_10device_ptrIsEEEENS6_16discard_iteratorINS6_11use_defaultEEEZNS1_13binary_searchIS3_S9_SE_SE_SH_NS1_21upper_bound_search_opENS7_16wrapped_functionINS0_4lessIvEEbEEEE10hipError_tPvRmT1_T2_T3_mmT4_T5_P12ihipStream_tbEUlRKsE_EESO_SS_ST_mSU_SX_bEUlT_E_NS1_11comp_targetILNS1_3genE4ELNS1_11target_archE910ELNS1_3gpuE8ELNS1_3repE0EEENS1_30default_config_static_selectorELNS0_4arch9wavefront6targetE1EEEvSR_
	.p2align	8
	.type	_ZN7rocprim17ROCPRIM_400000_NS6detail17trampoline_kernelINS0_14default_configENS1_27upper_bound_config_selectorIsN6thrust23THRUST_200600_302600_NS6detail10any_assignEEEZNS1_14transform_implILb0ES3_S9_NS7_15normal_iteratorINS6_10device_ptrIsEEEENS6_16discard_iteratorINS6_11use_defaultEEEZNS1_13binary_searchIS3_S9_SE_SE_SH_NS1_21upper_bound_search_opENS7_16wrapped_functionINS0_4lessIvEEbEEEE10hipError_tPvRmT1_T2_T3_mmT4_T5_P12ihipStream_tbEUlRKsE_EESO_SS_ST_mSU_SX_bEUlT_E_NS1_11comp_targetILNS1_3genE4ELNS1_11target_archE910ELNS1_3gpuE8ELNS1_3repE0EEENS1_30default_config_static_selectorELNS0_4arch9wavefront6targetE1EEEvSR_,@function
_ZN7rocprim17ROCPRIM_400000_NS6detail17trampoline_kernelINS0_14default_configENS1_27upper_bound_config_selectorIsN6thrust23THRUST_200600_302600_NS6detail10any_assignEEEZNS1_14transform_implILb0ES3_S9_NS7_15normal_iteratorINS6_10device_ptrIsEEEENS6_16discard_iteratorINS6_11use_defaultEEEZNS1_13binary_searchIS3_S9_SE_SE_SH_NS1_21upper_bound_search_opENS7_16wrapped_functionINS0_4lessIvEEbEEEE10hipError_tPvRmT1_T2_T3_mmT4_T5_P12ihipStream_tbEUlRKsE_EESO_SS_ST_mSU_SX_bEUlT_E_NS1_11comp_targetILNS1_3genE4ELNS1_11target_archE910ELNS1_3gpuE8ELNS1_3repE0EEENS1_30default_config_static_selectorELNS0_4arch9wavefront6targetE1EEEvSR_: ; @_ZN7rocprim17ROCPRIM_400000_NS6detail17trampoline_kernelINS0_14default_configENS1_27upper_bound_config_selectorIsN6thrust23THRUST_200600_302600_NS6detail10any_assignEEEZNS1_14transform_implILb0ES3_S9_NS7_15normal_iteratorINS6_10device_ptrIsEEEENS6_16discard_iteratorINS6_11use_defaultEEEZNS1_13binary_searchIS3_S9_SE_SE_SH_NS1_21upper_bound_search_opENS7_16wrapped_functionINS0_4lessIvEEbEEEE10hipError_tPvRmT1_T2_T3_mmT4_T5_P12ihipStream_tbEUlRKsE_EESO_SS_ST_mSU_SX_bEUlT_E_NS1_11comp_targetILNS1_3genE4ELNS1_11target_archE910ELNS1_3gpuE8ELNS1_3repE0EEENS1_30default_config_static_selectorELNS0_4arch9wavefront6targetE1EEEvSR_
; %bb.0:
	s_endpgm
	.section	.rodata,"a",@progbits
	.p2align	6, 0x0
	.amdhsa_kernel _ZN7rocprim17ROCPRIM_400000_NS6detail17trampoline_kernelINS0_14default_configENS1_27upper_bound_config_selectorIsN6thrust23THRUST_200600_302600_NS6detail10any_assignEEEZNS1_14transform_implILb0ES3_S9_NS7_15normal_iteratorINS6_10device_ptrIsEEEENS6_16discard_iteratorINS6_11use_defaultEEEZNS1_13binary_searchIS3_S9_SE_SE_SH_NS1_21upper_bound_search_opENS7_16wrapped_functionINS0_4lessIvEEbEEEE10hipError_tPvRmT1_T2_T3_mmT4_T5_P12ihipStream_tbEUlRKsE_EESO_SS_ST_mSU_SX_bEUlT_E_NS1_11comp_targetILNS1_3genE4ELNS1_11target_archE910ELNS1_3gpuE8ELNS1_3repE0EEENS1_30default_config_static_selectorELNS0_4arch9wavefront6targetE1EEEvSR_
		.amdhsa_group_segment_fixed_size 0
		.amdhsa_private_segment_fixed_size 0
		.amdhsa_kernarg_size 64
		.amdhsa_user_sgpr_count 6
		.amdhsa_user_sgpr_private_segment_buffer 1
		.amdhsa_user_sgpr_dispatch_ptr 0
		.amdhsa_user_sgpr_queue_ptr 0
		.amdhsa_user_sgpr_kernarg_segment_ptr 1
		.amdhsa_user_sgpr_dispatch_id 0
		.amdhsa_user_sgpr_flat_scratch_init 0
		.amdhsa_user_sgpr_kernarg_preload_length 0
		.amdhsa_user_sgpr_kernarg_preload_offset 0
		.amdhsa_user_sgpr_private_segment_size 0
		.amdhsa_uses_dynamic_stack 0
		.amdhsa_system_sgpr_private_segment_wavefront_offset 0
		.amdhsa_system_sgpr_workgroup_id_x 1
		.amdhsa_system_sgpr_workgroup_id_y 0
		.amdhsa_system_sgpr_workgroup_id_z 0
		.amdhsa_system_sgpr_workgroup_info 0
		.amdhsa_system_vgpr_workitem_id 0
		.amdhsa_next_free_vgpr 1
		.amdhsa_next_free_sgpr 0
		.amdhsa_accum_offset 4
		.amdhsa_reserve_vcc 0
		.amdhsa_reserve_flat_scratch 0
		.amdhsa_float_round_mode_32 0
		.amdhsa_float_round_mode_16_64 0
		.amdhsa_float_denorm_mode_32 3
		.amdhsa_float_denorm_mode_16_64 3
		.amdhsa_dx10_clamp 1
		.amdhsa_ieee_mode 1
		.amdhsa_fp16_overflow 0
		.amdhsa_tg_split 0
		.amdhsa_exception_fp_ieee_invalid_op 0
		.amdhsa_exception_fp_denorm_src 0
		.amdhsa_exception_fp_ieee_div_zero 0
		.amdhsa_exception_fp_ieee_overflow 0
		.amdhsa_exception_fp_ieee_underflow 0
		.amdhsa_exception_fp_ieee_inexact 0
		.amdhsa_exception_int_div_zero 0
	.end_amdhsa_kernel
	.section	.text._ZN7rocprim17ROCPRIM_400000_NS6detail17trampoline_kernelINS0_14default_configENS1_27upper_bound_config_selectorIsN6thrust23THRUST_200600_302600_NS6detail10any_assignEEEZNS1_14transform_implILb0ES3_S9_NS7_15normal_iteratorINS6_10device_ptrIsEEEENS6_16discard_iteratorINS6_11use_defaultEEEZNS1_13binary_searchIS3_S9_SE_SE_SH_NS1_21upper_bound_search_opENS7_16wrapped_functionINS0_4lessIvEEbEEEE10hipError_tPvRmT1_T2_T3_mmT4_T5_P12ihipStream_tbEUlRKsE_EESO_SS_ST_mSU_SX_bEUlT_E_NS1_11comp_targetILNS1_3genE4ELNS1_11target_archE910ELNS1_3gpuE8ELNS1_3repE0EEENS1_30default_config_static_selectorELNS0_4arch9wavefront6targetE1EEEvSR_,"axG",@progbits,_ZN7rocprim17ROCPRIM_400000_NS6detail17trampoline_kernelINS0_14default_configENS1_27upper_bound_config_selectorIsN6thrust23THRUST_200600_302600_NS6detail10any_assignEEEZNS1_14transform_implILb0ES3_S9_NS7_15normal_iteratorINS6_10device_ptrIsEEEENS6_16discard_iteratorINS6_11use_defaultEEEZNS1_13binary_searchIS3_S9_SE_SE_SH_NS1_21upper_bound_search_opENS7_16wrapped_functionINS0_4lessIvEEbEEEE10hipError_tPvRmT1_T2_T3_mmT4_T5_P12ihipStream_tbEUlRKsE_EESO_SS_ST_mSU_SX_bEUlT_E_NS1_11comp_targetILNS1_3genE4ELNS1_11target_archE910ELNS1_3gpuE8ELNS1_3repE0EEENS1_30default_config_static_selectorELNS0_4arch9wavefront6targetE1EEEvSR_,comdat
.Lfunc_end593:
	.size	_ZN7rocprim17ROCPRIM_400000_NS6detail17trampoline_kernelINS0_14default_configENS1_27upper_bound_config_selectorIsN6thrust23THRUST_200600_302600_NS6detail10any_assignEEEZNS1_14transform_implILb0ES3_S9_NS7_15normal_iteratorINS6_10device_ptrIsEEEENS6_16discard_iteratorINS6_11use_defaultEEEZNS1_13binary_searchIS3_S9_SE_SE_SH_NS1_21upper_bound_search_opENS7_16wrapped_functionINS0_4lessIvEEbEEEE10hipError_tPvRmT1_T2_T3_mmT4_T5_P12ihipStream_tbEUlRKsE_EESO_SS_ST_mSU_SX_bEUlT_E_NS1_11comp_targetILNS1_3genE4ELNS1_11target_archE910ELNS1_3gpuE8ELNS1_3repE0EEENS1_30default_config_static_selectorELNS0_4arch9wavefront6targetE1EEEvSR_, .Lfunc_end593-_ZN7rocprim17ROCPRIM_400000_NS6detail17trampoline_kernelINS0_14default_configENS1_27upper_bound_config_selectorIsN6thrust23THRUST_200600_302600_NS6detail10any_assignEEEZNS1_14transform_implILb0ES3_S9_NS7_15normal_iteratorINS6_10device_ptrIsEEEENS6_16discard_iteratorINS6_11use_defaultEEEZNS1_13binary_searchIS3_S9_SE_SE_SH_NS1_21upper_bound_search_opENS7_16wrapped_functionINS0_4lessIvEEbEEEE10hipError_tPvRmT1_T2_T3_mmT4_T5_P12ihipStream_tbEUlRKsE_EESO_SS_ST_mSU_SX_bEUlT_E_NS1_11comp_targetILNS1_3genE4ELNS1_11target_archE910ELNS1_3gpuE8ELNS1_3repE0EEENS1_30default_config_static_selectorELNS0_4arch9wavefront6targetE1EEEvSR_
                                        ; -- End function
	.section	.AMDGPU.csdata,"",@progbits
; Kernel info:
; codeLenInByte = 4
; NumSgprs: 4
; NumVgprs: 0
; NumAgprs: 0
; TotalNumVgprs: 0
; ScratchSize: 0
; MemoryBound: 0
; FloatMode: 240
; IeeeMode: 1
; LDSByteSize: 0 bytes/workgroup (compile time only)
; SGPRBlocks: 0
; VGPRBlocks: 0
; NumSGPRsForWavesPerEU: 4
; NumVGPRsForWavesPerEU: 1
; AccumOffset: 4
; Occupancy: 8
; WaveLimiterHint : 0
; COMPUTE_PGM_RSRC2:SCRATCH_EN: 0
; COMPUTE_PGM_RSRC2:USER_SGPR: 6
; COMPUTE_PGM_RSRC2:TRAP_HANDLER: 0
; COMPUTE_PGM_RSRC2:TGID_X_EN: 1
; COMPUTE_PGM_RSRC2:TGID_Y_EN: 0
; COMPUTE_PGM_RSRC2:TGID_Z_EN: 0
; COMPUTE_PGM_RSRC2:TIDIG_COMP_CNT: 0
; COMPUTE_PGM_RSRC3_GFX90A:ACCUM_OFFSET: 0
; COMPUTE_PGM_RSRC3_GFX90A:TG_SPLIT: 0
	.section	.text._ZN7rocprim17ROCPRIM_400000_NS6detail17trampoline_kernelINS0_14default_configENS1_27upper_bound_config_selectorIsN6thrust23THRUST_200600_302600_NS6detail10any_assignEEEZNS1_14transform_implILb0ES3_S9_NS7_15normal_iteratorINS6_10device_ptrIsEEEENS6_16discard_iteratorINS6_11use_defaultEEEZNS1_13binary_searchIS3_S9_SE_SE_SH_NS1_21upper_bound_search_opENS7_16wrapped_functionINS0_4lessIvEEbEEEE10hipError_tPvRmT1_T2_T3_mmT4_T5_P12ihipStream_tbEUlRKsE_EESO_SS_ST_mSU_SX_bEUlT_E_NS1_11comp_targetILNS1_3genE3ELNS1_11target_archE908ELNS1_3gpuE7ELNS1_3repE0EEENS1_30default_config_static_selectorELNS0_4arch9wavefront6targetE1EEEvSR_,"axG",@progbits,_ZN7rocprim17ROCPRIM_400000_NS6detail17trampoline_kernelINS0_14default_configENS1_27upper_bound_config_selectorIsN6thrust23THRUST_200600_302600_NS6detail10any_assignEEEZNS1_14transform_implILb0ES3_S9_NS7_15normal_iteratorINS6_10device_ptrIsEEEENS6_16discard_iteratorINS6_11use_defaultEEEZNS1_13binary_searchIS3_S9_SE_SE_SH_NS1_21upper_bound_search_opENS7_16wrapped_functionINS0_4lessIvEEbEEEE10hipError_tPvRmT1_T2_T3_mmT4_T5_P12ihipStream_tbEUlRKsE_EESO_SS_ST_mSU_SX_bEUlT_E_NS1_11comp_targetILNS1_3genE3ELNS1_11target_archE908ELNS1_3gpuE7ELNS1_3repE0EEENS1_30default_config_static_selectorELNS0_4arch9wavefront6targetE1EEEvSR_,comdat
	.protected	_ZN7rocprim17ROCPRIM_400000_NS6detail17trampoline_kernelINS0_14default_configENS1_27upper_bound_config_selectorIsN6thrust23THRUST_200600_302600_NS6detail10any_assignEEEZNS1_14transform_implILb0ES3_S9_NS7_15normal_iteratorINS6_10device_ptrIsEEEENS6_16discard_iteratorINS6_11use_defaultEEEZNS1_13binary_searchIS3_S9_SE_SE_SH_NS1_21upper_bound_search_opENS7_16wrapped_functionINS0_4lessIvEEbEEEE10hipError_tPvRmT1_T2_T3_mmT4_T5_P12ihipStream_tbEUlRKsE_EESO_SS_ST_mSU_SX_bEUlT_E_NS1_11comp_targetILNS1_3genE3ELNS1_11target_archE908ELNS1_3gpuE7ELNS1_3repE0EEENS1_30default_config_static_selectorELNS0_4arch9wavefront6targetE1EEEvSR_ ; -- Begin function _ZN7rocprim17ROCPRIM_400000_NS6detail17trampoline_kernelINS0_14default_configENS1_27upper_bound_config_selectorIsN6thrust23THRUST_200600_302600_NS6detail10any_assignEEEZNS1_14transform_implILb0ES3_S9_NS7_15normal_iteratorINS6_10device_ptrIsEEEENS6_16discard_iteratorINS6_11use_defaultEEEZNS1_13binary_searchIS3_S9_SE_SE_SH_NS1_21upper_bound_search_opENS7_16wrapped_functionINS0_4lessIvEEbEEEE10hipError_tPvRmT1_T2_T3_mmT4_T5_P12ihipStream_tbEUlRKsE_EESO_SS_ST_mSU_SX_bEUlT_E_NS1_11comp_targetILNS1_3genE3ELNS1_11target_archE908ELNS1_3gpuE7ELNS1_3repE0EEENS1_30default_config_static_selectorELNS0_4arch9wavefront6targetE1EEEvSR_
	.globl	_ZN7rocprim17ROCPRIM_400000_NS6detail17trampoline_kernelINS0_14default_configENS1_27upper_bound_config_selectorIsN6thrust23THRUST_200600_302600_NS6detail10any_assignEEEZNS1_14transform_implILb0ES3_S9_NS7_15normal_iteratorINS6_10device_ptrIsEEEENS6_16discard_iteratorINS6_11use_defaultEEEZNS1_13binary_searchIS3_S9_SE_SE_SH_NS1_21upper_bound_search_opENS7_16wrapped_functionINS0_4lessIvEEbEEEE10hipError_tPvRmT1_T2_T3_mmT4_T5_P12ihipStream_tbEUlRKsE_EESO_SS_ST_mSU_SX_bEUlT_E_NS1_11comp_targetILNS1_3genE3ELNS1_11target_archE908ELNS1_3gpuE7ELNS1_3repE0EEENS1_30default_config_static_selectorELNS0_4arch9wavefront6targetE1EEEvSR_
	.p2align	8
	.type	_ZN7rocprim17ROCPRIM_400000_NS6detail17trampoline_kernelINS0_14default_configENS1_27upper_bound_config_selectorIsN6thrust23THRUST_200600_302600_NS6detail10any_assignEEEZNS1_14transform_implILb0ES3_S9_NS7_15normal_iteratorINS6_10device_ptrIsEEEENS6_16discard_iteratorINS6_11use_defaultEEEZNS1_13binary_searchIS3_S9_SE_SE_SH_NS1_21upper_bound_search_opENS7_16wrapped_functionINS0_4lessIvEEbEEEE10hipError_tPvRmT1_T2_T3_mmT4_T5_P12ihipStream_tbEUlRKsE_EESO_SS_ST_mSU_SX_bEUlT_E_NS1_11comp_targetILNS1_3genE3ELNS1_11target_archE908ELNS1_3gpuE7ELNS1_3repE0EEENS1_30default_config_static_selectorELNS0_4arch9wavefront6targetE1EEEvSR_,@function
_ZN7rocprim17ROCPRIM_400000_NS6detail17trampoline_kernelINS0_14default_configENS1_27upper_bound_config_selectorIsN6thrust23THRUST_200600_302600_NS6detail10any_assignEEEZNS1_14transform_implILb0ES3_S9_NS7_15normal_iteratorINS6_10device_ptrIsEEEENS6_16discard_iteratorINS6_11use_defaultEEEZNS1_13binary_searchIS3_S9_SE_SE_SH_NS1_21upper_bound_search_opENS7_16wrapped_functionINS0_4lessIvEEbEEEE10hipError_tPvRmT1_T2_T3_mmT4_T5_P12ihipStream_tbEUlRKsE_EESO_SS_ST_mSU_SX_bEUlT_E_NS1_11comp_targetILNS1_3genE3ELNS1_11target_archE908ELNS1_3gpuE7ELNS1_3repE0EEENS1_30default_config_static_selectorELNS0_4arch9wavefront6targetE1EEEvSR_: ; @_ZN7rocprim17ROCPRIM_400000_NS6detail17trampoline_kernelINS0_14default_configENS1_27upper_bound_config_selectorIsN6thrust23THRUST_200600_302600_NS6detail10any_assignEEEZNS1_14transform_implILb0ES3_S9_NS7_15normal_iteratorINS6_10device_ptrIsEEEENS6_16discard_iteratorINS6_11use_defaultEEEZNS1_13binary_searchIS3_S9_SE_SE_SH_NS1_21upper_bound_search_opENS7_16wrapped_functionINS0_4lessIvEEbEEEE10hipError_tPvRmT1_T2_T3_mmT4_T5_P12ihipStream_tbEUlRKsE_EESO_SS_ST_mSU_SX_bEUlT_E_NS1_11comp_targetILNS1_3genE3ELNS1_11target_archE908ELNS1_3gpuE7ELNS1_3repE0EEENS1_30default_config_static_selectorELNS0_4arch9wavefront6targetE1EEEvSR_
; %bb.0:
	.section	.rodata,"a",@progbits
	.p2align	6, 0x0
	.amdhsa_kernel _ZN7rocprim17ROCPRIM_400000_NS6detail17trampoline_kernelINS0_14default_configENS1_27upper_bound_config_selectorIsN6thrust23THRUST_200600_302600_NS6detail10any_assignEEEZNS1_14transform_implILb0ES3_S9_NS7_15normal_iteratorINS6_10device_ptrIsEEEENS6_16discard_iteratorINS6_11use_defaultEEEZNS1_13binary_searchIS3_S9_SE_SE_SH_NS1_21upper_bound_search_opENS7_16wrapped_functionINS0_4lessIvEEbEEEE10hipError_tPvRmT1_T2_T3_mmT4_T5_P12ihipStream_tbEUlRKsE_EESO_SS_ST_mSU_SX_bEUlT_E_NS1_11comp_targetILNS1_3genE3ELNS1_11target_archE908ELNS1_3gpuE7ELNS1_3repE0EEENS1_30default_config_static_selectorELNS0_4arch9wavefront6targetE1EEEvSR_
		.amdhsa_group_segment_fixed_size 0
		.amdhsa_private_segment_fixed_size 0
		.amdhsa_kernarg_size 64
		.amdhsa_user_sgpr_count 6
		.amdhsa_user_sgpr_private_segment_buffer 1
		.amdhsa_user_sgpr_dispatch_ptr 0
		.amdhsa_user_sgpr_queue_ptr 0
		.amdhsa_user_sgpr_kernarg_segment_ptr 1
		.amdhsa_user_sgpr_dispatch_id 0
		.amdhsa_user_sgpr_flat_scratch_init 0
		.amdhsa_user_sgpr_kernarg_preload_length 0
		.amdhsa_user_sgpr_kernarg_preload_offset 0
		.amdhsa_user_sgpr_private_segment_size 0
		.amdhsa_uses_dynamic_stack 0
		.amdhsa_system_sgpr_private_segment_wavefront_offset 0
		.amdhsa_system_sgpr_workgroup_id_x 1
		.amdhsa_system_sgpr_workgroup_id_y 0
		.amdhsa_system_sgpr_workgroup_id_z 0
		.amdhsa_system_sgpr_workgroup_info 0
		.amdhsa_system_vgpr_workitem_id 0
		.amdhsa_next_free_vgpr 1
		.amdhsa_next_free_sgpr 0
		.amdhsa_accum_offset 4
		.amdhsa_reserve_vcc 0
		.amdhsa_reserve_flat_scratch 0
		.amdhsa_float_round_mode_32 0
		.amdhsa_float_round_mode_16_64 0
		.amdhsa_float_denorm_mode_32 3
		.amdhsa_float_denorm_mode_16_64 3
		.amdhsa_dx10_clamp 1
		.amdhsa_ieee_mode 1
		.amdhsa_fp16_overflow 0
		.amdhsa_tg_split 0
		.amdhsa_exception_fp_ieee_invalid_op 0
		.amdhsa_exception_fp_denorm_src 0
		.amdhsa_exception_fp_ieee_div_zero 0
		.amdhsa_exception_fp_ieee_overflow 0
		.amdhsa_exception_fp_ieee_underflow 0
		.amdhsa_exception_fp_ieee_inexact 0
		.amdhsa_exception_int_div_zero 0
	.end_amdhsa_kernel
	.section	.text._ZN7rocprim17ROCPRIM_400000_NS6detail17trampoline_kernelINS0_14default_configENS1_27upper_bound_config_selectorIsN6thrust23THRUST_200600_302600_NS6detail10any_assignEEEZNS1_14transform_implILb0ES3_S9_NS7_15normal_iteratorINS6_10device_ptrIsEEEENS6_16discard_iteratorINS6_11use_defaultEEEZNS1_13binary_searchIS3_S9_SE_SE_SH_NS1_21upper_bound_search_opENS7_16wrapped_functionINS0_4lessIvEEbEEEE10hipError_tPvRmT1_T2_T3_mmT4_T5_P12ihipStream_tbEUlRKsE_EESO_SS_ST_mSU_SX_bEUlT_E_NS1_11comp_targetILNS1_3genE3ELNS1_11target_archE908ELNS1_3gpuE7ELNS1_3repE0EEENS1_30default_config_static_selectorELNS0_4arch9wavefront6targetE1EEEvSR_,"axG",@progbits,_ZN7rocprim17ROCPRIM_400000_NS6detail17trampoline_kernelINS0_14default_configENS1_27upper_bound_config_selectorIsN6thrust23THRUST_200600_302600_NS6detail10any_assignEEEZNS1_14transform_implILb0ES3_S9_NS7_15normal_iteratorINS6_10device_ptrIsEEEENS6_16discard_iteratorINS6_11use_defaultEEEZNS1_13binary_searchIS3_S9_SE_SE_SH_NS1_21upper_bound_search_opENS7_16wrapped_functionINS0_4lessIvEEbEEEE10hipError_tPvRmT1_T2_T3_mmT4_T5_P12ihipStream_tbEUlRKsE_EESO_SS_ST_mSU_SX_bEUlT_E_NS1_11comp_targetILNS1_3genE3ELNS1_11target_archE908ELNS1_3gpuE7ELNS1_3repE0EEENS1_30default_config_static_selectorELNS0_4arch9wavefront6targetE1EEEvSR_,comdat
.Lfunc_end594:
	.size	_ZN7rocprim17ROCPRIM_400000_NS6detail17trampoline_kernelINS0_14default_configENS1_27upper_bound_config_selectorIsN6thrust23THRUST_200600_302600_NS6detail10any_assignEEEZNS1_14transform_implILb0ES3_S9_NS7_15normal_iteratorINS6_10device_ptrIsEEEENS6_16discard_iteratorINS6_11use_defaultEEEZNS1_13binary_searchIS3_S9_SE_SE_SH_NS1_21upper_bound_search_opENS7_16wrapped_functionINS0_4lessIvEEbEEEE10hipError_tPvRmT1_T2_T3_mmT4_T5_P12ihipStream_tbEUlRKsE_EESO_SS_ST_mSU_SX_bEUlT_E_NS1_11comp_targetILNS1_3genE3ELNS1_11target_archE908ELNS1_3gpuE7ELNS1_3repE0EEENS1_30default_config_static_selectorELNS0_4arch9wavefront6targetE1EEEvSR_, .Lfunc_end594-_ZN7rocprim17ROCPRIM_400000_NS6detail17trampoline_kernelINS0_14default_configENS1_27upper_bound_config_selectorIsN6thrust23THRUST_200600_302600_NS6detail10any_assignEEEZNS1_14transform_implILb0ES3_S9_NS7_15normal_iteratorINS6_10device_ptrIsEEEENS6_16discard_iteratorINS6_11use_defaultEEEZNS1_13binary_searchIS3_S9_SE_SE_SH_NS1_21upper_bound_search_opENS7_16wrapped_functionINS0_4lessIvEEbEEEE10hipError_tPvRmT1_T2_T3_mmT4_T5_P12ihipStream_tbEUlRKsE_EESO_SS_ST_mSU_SX_bEUlT_E_NS1_11comp_targetILNS1_3genE3ELNS1_11target_archE908ELNS1_3gpuE7ELNS1_3repE0EEENS1_30default_config_static_selectorELNS0_4arch9wavefront6targetE1EEEvSR_
                                        ; -- End function
	.section	.AMDGPU.csdata,"",@progbits
; Kernel info:
; codeLenInByte = 0
; NumSgprs: 4
; NumVgprs: 0
; NumAgprs: 0
; TotalNumVgprs: 0
; ScratchSize: 0
; MemoryBound: 0
; FloatMode: 240
; IeeeMode: 1
; LDSByteSize: 0 bytes/workgroup (compile time only)
; SGPRBlocks: 0
; VGPRBlocks: 0
; NumSGPRsForWavesPerEU: 4
; NumVGPRsForWavesPerEU: 1
; AccumOffset: 4
; Occupancy: 8
; WaveLimiterHint : 0
; COMPUTE_PGM_RSRC2:SCRATCH_EN: 0
; COMPUTE_PGM_RSRC2:USER_SGPR: 6
; COMPUTE_PGM_RSRC2:TRAP_HANDLER: 0
; COMPUTE_PGM_RSRC2:TGID_X_EN: 1
; COMPUTE_PGM_RSRC2:TGID_Y_EN: 0
; COMPUTE_PGM_RSRC2:TGID_Z_EN: 0
; COMPUTE_PGM_RSRC2:TIDIG_COMP_CNT: 0
; COMPUTE_PGM_RSRC3_GFX90A:ACCUM_OFFSET: 0
; COMPUTE_PGM_RSRC3_GFX90A:TG_SPLIT: 0
	.section	.text._ZN7rocprim17ROCPRIM_400000_NS6detail17trampoline_kernelINS0_14default_configENS1_27upper_bound_config_selectorIsN6thrust23THRUST_200600_302600_NS6detail10any_assignEEEZNS1_14transform_implILb0ES3_S9_NS7_15normal_iteratorINS6_10device_ptrIsEEEENS6_16discard_iteratorINS6_11use_defaultEEEZNS1_13binary_searchIS3_S9_SE_SE_SH_NS1_21upper_bound_search_opENS7_16wrapped_functionINS0_4lessIvEEbEEEE10hipError_tPvRmT1_T2_T3_mmT4_T5_P12ihipStream_tbEUlRKsE_EESO_SS_ST_mSU_SX_bEUlT_E_NS1_11comp_targetILNS1_3genE2ELNS1_11target_archE906ELNS1_3gpuE6ELNS1_3repE0EEENS1_30default_config_static_selectorELNS0_4arch9wavefront6targetE1EEEvSR_,"axG",@progbits,_ZN7rocprim17ROCPRIM_400000_NS6detail17trampoline_kernelINS0_14default_configENS1_27upper_bound_config_selectorIsN6thrust23THRUST_200600_302600_NS6detail10any_assignEEEZNS1_14transform_implILb0ES3_S9_NS7_15normal_iteratorINS6_10device_ptrIsEEEENS6_16discard_iteratorINS6_11use_defaultEEEZNS1_13binary_searchIS3_S9_SE_SE_SH_NS1_21upper_bound_search_opENS7_16wrapped_functionINS0_4lessIvEEbEEEE10hipError_tPvRmT1_T2_T3_mmT4_T5_P12ihipStream_tbEUlRKsE_EESO_SS_ST_mSU_SX_bEUlT_E_NS1_11comp_targetILNS1_3genE2ELNS1_11target_archE906ELNS1_3gpuE6ELNS1_3repE0EEENS1_30default_config_static_selectorELNS0_4arch9wavefront6targetE1EEEvSR_,comdat
	.protected	_ZN7rocprim17ROCPRIM_400000_NS6detail17trampoline_kernelINS0_14default_configENS1_27upper_bound_config_selectorIsN6thrust23THRUST_200600_302600_NS6detail10any_assignEEEZNS1_14transform_implILb0ES3_S9_NS7_15normal_iteratorINS6_10device_ptrIsEEEENS6_16discard_iteratorINS6_11use_defaultEEEZNS1_13binary_searchIS3_S9_SE_SE_SH_NS1_21upper_bound_search_opENS7_16wrapped_functionINS0_4lessIvEEbEEEE10hipError_tPvRmT1_T2_T3_mmT4_T5_P12ihipStream_tbEUlRKsE_EESO_SS_ST_mSU_SX_bEUlT_E_NS1_11comp_targetILNS1_3genE2ELNS1_11target_archE906ELNS1_3gpuE6ELNS1_3repE0EEENS1_30default_config_static_selectorELNS0_4arch9wavefront6targetE1EEEvSR_ ; -- Begin function _ZN7rocprim17ROCPRIM_400000_NS6detail17trampoline_kernelINS0_14default_configENS1_27upper_bound_config_selectorIsN6thrust23THRUST_200600_302600_NS6detail10any_assignEEEZNS1_14transform_implILb0ES3_S9_NS7_15normal_iteratorINS6_10device_ptrIsEEEENS6_16discard_iteratorINS6_11use_defaultEEEZNS1_13binary_searchIS3_S9_SE_SE_SH_NS1_21upper_bound_search_opENS7_16wrapped_functionINS0_4lessIvEEbEEEE10hipError_tPvRmT1_T2_T3_mmT4_T5_P12ihipStream_tbEUlRKsE_EESO_SS_ST_mSU_SX_bEUlT_E_NS1_11comp_targetILNS1_3genE2ELNS1_11target_archE906ELNS1_3gpuE6ELNS1_3repE0EEENS1_30default_config_static_selectorELNS0_4arch9wavefront6targetE1EEEvSR_
	.globl	_ZN7rocprim17ROCPRIM_400000_NS6detail17trampoline_kernelINS0_14default_configENS1_27upper_bound_config_selectorIsN6thrust23THRUST_200600_302600_NS6detail10any_assignEEEZNS1_14transform_implILb0ES3_S9_NS7_15normal_iteratorINS6_10device_ptrIsEEEENS6_16discard_iteratorINS6_11use_defaultEEEZNS1_13binary_searchIS3_S9_SE_SE_SH_NS1_21upper_bound_search_opENS7_16wrapped_functionINS0_4lessIvEEbEEEE10hipError_tPvRmT1_T2_T3_mmT4_T5_P12ihipStream_tbEUlRKsE_EESO_SS_ST_mSU_SX_bEUlT_E_NS1_11comp_targetILNS1_3genE2ELNS1_11target_archE906ELNS1_3gpuE6ELNS1_3repE0EEENS1_30default_config_static_selectorELNS0_4arch9wavefront6targetE1EEEvSR_
	.p2align	8
	.type	_ZN7rocprim17ROCPRIM_400000_NS6detail17trampoline_kernelINS0_14default_configENS1_27upper_bound_config_selectorIsN6thrust23THRUST_200600_302600_NS6detail10any_assignEEEZNS1_14transform_implILb0ES3_S9_NS7_15normal_iteratorINS6_10device_ptrIsEEEENS6_16discard_iteratorINS6_11use_defaultEEEZNS1_13binary_searchIS3_S9_SE_SE_SH_NS1_21upper_bound_search_opENS7_16wrapped_functionINS0_4lessIvEEbEEEE10hipError_tPvRmT1_T2_T3_mmT4_T5_P12ihipStream_tbEUlRKsE_EESO_SS_ST_mSU_SX_bEUlT_E_NS1_11comp_targetILNS1_3genE2ELNS1_11target_archE906ELNS1_3gpuE6ELNS1_3repE0EEENS1_30default_config_static_selectorELNS0_4arch9wavefront6targetE1EEEvSR_,@function
_ZN7rocprim17ROCPRIM_400000_NS6detail17trampoline_kernelINS0_14default_configENS1_27upper_bound_config_selectorIsN6thrust23THRUST_200600_302600_NS6detail10any_assignEEEZNS1_14transform_implILb0ES3_S9_NS7_15normal_iteratorINS6_10device_ptrIsEEEENS6_16discard_iteratorINS6_11use_defaultEEEZNS1_13binary_searchIS3_S9_SE_SE_SH_NS1_21upper_bound_search_opENS7_16wrapped_functionINS0_4lessIvEEbEEEE10hipError_tPvRmT1_T2_T3_mmT4_T5_P12ihipStream_tbEUlRKsE_EESO_SS_ST_mSU_SX_bEUlT_E_NS1_11comp_targetILNS1_3genE2ELNS1_11target_archE906ELNS1_3gpuE6ELNS1_3repE0EEENS1_30default_config_static_selectorELNS0_4arch9wavefront6targetE1EEEvSR_: ; @_ZN7rocprim17ROCPRIM_400000_NS6detail17trampoline_kernelINS0_14default_configENS1_27upper_bound_config_selectorIsN6thrust23THRUST_200600_302600_NS6detail10any_assignEEEZNS1_14transform_implILb0ES3_S9_NS7_15normal_iteratorINS6_10device_ptrIsEEEENS6_16discard_iteratorINS6_11use_defaultEEEZNS1_13binary_searchIS3_S9_SE_SE_SH_NS1_21upper_bound_search_opENS7_16wrapped_functionINS0_4lessIvEEbEEEE10hipError_tPvRmT1_T2_T3_mmT4_T5_P12ihipStream_tbEUlRKsE_EESO_SS_ST_mSU_SX_bEUlT_E_NS1_11comp_targetILNS1_3genE2ELNS1_11target_archE906ELNS1_3gpuE6ELNS1_3repE0EEENS1_30default_config_static_selectorELNS0_4arch9wavefront6targetE1EEEvSR_
; %bb.0:
	.section	.rodata,"a",@progbits
	.p2align	6, 0x0
	.amdhsa_kernel _ZN7rocprim17ROCPRIM_400000_NS6detail17trampoline_kernelINS0_14default_configENS1_27upper_bound_config_selectorIsN6thrust23THRUST_200600_302600_NS6detail10any_assignEEEZNS1_14transform_implILb0ES3_S9_NS7_15normal_iteratorINS6_10device_ptrIsEEEENS6_16discard_iteratorINS6_11use_defaultEEEZNS1_13binary_searchIS3_S9_SE_SE_SH_NS1_21upper_bound_search_opENS7_16wrapped_functionINS0_4lessIvEEbEEEE10hipError_tPvRmT1_T2_T3_mmT4_T5_P12ihipStream_tbEUlRKsE_EESO_SS_ST_mSU_SX_bEUlT_E_NS1_11comp_targetILNS1_3genE2ELNS1_11target_archE906ELNS1_3gpuE6ELNS1_3repE0EEENS1_30default_config_static_selectorELNS0_4arch9wavefront6targetE1EEEvSR_
		.amdhsa_group_segment_fixed_size 0
		.amdhsa_private_segment_fixed_size 0
		.amdhsa_kernarg_size 64
		.amdhsa_user_sgpr_count 6
		.amdhsa_user_sgpr_private_segment_buffer 1
		.amdhsa_user_sgpr_dispatch_ptr 0
		.amdhsa_user_sgpr_queue_ptr 0
		.amdhsa_user_sgpr_kernarg_segment_ptr 1
		.amdhsa_user_sgpr_dispatch_id 0
		.amdhsa_user_sgpr_flat_scratch_init 0
		.amdhsa_user_sgpr_kernarg_preload_length 0
		.amdhsa_user_sgpr_kernarg_preload_offset 0
		.amdhsa_user_sgpr_private_segment_size 0
		.amdhsa_uses_dynamic_stack 0
		.amdhsa_system_sgpr_private_segment_wavefront_offset 0
		.amdhsa_system_sgpr_workgroup_id_x 1
		.amdhsa_system_sgpr_workgroup_id_y 0
		.amdhsa_system_sgpr_workgroup_id_z 0
		.amdhsa_system_sgpr_workgroup_info 0
		.amdhsa_system_vgpr_workitem_id 0
		.amdhsa_next_free_vgpr 1
		.amdhsa_next_free_sgpr 0
		.amdhsa_accum_offset 4
		.amdhsa_reserve_vcc 0
		.amdhsa_reserve_flat_scratch 0
		.amdhsa_float_round_mode_32 0
		.amdhsa_float_round_mode_16_64 0
		.amdhsa_float_denorm_mode_32 3
		.amdhsa_float_denorm_mode_16_64 3
		.amdhsa_dx10_clamp 1
		.amdhsa_ieee_mode 1
		.amdhsa_fp16_overflow 0
		.amdhsa_tg_split 0
		.amdhsa_exception_fp_ieee_invalid_op 0
		.amdhsa_exception_fp_denorm_src 0
		.amdhsa_exception_fp_ieee_div_zero 0
		.amdhsa_exception_fp_ieee_overflow 0
		.amdhsa_exception_fp_ieee_underflow 0
		.amdhsa_exception_fp_ieee_inexact 0
		.amdhsa_exception_int_div_zero 0
	.end_amdhsa_kernel
	.section	.text._ZN7rocprim17ROCPRIM_400000_NS6detail17trampoline_kernelINS0_14default_configENS1_27upper_bound_config_selectorIsN6thrust23THRUST_200600_302600_NS6detail10any_assignEEEZNS1_14transform_implILb0ES3_S9_NS7_15normal_iteratorINS6_10device_ptrIsEEEENS6_16discard_iteratorINS6_11use_defaultEEEZNS1_13binary_searchIS3_S9_SE_SE_SH_NS1_21upper_bound_search_opENS7_16wrapped_functionINS0_4lessIvEEbEEEE10hipError_tPvRmT1_T2_T3_mmT4_T5_P12ihipStream_tbEUlRKsE_EESO_SS_ST_mSU_SX_bEUlT_E_NS1_11comp_targetILNS1_3genE2ELNS1_11target_archE906ELNS1_3gpuE6ELNS1_3repE0EEENS1_30default_config_static_selectorELNS0_4arch9wavefront6targetE1EEEvSR_,"axG",@progbits,_ZN7rocprim17ROCPRIM_400000_NS6detail17trampoline_kernelINS0_14default_configENS1_27upper_bound_config_selectorIsN6thrust23THRUST_200600_302600_NS6detail10any_assignEEEZNS1_14transform_implILb0ES3_S9_NS7_15normal_iteratorINS6_10device_ptrIsEEEENS6_16discard_iteratorINS6_11use_defaultEEEZNS1_13binary_searchIS3_S9_SE_SE_SH_NS1_21upper_bound_search_opENS7_16wrapped_functionINS0_4lessIvEEbEEEE10hipError_tPvRmT1_T2_T3_mmT4_T5_P12ihipStream_tbEUlRKsE_EESO_SS_ST_mSU_SX_bEUlT_E_NS1_11comp_targetILNS1_3genE2ELNS1_11target_archE906ELNS1_3gpuE6ELNS1_3repE0EEENS1_30default_config_static_selectorELNS0_4arch9wavefront6targetE1EEEvSR_,comdat
.Lfunc_end595:
	.size	_ZN7rocprim17ROCPRIM_400000_NS6detail17trampoline_kernelINS0_14default_configENS1_27upper_bound_config_selectorIsN6thrust23THRUST_200600_302600_NS6detail10any_assignEEEZNS1_14transform_implILb0ES3_S9_NS7_15normal_iteratorINS6_10device_ptrIsEEEENS6_16discard_iteratorINS6_11use_defaultEEEZNS1_13binary_searchIS3_S9_SE_SE_SH_NS1_21upper_bound_search_opENS7_16wrapped_functionINS0_4lessIvEEbEEEE10hipError_tPvRmT1_T2_T3_mmT4_T5_P12ihipStream_tbEUlRKsE_EESO_SS_ST_mSU_SX_bEUlT_E_NS1_11comp_targetILNS1_3genE2ELNS1_11target_archE906ELNS1_3gpuE6ELNS1_3repE0EEENS1_30default_config_static_selectorELNS0_4arch9wavefront6targetE1EEEvSR_, .Lfunc_end595-_ZN7rocprim17ROCPRIM_400000_NS6detail17trampoline_kernelINS0_14default_configENS1_27upper_bound_config_selectorIsN6thrust23THRUST_200600_302600_NS6detail10any_assignEEEZNS1_14transform_implILb0ES3_S9_NS7_15normal_iteratorINS6_10device_ptrIsEEEENS6_16discard_iteratorINS6_11use_defaultEEEZNS1_13binary_searchIS3_S9_SE_SE_SH_NS1_21upper_bound_search_opENS7_16wrapped_functionINS0_4lessIvEEbEEEE10hipError_tPvRmT1_T2_T3_mmT4_T5_P12ihipStream_tbEUlRKsE_EESO_SS_ST_mSU_SX_bEUlT_E_NS1_11comp_targetILNS1_3genE2ELNS1_11target_archE906ELNS1_3gpuE6ELNS1_3repE0EEENS1_30default_config_static_selectorELNS0_4arch9wavefront6targetE1EEEvSR_
                                        ; -- End function
	.section	.AMDGPU.csdata,"",@progbits
; Kernel info:
; codeLenInByte = 0
; NumSgprs: 4
; NumVgprs: 0
; NumAgprs: 0
; TotalNumVgprs: 0
; ScratchSize: 0
; MemoryBound: 0
; FloatMode: 240
; IeeeMode: 1
; LDSByteSize: 0 bytes/workgroup (compile time only)
; SGPRBlocks: 0
; VGPRBlocks: 0
; NumSGPRsForWavesPerEU: 4
; NumVGPRsForWavesPerEU: 1
; AccumOffset: 4
; Occupancy: 8
; WaveLimiterHint : 0
; COMPUTE_PGM_RSRC2:SCRATCH_EN: 0
; COMPUTE_PGM_RSRC2:USER_SGPR: 6
; COMPUTE_PGM_RSRC2:TRAP_HANDLER: 0
; COMPUTE_PGM_RSRC2:TGID_X_EN: 1
; COMPUTE_PGM_RSRC2:TGID_Y_EN: 0
; COMPUTE_PGM_RSRC2:TGID_Z_EN: 0
; COMPUTE_PGM_RSRC2:TIDIG_COMP_CNT: 0
; COMPUTE_PGM_RSRC3_GFX90A:ACCUM_OFFSET: 0
; COMPUTE_PGM_RSRC3_GFX90A:TG_SPLIT: 0
	.section	.text._ZN7rocprim17ROCPRIM_400000_NS6detail17trampoline_kernelINS0_14default_configENS1_27upper_bound_config_selectorIsN6thrust23THRUST_200600_302600_NS6detail10any_assignEEEZNS1_14transform_implILb0ES3_S9_NS7_15normal_iteratorINS6_10device_ptrIsEEEENS6_16discard_iteratorINS6_11use_defaultEEEZNS1_13binary_searchIS3_S9_SE_SE_SH_NS1_21upper_bound_search_opENS7_16wrapped_functionINS0_4lessIvEEbEEEE10hipError_tPvRmT1_T2_T3_mmT4_T5_P12ihipStream_tbEUlRKsE_EESO_SS_ST_mSU_SX_bEUlT_E_NS1_11comp_targetILNS1_3genE10ELNS1_11target_archE1201ELNS1_3gpuE5ELNS1_3repE0EEENS1_30default_config_static_selectorELNS0_4arch9wavefront6targetE1EEEvSR_,"axG",@progbits,_ZN7rocprim17ROCPRIM_400000_NS6detail17trampoline_kernelINS0_14default_configENS1_27upper_bound_config_selectorIsN6thrust23THRUST_200600_302600_NS6detail10any_assignEEEZNS1_14transform_implILb0ES3_S9_NS7_15normal_iteratorINS6_10device_ptrIsEEEENS6_16discard_iteratorINS6_11use_defaultEEEZNS1_13binary_searchIS3_S9_SE_SE_SH_NS1_21upper_bound_search_opENS7_16wrapped_functionINS0_4lessIvEEbEEEE10hipError_tPvRmT1_T2_T3_mmT4_T5_P12ihipStream_tbEUlRKsE_EESO_SS_ST_mSU_SX_bEUlT_E_NS1_11comp_targetILNS1_3genE10ELNS1_11target_archE1201ELNS1_3gpuE5ELNS1_3repE0EEENS1_30default_config_static_selectorELNS0_4arch9wavefront6targetE1EEEvSR_,comdat
	.protected	_ZN7rocprim17ROCPRIM_400000_NS6detail17trampoline_kernelINS0_14default_configENS1_27upper_bound_config_selectorIsN6thrust23THRUST_200600_302600_NS6detail10any_assignEEEZNS1_14transform_implILb0ES3_S9_NS7_15normal_iteratorINS6_10device_ptrIsEEEENS6_16discard_iteratorINS6_11use_defaultEEEZNS1_13binary_searchIS3_S9_SE_SE_SH_NS1_21upper_bound_search_opENS7_16wrapped_functionINS0_4lessIvEEbEEEE10hipError_tPvRmT1_T2_T3_mmT4_T5_P12ihipStream_tbEUlRKsE_EESO_SS_ST_mSU_SX_bEUlT_E_NS1_11comp_targetILNS1_3genE10ELNS1_11target_archE1201ELNS1_3gpuE5ELNS1_3repE0EEENS1_30default_config_static_selectorELNS0_4arch9wavefront6targetE1EEEvSR_ ; -- Begin function _ZN7rocprim17ROCPRIM_400000_NS6detail17trampoline_kernelINS0_14default_configENS1_27upper_bound_config_selectorIsN6thrust23THRUST_200600_302600_NS6detail10any_assignEEEZNS1_14transform_implILb0ES3_S9_NS7_15normal_iteratorINS6_10device_ptrIsEEEENS6_16discard_iteratorINS6_11use_defaultEEEZNS1_13binary_searchIS3_S9_SE_SE_SH_NS1_21upper_bound_search_opENS7_16wrapped_functionINS0_4lessIvEEbEEEE10hipError_tPvRmT1_T2_T3_mmT4_T5_P12ihipStream_tbEUlRKsE_EESO_SS_ST_mSU_SX_bEUlT_E_NS1_11comp_targetILNS1_3genE10ELNS1_11target_archE1201ELNS1_3gpuE5ELNS1_3repE0EEENS1_30default_config_static_selectorELNS0_4arch9wavefront6targetE1EEEvSR_
	.globl	_ZN7rocprim17ROCPRIM_400000_NS6detail17trampoline_kernelINS0_14default_configENS1_27upper_bound_config_selectorIsN6thrust23THRUST_200600_302600_NS6detail10any_assignEEEZNS1_14transform_implILb0ES3_S9_NS7_15normal_iteratorINS6_10device_ptrIsEEEENS6_16discard_iteratorINS6_11use_defaultEEEZNS1_13binary_searchIS3_S9_SE_SE_SH_NS1_21upper_bound_search_opENS7_16wrapped_functionINS0_4lessIvEEbEEEE10hipError_tPvRmT1_T2_T3_mmT4_T5_P12ihipStream_tbEUlRKsE_EESO_SS_ST_mSU_SX_bEUlT_E_NS1_11comp_targetILNS1_3genE10ELNS1_11target_archE1201ELNS1_3gpuE5ELNS1_3repE0EEENS1_30default_config_static_selectorELNS0_4arch9wavefront6targetE1EEEvSR_
	.p2align	8
	.type	_ZN7rocprim17ROCPRIM_400000_NS6detail17trampoline_kernelINS0_14default_configENS1_27upper_bound_config_selectorIsN6thrust23THRUST_200600_302600_NS6detail10any_assignEEEZNS1_14transform_implILb0ES3_S9_NS7_15normal_iteratorINS6_10device_ptrIsEEEENS6_16discard_iteratorINS6_11use_defaultEEEZNS1_13binary_searchIS3_S9_SE_SE_SH_NS1_21upper_bound_search_opENS7_16wrapped_functionINS0_4lessIvEEbEEEE10hipError_tPvRmT1_T2_T3_mmT4_T5_P12ihipStream_tbEUlRKsE_EESO_SS_ST_mSU_SX_bEUlT_E_NS1_11comp_targetILNS1_3genE10ELNS1_11target_archE1201ELNS1_3gpuE5ELNS1_3repE0EEENS1_30default_config_static_selectorELNS0_4arch9wavefront6targetE1EEEvSR_,@function
_ZN7rocprim17ROCPRIM_400000_NS6detail17trampoline_kernelINS0_14default_configENS1_27upper_bound_config_selectorIsN6thrust23THRUST_200600_302600_NS6detail10any_assignEEEZNS1_14transform_implILb0ES3_S9_NS7_15normal_iteratorINS6_10device_ptrIsEEEENS6_16discard_iteratorINS6_11use_defaultEEEZNS1_13binary_searchIS3_S9_SE_SE_SH_NS1_21upper_bound_search_opENS7_16wrapped_functionINS0_4lessIvEEbEEEE10hipError_tPvRmT1_T2_T3_mmT4_T5_P12ihipStream_tbEUlRKsE_EESO_SS_ST_mSU_SX_bEUlT_E_NS1_11comp_targetILNS1_3genE10ELNS1_11target_archE1201ELNS1_3gpuE5ELNS1_3repE0EEENS1_30default_config_static_selectorELNS0_4arch9wavefront6targetE1EEEvSR_: ; @_ZN7rocprim17ROCPRIM_400000_NS6detail17trampoline_kernelINS0_14default_configENS1_27upper_bound_config_selectorIsN6thrust23THRUST_200600_302600_NS6detail10any_assignEEEZNS1_14transform_implILb0ES3_S9_NS7_15normal_iteratorINS6_10device_ptrIsEEEENS6_16discard_iteratorINS6_11use_defaultEEEZNS1_13binary_searchIS3_S9_SE_SE_SH_NS1_21upper_bound_search_opENS7_16wrapped_functionINS0_4lessIvEEbEEEE10hipError_tPvRmT1_T2_T3_mmT4_T5_P12ihipStream_tbEUlRKsE_EESO_SS_ST_mSU_SX_bEUlT_E_NS1_11comp_targetILNS1_3genE10ELNS1_11target_archE1201ELNS1_3gpuE5ELNS1_3repE0EEENS1_30default_config_static_selectorELNS0_4arch9wavefront6targetE1EEEvSR_
; %bb.0:
	.section	.rodata,"a",@progbits
	.p2align	6, 0x0
	.amdhsa_kernel _ZN7rocprim17ROCPRIM_400000_NS6detail17trampoline_kernelINS0_14default_configENS1_27upper_bound_config_selectorIsN6thrust23THRUST_200600_302600_NS6detail10any_assignEEEZNS1_14transform_implILb0ES3_S9_NS7_15normal_iteratorINS6_10device_ptrIsEEEENS6_16discard_iteratorINS6_11use_defaultEEEZNS1_13binary_searchIS3_S9_SE_SE_SH_NS1_21upper_bound_search_opENS7_16wrapped_functionINS0_4lessIvEEbEEEE10hipError_tPvRmT1_T2_T3_mmT4_T5_P12ihipStream_tbEUlRKsE_EESO_SS_ST_mSU_SX_bEUlT_E_NS1_11comp_targetILNS1_3genE10ELNS1_11target_archE1201ELNS1_3gpuE5ELNS1_3repE0EEENS1_30default_config_static_selectorELNS0_4arch9wavefront6targetE1EEEvSR_
		.amdhsa_group_segment_fixed_size 0
		.amdhsa_private_segment_fixed_size 0
		.amdhsa_kernarg_size 64
		.amdhsa_user_sgpr_count 6
		.amdhsa_user_sgpr_private_segment_buffer 1
		.amdhsa_user_sgpr_dispatch_ptr 0
		.amdhsa_user_sgpr_queue_ptr 0
		.amdhsa_user_sgpr_kernarg_segment_ptr 1
		.amdhsa_user_sgpr_dispatch_id 0
		.amdhsa_user_sgpr_flat_scratch_init 0
		.amdhsa_user_sgpr_kernarg_preload_length 0
		.amdhsa_user_sgpr_kernarg_preload_offset 0
		.amdhsa_user_sgpr_private_segment_size 0
		.amdhsa_uses_dynamic_stack 0
		.amdhsa_system_sgpr_private_segment_wavefront_offset 0
		.amdhsa_system_sgpr_workgroup_id_x 1
		.amdhsa_system_sgpr_workgroup_id_y 0
		.amdhsa_system_sgpr_workgroup_id_z 0
		.amdhsa_system_sgpr_workgroup_info 0
		.amdhsa_system_vgpr_workitem_id 0
		.amdhsa_next_free_vgpr 1
		.amdhsa_next_free_sgpr 0
		.amdhsa_accum_offset 4
		.amdhsa_reserve_vcc 0
		.amdhsa_reserve_flat_scratch 0
		.amdhsa_float_round_mode_32 0
		.amdhsa_float_round_mode_16_64 0
		.amdhsa_float_denorm_mode_32 3
		.amdhsa_float_denorm_mode_16_64 3
		.amdhsa_dx10_clamp 1
		.amdhsa_ieee_mode 1
		.amdhsa_fp16_overflow 0
		.amdhsa_tg_split 0
		.amdhsa_exception_fp_ieee_invalid_op 0
		.amdhsa_exception_fp_denorm_src 0
		.amdhsa_exception_fp_ieee_div_zero 0
		.amdhsa_exception_fp_ieee_overflow 0
		.amdhsa_exception_fp_ieee_underflow 0
		.amdhsa_exception_fp_ieee_inexact 0
		.amdhsa_exception_int_div_zero 0
	.end_amdhsa_kernel
	.section	.text._ZN7rocprim17ROCPRIM_400000_NS6detail17trampoline_kernelINS0_14default_configENS1_27upper_bound_config_selectorIsN6thrust23THRUST_200600_302600_NS6detail10any_assignEEEZNS1_14transform_implILb0ES3_S9_NS7_15normal_iteratorINS6_10device_ptrIsEEEENS6_16discard_iteratorINS6_11use_defaultEEEZNS1_13binary_searchIS3_S9_SE_SE_SH_NS1_21upper_bound_search_opENS7_16wrapped_functionINS0_4lessIvEEbEEEE10hipError_tPvRmT1_T2_T3_mmT4_T5_P12ihipStream_tbEUlRKsE_EESO_SS_ST_mSU_SX_bEUlT_E_NS1_11comp_targetILNS1_3genE10ELNS1_11target_archE1201ELNS1_3gpuE5ELNS1_3repE0EEENS1_30default_config_static_selectorELNS0_4arch9wavefront6targetE1EEEvSR_,"axG",@progbits,_ZN7rocprim17ROCPRIM_400000_NS6detail17trampoline_kernelINS0_14default_configENS1_27upper_bound_config_selectorIsN6thrust23THRUST_200600_302600_NS6detail10any_assignEEEZNS1_14transform_implILb0ES3_S9_NS7_15normal_iteratorINS6_10device_ptrIsEEEENS6_16discard_iteratorINS6_11use_defaultEEEZNS1_13binary_searchIS3_S9_SE_SE_SH_NS1_21upper_bound_search_opENS7_16wrapped_functionINS0_4lessIvEEbEEEE10hipError_tPvRmT1_T2_T3_mmT4_T5_P12ihipStream_tbEUlRKsE_EESO_SS_ST_mSU_SX_bEUlT_E_NS1_11comp_targetILNS1_3genE10ELNS1_11target_archE1201ELNS1_3gpuE5ELNS1_3repE0EEENS1_30default_config_static_selectorELNS0_4arch9wavefront6targetE1EEEvSR_,comdat
.Lfunc_end596:
	.size	_ZN7rocprim17ROCPRIM_400000_NS6detail17trampoline_kernelINS0_14default_configENS1_27upper_bound_config_selectorIsN6thrust23THRUST_200600_302600_NS6detail10any_assignEEEZNS1_14transform_implILb0ES3_S9_NS7_15normal_iteratorINS6_10device_ptrIsEEEENS6_16discard_iteratorINS6_11use_defaultEEEZNS1_13binary_searchIS3_S9_SE_SE_SH_NS1_21upper_bound_search_opENS7_16wrapped_functionINS0_4lessIvEEbEEEE10hipError_tPvRmT1_T2_T3_mmT4_T5_P12ihipStream_tbEUlRKsE_EESO_SS_ST_mSU_SX_bEUlT_E_NS1_11comp_targetILNS1_3genE10ELNS1_11target_archE1201ELNS1_3gpuE5ELNS1_3repE0EEENS1_30default_config_static_selectorELNS0_4arch9wavefront6targetE1EEEvSR_, .Lfunc_end596-_ZN7rocprim17ROCPRIM_400000_NS6detail17trampoline_kernelINS0_14default_configENS1_27upper_bound_config_selectorIsN6thrust23THRUST_200600_302600_NS6detail10any_assignEEEZNS1_14transform_implILb0ES3_S9_NS7_15normal_iteratorINS6_10device_ptrIsEEEENS6_16discard_iteratorINS6_11use_defaultEEEZNS1_13binary_searchIS3_S9_SE_SE_SH_NS1_21upper_bound_search_opENS7_16wrapped_functionINS0_4lessIvEEbEEEE10hipError_tPvRmT1_T2_T3_mmT4_T5_P12ihipStream_tbEUlRKsE_EESO_SS_ST_mSU_SX_bEUlT_E_NS1_11comp_targetILNS1_3genE10ELNS1_11target_archE1201ELNS1_3gpuE5ELNS1_3repE0EEENS1_30default_config_static_selectorELNS0_4arch9wavefront6targetE1EEEvSR_
                                        ; -- End function
	.section	.AMDGPU.csdata,"",@progbits
; Kernel info:
; codeLenInByte = 0
; NumSgprs: 4
; NumVgprs: 0
; NumAgprs: 0
; TotalNumVgprs: 0
; ScratchSize: 0
; MemoryBound: 0
; FloatMode: 240
; IeeeMode: 1
; LDSByteSize: 0 bytes/workgroup (compile time only)
; SGPRBlocks: 0
; VGPRBlocks: 0
; NumSGPRsForWavesPerEU: 4
; NumVGPRsForWavesPerEU: 1
; AccumOffset: 4
; Occupancy: 8
; WaveLimiterHint : 0
; COMPUTE_PGM_RSRC2:SCRATCH_EN: 0
; COMPUTE_PGM_RSRC2:USER_SGPR: 6
; COMPUTE_PGM_RSRC2:TRAP_HANDLER: 0
; COMPUTE_PGM_RSRC2:TGID_X_EN: 1
; COMPUTE_PGM_RSRC2:TGID_Y_EN: 0
; COMPUTE_PGM_RSRC2:TGID_Z_EN: 0
; COMPUTE_PGM_RSRC2:TIDIG_COMP_CNT: 0
; COMPUTE_PGM_RSRC3_GFX90A:ACCUM_OFFSET: 0
; COMPUTE_PGM_RSRC3_GFX90A:TG_SPLIT: 0
	.section	.text._ZN7rocprim17ROCPRIM_400000_NS6detail17trampoline_kernelINS0_14default_configENS1_27upper_bound_config_selectorIsN6thrust23THRUST_200600_302600_NS6detail10any_assignEEEZNS1_14transform_implILb0ES3_S9_NS7_15normal_iteratorINS6_10device_ptrIsEEEENS6_16discard_iteratorINS6_11use_defaultEEEZNS1_13binary_searchIS3_S9_SE_SE_SH_NS1_21upper_bound_search_opENS7_16wrapped_functionINS0_4lessIvEEbEEEE10hipError_tPvRmT1_T2_T3_mmT4_T5_P12ihipStream_tbEUlRKsE_EESO_SS_ST_mSU_SX_bEUlT_E_NS1_11comp_targetILNS1_3genE10ELNS1_11target_archE1200ELNS1_3gpuE4ELNS1_3repE0EEENS1_30default_config_static_selectorELNS0_4arch9wavefront6targetE1EEEvSR_,"axG",@progbits,_ZN7rocprim17ROCPRIM_400000_NS6detail17trampoline_kernelINS0_14default_configENS1_27upper_bound_config_selectorIsN6thrust23THRUST_200600_302600_NS6detail10any_assignEEEZNS1_14transform_implILb0ES3_S9_NS7_15normal_iteratorINS6_10device_ptrIsEEEENS6_16discard_iteratorINS6_11use_defaultEEEZNS1_13binary_searchIS3_S9_SE_SE_SH_NS1_21upper_bound_search_opENS7_16wrapped_functionINS0_4lessIvEEbEEEE10hipError_tPvRmT1_T2_T3_mmT4_T5_P12ihipStream_tbEUlRKsE_EESO_SS_ST_mSU_SX_bEUlT_E_NS1_11comp_targetILNS1_3genE10ELNS1_11target_archE1200ELNS1_3gpuE4ELNS1_3repE0EEENS1_30default_config_static_selectorELNS0_4arch9wavefront6targetE1EEEvSR_,comdat
	.protected	_ZN7rocprim17ROCPRIM_400000_NS6detail17trampoline_kernelINS0_14default_configENS1_27upper_bound_config_selectorIsN6thrust23THRUST_200600_302600_NS6detail10any_assignEEEZNS1_14transform_implILb0ES3_S9_NS7_15normal_iteratorINS6_10device_ptrIsEEEENS6_16discard_iteratorINS6_11use_defaultEEEZNS1_13binary_searchIS3_S9_SE_SE_SH_NS1_21upper_bound_search_opENS7_16wrapped_functionINS0_4lessIvEEbEEEE10hipError_tPvRmT1_T2_T3_mmT4_T5_P12ihipStream_tbEUlRKsE_EESO_SS_ST_mSU_SX_bEUlT_E_NS1_11comp_targetILNS1_3genE10ELNS1_11target_archE1200ELNS1_3gpuE4ELNS1_3repE0EEENS1_30default_config_static_selectorELNS0_4arch9wavefront6targetE1EEEvSR_ ; -- Begin function _ZN7rocprim17ROCPRIM_400000_NS6detail17trampoline_kernelINS0_14default_configENS1_27upper_bound_config_selectorIsN6thrust23THRUST_200600_302600_NS6detail10any_assignEEEZNS1_14transform_implILb0ES3_S9_NS7_15normal_iteratorINS6_10device_ptrIsEEEENS6_16discard_iteratorINS6_11use_defaultEEEZNS1_13binary_searchIS3_S9_SE_SE_SH_NS1_21upper_bound_search_opENS7_16wrapped_functionINS0_4lessIvEEbEEEE10hipError_tPvRmT1_T2_T3_mmT4_T5_P12ihipStream_tbEUlRKsE_EESO_SS_ST_mSU_SX_bEUlT_E_NS1_11comp_targetILNS1_3genE10ELNS1_11target_archE1200ELNS1_3gpuE4ELNS1_3repE0EEENS1_30default_config_static_selectorELNS0_4arch9wavefront6targetE1EEEvSR_
	.globl	_ZN7rocprim17ROCPRIM_400000_NS6detail17trampoline_kernelINS0_14default_configENS1_27upper_bound_config_selectorIsN6thrust23THRUST_200600_302600_NS6detail10any_assignEEEZNS1_14transform_implILb0ES3_S9_NS7_15normal_iteratorINS6_10device_ptrIsEEEENS6_16discard_iteratorINS6_11use_defaultEEEZNS1_13binary_searchIS3_S9_SE_SE_SH_NS1_21upper_bound_search_opENS7_16wrapped_functionINS0_4lessIvEEbEEEE10hipError_tPvRmT1_T2_T3_mmT4_T5_P12ihipStream_tbEUlRKsE_EESO_SS_ST_mSU_SX_bEUlT_E_NS1_11comp_targetILNS1_3genE10ELNS1_11target_archE1200ELNS1_3gpuE4ELNS1_3repE0EEENS1_30default_config_static_selectorELNS0_4arch9wavefront6targetE1EEEvSR_
	.p2align	8
	.type	_ZN7rocprim17ROCPRIM_400000_NS6detail17trampoline_kernelINS0_14default_configENS1_27upper_bound_config_selectorIsN6thrust23THRUST_200600_302600_NS6detail10any_assignEEEZNS1_14transform_implILb0ES3_S9_NS7_15normal_iteratorINS6_10device_ptrIsEEEENS6_16discard_iteratorINS6_11use_defaultEEEZNS1_13binary_searchIS3_S9_SE_SE_SH_NS1_21upper_bound_search_opENS7_16wrapped_functionINS0_4lessIvEEbEEEE10hipError_tPvRmT1_T2_T3_mmT4_T5_P12ihipStream_tbEUlRKsE_EESO_SS_ST_mSU_SX_bEUlT_E_NS1_11comp_targetILNS1_3genE10ELNS1_11target_archE1200ELNS1_3gpuE4ELNS1_3repE0EEENS1_30default_config_static_selectorELNS0_4arch9wavefront6targetE1EEEvSR_,@function
_ZN7rocprim17ROCPRIM_400000_NS6detail17trampoline_kernelINS0_14default_configENS1_27upper_bound_config_selectorIsN6thrust23THRUST_200600_302600_NS6detail10any_assignEEEZNS1_14transform_implILb0ES3_S9_NS7_15normal_iteratorINS6_10device_ptrIsEEEENS6_16discard_iteratorINS6_11use_defaultEEEZNS1_13binary_searchIS3_S9_SE_SE_SH_NS1_21upper_bound_search_opENS7_16wrapped_functionINS0_4lessIvEEbEEEE10hipError_tPvRmT1_T2_T3_mmT4_T5_P12ihipStream_tbEUlRKsE_EESO_SS_ST_mSU_SX_bEUlT_E_NS1_11comp_targetILNS1_3genE10ELNS1_11target_archE1200ELNS1_3gpuE4ELNS1_3repE0EEENS1_30default_config_static_selectorELNS0_4arch9wavefront6targetE1EEEvSR_: ; @_ZN7rocprim17ROCPRIM_400000_NS6detail17trampoline_kernelINS0_14default_configENS1_27upper_bound_config_selectorIsN6thrust23THRUST_200600_302600_NS6detail10any_assignEEEZNS1_14transform_implILb0ES3_S9_NS7_15normal_iteratorINS6_10device_ptrIsEEEENS6_16discard_iteratorINS6_11use_defaultEEEZNS1_13binary_searchIS3_S9_SE_SE_SH_NS1_21upper_bound_search_opENS7_16wrapped_functionINS0_4lessIvEEbEEEE10hipError_tPvRmT1_T2_T3_mmT4_T5_P12ihipStream_tbEUlRKsE_EESO_SS_ST_mSU_SX_bEUlT_E_NS1_11comp_targetILNS1_3genE10ELNS1_11target_archE1200ELNS1_3gpuE4ELNS1_3repE0EEENS1_30default_config_static_selectorELNS0_4arch9wavefront6targetE1EEEvSR_
; %bb.0:
	.section	.rodata,"a",@progbits
	.p2align	6, 0x0
	.amdhsa_kernel _ZN7rocprim17ROCPRIM_400000_NS6detail17trampoline_kernelINS0_14default_configENS1_27upper_bound_config_selectorIsN6thrust23THRUST_200600_302600_NS6detail10any_assignEEEZNS1_14transform_implILb0ES3_S9_NS7_15normal_iteratorINS6_10device_ptrIsEEEENS6_16discard_iteratorINS6_11use_defaultEEEZNS1_13binary_searchIS3_S9_SE_SE_SH_NS1_21upper_bound_search_opENS7_16wrapped_functionINS0_4lessIvEEbEEEE10hipError_tPvRmT1_T2_T3_mmT4_T5_P12ihipStream_tbEUlRKsE_EESO_SS_ST_mSU_SX_bEUlT_E_NS1_11comp_targetILNS1_3genE10ELNS1_11target_archE1200ELNS1_3gpuE4ELNS1_3repE0EEENS1_30default_config_static_selectorELNS0_4arch9wavefront6targetE1EEEvSR_
		.amdhsa_group_segment_fixed_size 0
		.amdhsa_private_segment_fixed_size 0
		.amdhsa_kernarg_size 64
		.amdhsa_user_sgpr_count 6
		.amdhsa_user_sgpr_private_segment_buffer 1
		.amdhsa_user_sgpr_dispatch_ptr 0
		.amdhsa_user_sgpr_queue_ptr 0
		.amdhsa_user_sgpr_kernarg_segment_ptr 1
		.amdhsa_user_sgpr_dispatch_id 0
		.amdhsa_user_sgpr_flat_scratch_init 0
		.amdhsa_user_sgpr_kernarg_preload_length 0
		.amdhsa_user_sgpr_kernarg_preload_offset 0
		.amdhsa_user_sgpr_private_segment_size 0
		.amdhsa_uses_dynamic_stack 0
		.amdhsa_system_sgpr_private_segment_wavefront_offset 0
		.amdhsa_system_sgpr_workgroup_id_x 1
		.amdhsa_system_sgpr_workgroup_id_y 0
		.amdhsa_system_sgpr_workgroup_id_z 0
		.amdhsa_system_sgpr_workgroup_info 0
		.amdhsa_system_vgpr_workitem_id 0
		.amdhsa_next_free_vgpr 1
		.amdhsa_next_free_sgpr 0
		.amdhsa_accum_offset 4
		.amdhsa_reserve_vcc 0
		.amdhsa_reserve_flat_scratch 0
		.amdhsa_float_round_mode_32 0
		.amdhsa_float_round_mode_16_64 0
		.amdhsa_float_denorm_mode_32 3
		.amdhsa_float_denorm_mode_16_64 3
		.amdhsa_dx10_clamp 1
		.amdhsa_ieee_mode 1
		.amdhsa_fp16_overflow 0
		.amdhsa_tg_split 0
		.amdhsa_exception_fp_ieee_invalid_op 0
		.amdhsa_exception_fp_denorm_src 0
		.amdhsa_exception_fp_ieee_div_zero 0
		.amdhsa_exception_fp_ieee_overflow 0
		.amdhsa_exception_fp_ieee_underflow 0
		.amdhsa_exception_fp_ieee_inexact 0
		.amdhsa_exception_int_div_zero 0
	.end_amdhsa_kernel
	.section	.text._ZN7rocprim17ROCPRIM_400000_NS6detail17trampoline_kernelINS0_14default_configENS1_27upper_bound_config_selectorIsN6thrust23THRUST_200600_302600_NS6detail10any_assignEEEZNS1_14transform_implILb0ES3_S9_NS7_15normal_iteratorINS6_10device_ptrIsEEEENS6_16discard_iteratorINS6_11use_defaultEEEZNS1_13binary_searchIS3_S9_SE_SE_SH_NS1_21upper_bound_search_opENS7_16wrapped_functionINS0_4lessIvEEbEEEE10hipError_tPvRmT1_T2_T3_mmT4_T5_P12ihipStream_tbEUlRKsE_EESO_SS_ST_mSU_SX_bEUlT_E_NS1_11comp_targetILNS1_3genE10ELNS1_11target_archE1200ELNS1_3gpuE4ELNS1_3repE0EEENS1_30default_config_static_selectorELNS0_4arch9wavefront6targetE1EEEvSR_,"axG",@progbits,_ZN7rocprim17ROCPRIM_400000_NS6detail17trampoline_kernelINS0_14default_configENS1_27upper_bound_config_selectorIsN6thrust23THRUST_200600_302600_NS6detail10any_assignEEEZNS1_14transform_implILb0ES3_S9_NS7_15normal_iteratorINS6_10device_ptrIsEEEENS6_16discard_iteratorINS6_11use_defaultEEEZNS1_13binary_searchIS3_S9_SE_SE_SH_NS1_21upper_bound_search_opENS7_16wrapped_functionINS0_4lessIvEEbEEEE10hipError_tPvRmT1_T2_T3_mmT4_T5_P12ihipStream_tbEUlRKsE_EESO_SS_ST_mSU_SX_bEUlT_E_NS1_11comp_targetILNS1_3genE10ELNS1_11target_archE1200ELNS1_3gpuE4ELNS1_3repE0EEENS1_30default_config_static_selectorELNS0_4arch9wavefront6targetE1EEEvSR_,comdat
.Lfunc_end597:
	.size	_ZN7rocprim17ROCPRIM_400000_NS6detail17trampoline_kernelINS0_14default_configENS1_27upper_bound_config_selectorIsN6thrust23THRUST_200600_302600_NS6detail10any_assignEEEZNS1_14transform_implILb0ES3_S9_NS7_15normal_iteratorINS6_10device_ptrIsEEEENS6_16discard_iteratorINS6_11use_defaultEEEZNS1_13binary_searchIS3_S9_SE_SE_SH_NS1_21upper_bound_search_opENS7_16wrapped_functionINS0_4lessIvEEbEEEE10hipError_tPvRmT1_T2_T3_mmT4_T5_P12ihipStream_tbEUlRKsE_EESO_SS_ST_mSU_SX_bEUlT_E_NS1_11comp_targetILNS1_3genE10ELNS1_11target_archE1200ELNS1_3gpuE4ELNS1_3repE0EEENS1_30default_config_static_selectorELNS0_4arch9wavefront6targetE1EEEvSR_, .Lfunc_end597-_ZN7rocprim17ROCPRIM_400000_NS6detail17trampoline_kernelINS0_14default_configENS1_27upper_bound_config_selectorIsN6thrust23THRUST_200600_302600_NS6detail10any_assignEEEZNS1_14transform_implILb0ES3_S9_NS7_15normal_iteratorINS6_10device_ptrIsEEEENS6_16discard_iteratorINS6_11use_defaultEEEZNS1_13binary_searchIS3_S9_SE_SE_SH_NS1_21upper_bound_search_opENS7_16wrapped_functionINS0_4lessIvEEbEEEE10hipError_tPvRmT1_T2_T3_mmT4_T5_P12ihipStream_tbEUlRKsE_EESO_SS_ST_mSU_SX_bEUlT_E_NS1_11comp_targetILNS1_3genE10ELNS1_11target_archE1200ELNS1_3gpuE4ELNS1_3repE0EEENS1_30default_config_static_selectorELNS0_4arch9wavefront6targetE1EEEvSR_
                                        ; -- End function
	.section	.AMDGPU.csdata,"",@progbits
; Kernel info:
; codeLenInByte = 0
; NumSgprs: 4
; NumVgprs: 0
; NumAgprs: 0
; TotalNumVgprs: 0
; ScratchSize: 0
; MemoryBound: 0
; FloatMode: 240
; IeeeMode: 1
; LDSByteSize: 0 bytes/workgroup (compile time only)
; SGPRBlocks: 0
; VGPRBlocks: 0
; NumSGPRsForWavesPerEU: 4
; NumVGPRsForWavesPerEU: 1
; AccumOffset: 4
; Occupancy: 8
; WaveLimiterHint : 0
; COMPUTE_PGM_RSRC2:SCRATCH_EN: 0
; COMPUTE_PGM_RSRC2:USER_SGPR: 6
; COMPUTE_PGM_RSRC2:TRAP_HANDLER: 0
; COMPUTE_PGM_RSRC2:TGID_X_EN: 1
; COMPUTE_PGM_RSRC2:TGID_Y_EN: 0
; COMPUTE_PGM_RSRC2:TGID_Z_EN: 0
; COMPUTE_PGM_RSRC2:TIDIG_COMP_CNT: 0
; COMPUTE_PGM_RSRC3_GFX90A:ACCUM_OFFSET: 0
; COMPUTE_PGM_RSRC3_GFX90A:TG_SPLIT: 0
	.section	.text._ZN7rocprim17ROCPRIM_400000_NS6detail17trampoline_kernelINS0_14default_configENS1_27upper_bound_config_selectorIsN6thrust23THRUST_200600_302600_NS6detail10any_assignEEEZNS1_14transform_implILb0ES3_S9_NS7_15normal_iteratorINS6_10device_ptrIsEEEENS6_16discard_iteratorINS6_11use_defaultEEEZNS1_13binary_searchIS3_S9_SE_SE_SH_NS1_21upper_bound_search_opENS7_16wrapped_functionINS0_4lessIvEEbEEEE10hipError_tPvRmT1_T2_T3_mmT4_T5_P12ihipStream_tbEUlRKsE_EESO_SS_ST_mSU_SX_bEUlT_E_NS1_11comp_targetILNS1_3genE9ELNS1_11target_archE1100ELNS1_3gpuE3ELNS1_3repE0EEENS1_30default_config_static_selectorELNS0_4arch9wavefront6targetE1EEEvSR_,"axG",@progbits,_ZN7rocprim17ROCPRIM_400000_NS6detail17trampoline_kernelINS0_14default_configENS1_27upper_bound_config_selectorIsN6thrust23THRUST_200600_302600_NS6detail10any_assignEEEZNS1_14transform_implILb0ES3_S9_NS7_15normal_iteratorINS6_10device_ptrIsEEEENS6_16discard_iteratorINS6_11use_defaultEEEZNS1_13binary_searchIS3_S9_SE_SE_SH_NS1_21upper_bound_search_opENS7_16wrapped_functionINS0_4lessIvEEbEEEE10hipError_tPvRmT1_T2_T3_mmT4_T5_P12ihipStream_tbEUlRKsE_EESO_SS_ST_mSU_SX_bEUlT_E_NS1_11comp_targetILNS1_3genE9ELNS1_11target_archE1100ELNS1_3gpuE3ELNS1_3repE0EEENS1_30default_config_static_selectorELNS0_4arch9wavefront6targetE1EEEvSR_,comdat
	.protected	_ZN7rocprim17ROCPRIM_400000_NS6detail17trampoline_kernelINS0_14default_configENS1_27upper_bound_config_selectorIsN6thrust23THRUST_200600_302600_NS6detail10any_assignEEEZNS1_14transform_implILb0ES3_S9_NS7_15normal_iteratorINS6_10device_ptrIsEEEENS6_16discard_iteratorINS6_11use_defaultEEEZNS1_13binary_searchIS3_S9_SE_SE_SH_NS1_21upper_bound_search_opENS7_16wrapped_functionINS0_4lessIvEEbEEEE10hipError_tPvRmT1_T2_T3_mmT4_T5_P12ihipStream_tbEUlRKsE_EESO_SS_ST_mSU_SX_bEUlT_E_NS1_11comp_targetILNS1_3genE9ELNS1_11target_archE1100ELNS1_3gpuE3ELNS1_3repE0EEENS1_30default_config_static_selectorELNS0_4arch9wavefront6targetE1EEEvSR_ ; -- Begin function _ZN7rocprim17ROCPRIM_400000_NS6detail17trampoline_kernelINS0_14default_configENS1_27upper_bound_config_selectorIsN6thrust23THRUST_200600_302600_NS6detail10any_assignEEEZNS1_14transform_implILb0ES3_S9_NS7_15normal_iteratorINS6_10device_ptrIsEEEENS6_16discard_iteratorINS6_11use_defaultEEEZNS1_13binary_searchIS3_S9_SE_SE_SH_NS1_21upper_bound_search_opENS7_16wrapped_functionINS0_4lessIvEEbEEEE10hipError_tPvRmT1_T2_T3_mmT4_T5_P12ihipStream_tbEUlRKsE_EESO_SS_ST_mSU_SX_bEUlT_E_NS1_11comp_targetILNS1_3genE9ELNS1_11target_archE1100ELNS1_3gpuE3ELNS1_3repE0EEENS1_30default_config_static_selectorELNS0_4arch9wavefront6targetE1EEEvSR_
	.globl	_ZN7rocprim17ROCPRIM_400000_NS6detail17trampoline_kernelINS0_14default_configENS1_27upper_bound_config_selectorIsN6thrust23THRUST_200600_302600_NS6detail10any_assignEEEZNS1_14transform_implILb0ES3_S9_NS7_15normal_iteratorINS6_10device_ptrIsEEEENS6_16discard_iteratorINS6_11use_defaultEEEZNS1_13binary_searchIS3_S9_SE_SE_SH_NS1_21upper_bound_search_opENS7_16wrapped_functionINS0_4lessIvEEbEEEE10hipError_tPvRmT1_T2_T3_mmT4_T5_P12ihipStream_tbEUlRKsE_EESO_SS_ST_mSU_SX_bEUlT_E_NS1_11comp_targetILNS1_3genE9ELNS1_11target_archE1100ELNS1_3gpuE3ELNS1_3repE0EEENS1_30default_config_static_selectorELNS0_4arch9wavefront6targetE1EEEvSR_
	.p2align	8
	.type	_ZN7rocprim17ROCPRIM_400000_NS6detail17trampoline_kernelINS0_14default_configENS1_27upper_bound_config_selectorIsN6thrust23THRUST_200600_302600_NS6detail10any_assignEEEZNS1_14transform_implILb0ES3_S9_NS7_15normal_iteratorINS6_10device_ptrIsEEEENS6_16discard_iteratorINS6_11use_defaultEEEZNS1_13binary_searchIS3_S9_SE_SE_SH_NS1_21upper_bound_search_opENS7_16wrapped_functionINS0_4lessIvEEbEEEE10hipError_tPvRmT1_T2_T3_mmT4_T5_P12ihipStream_tbEUlRKsE_EESO_SS_ST_mSU_SX_bEUlT_E_NS1_11comp_targetILNS1_3genE9ELNS1_11target_archE1100ELNS1_3gpuE3ELNS1_3repE0EEENS1_30default_config_static_selectorELNS0_4arch9wavefront6targetE1EEEvSR_,@function
_ZN7rocprim17ROCPRIM_400000_NS6detail17trampoline_kernelINS0_14default_configENS1_27upper_bound_config_selectorIsN6thrust23THRUST_200600_302600_NS6detail10any_assignEEEZNS1_14transform_implILb0ES3_S9_NS7_15normal_iteratorINS6_10device_ptrIsEEEENS6_16discard_iteratorINS6_11use_defaultEEEZNS1_13binary_searchIS3_S9_SE_SE_SH_NS1_21upper_bound_search_opENS7_16wrapped_functionINS0_4lessIvEEbEEEE10hipError_tPvRmT1_T2_T3_mmT4_T5_P12ihipStream_tbEUlRKsE_EESO_SS_ST_mSU_SX_bEUlT_E_NS1_11comp_targetILNS1_3genE9ELNS1_11target_archE1100ELNS1_3gpuE3ELNS1_3repE0EEENS1_30default_config_static_selectorELNS0_4arch9wavefront6targetE1EEEvSR_: ; @_ZN7rocprim17ROCPRIM_400000_NS6detail17trampoline_kernelINS0_14default_configENS1_27upper_bound_config_selectorIsN6thrust23THRUST_200600_302600_NS6detail10any_assignEEEZNS1_14transform_implILb0ES3_S9_NS7_15normal_iteratorINS6_10device_ptrIsEEEENS6_16discard_iteratorINS6_11use_defaultEEEZNS1_13binary_searchIS3_S9_SE_SE_SH_NS1_21upper_bound_search_opENS7_16wrapped_functionINS0_4lessIvEEbEEEE10hipError_tPvRmT1_T2_T3_mmT4_T5_P12ihipStream_tbEUlRKsE_EESO_SS_ST_mSU_SX_bEUlT_E_NS1_11comp_targetILNS1_3genE9ELNS1_11target_archE1100ELNS1_3gpuE3ELNS1_3repE0EEENS1_30default_config_static_selectorELNS0_4arch9wavefront6targetE1EEEvSR_
; %bb.0:
	.section	.rodata,"a",@progbits
	.p2align	6, 0x0
	.amdhsa_kernel _ZN7rocprim17ROCPRIM_400000_NS6detail17trampoline_kernelINS0_14default_configENS1_27upper_bound_config_selectorIsN6thrust23THRUST_200600_302600_NS6detail10any_assignEEEZNS1_14transform_implILb0ES3_S9_NS7_15normal_iteratorINS6_10device_ptrIsEEEENS6_16discard_iteratorINS6_11use_defaultEEEZNS1_13binary_searchIS3_S9_SE_SE_SH_NS1_21upper_bound_search_opENS7_16wrapped_functionINS0_4lessIvEEbEEEE10hipError_tPvRmT1_T2_T3_mmT4_T5_P12ihipStream_tbEUlRKsE_EESO_SS_ST_mSU_SX_bEUlT_E_NS1_11comp_targetILNS1_3genE9ELNS1_11target_archE1100ELNS1_3gpuE3ELNS1_3repE0EEENS1_30default_config_static_selectorELNS0_4arch9wavefront6targetE1EEEvSR_
		.amdhsa_group_segment_fixed_size 0
		.amdhsa_private_segment_fixed_size 0
		.amdhsa_kernarg_size 64
		.amdhsa_user_sgpr_count 6
		.amdhsa_user_sgpr_private_segment_buffer 1
		.amdhsa_user_sgpr_dispatch_ptr 0
		.amdhsa_user_sgpr_queue_ptr 0
		.amdhsa_user_sgpr_kernarg_segment_ptr 1
		.amdhsa_user_sgpr_dispatch_id 0
		.amdhsa_user_sgpr_flat_scratch_init 0
		.amdhsa_user_sgpr_kernarg_preload_length 0
		.amdhsa_user_sgpr_kernarg_preload_offset 0
		.amdhsa_user_sgpr_private_segment_size 0
		.amdhsa_uses_dynamic_stack 0
		.amdhsa_system_sgpr_private_segment_wavefront_offset 0
		.amdhsa_system_sgpr_workgroup_id_x 1
		.amdhsa_system_sgpr_workgroup_id_y 0
		.amdhsa_system_sgpr_workgroup_id_z 0
		.amdhsa_system_sgpr_workgroup_info 0
		.amdhsa_system_vgpr_workitem_id 0
		.amdhsa_next_free_vgpr 1
		.amdhsa_next_free_sgpr 0
		.amdhsa_accum_offset 4
		.amdhsa_reserve_vcc 0
		.amdhsa_reserve_flat_scratch 0
		.amdhsa_float_round_mode_32 0
		.amdhsa_float_round_mode_16_64 0
		.amdhsa_float_denorm_mode_32 3
		.amdhsa_float_denorm_mode_16_64 3
		.amdhsa_dx10_clamp 1
		.amdhsa_ieee_mode 1
		.amdhsa_fp16_overflow 0
		.amdhsa_tg_split 0
		.amdhsa_exception_fp_ieee_invalid_op 0
		.amdhsa_exception_fp_denorm_src 0
		.amdhsa_exception_fp_ieee_div_zero 0
		.amdhsa_exception_fp_ieee_overflow 0
		.amdhsa_exception_fp_ieee_underflow 0
		.amdhsa_exception_fp_ieee_inexact 0
		.amdhsa_exception_int_div_zero 0
	.end_amdhsa_kernel
	.section	.text._ZN7rocprim17ROCPRIM_400000_NS6detail17trampoline_kernelINS0_14default_configENS1_27upper_bound_config_selectorIsN6thrust23THRUST_200600_302600_NS6detail10any_assignEEEZNS1_14transform_implILb0ES3_S9_NS7_15normal_iteratorINS6_10device_ptrIsEEEENS6_16discard_iteratorINS6_11use_defaultEEEZNS1_13binary_searchIS3_S9_SE_SE_SH_NS1_21upper_bound_search_opENS7_16wrapped_functionINS0_4lessIvEEbEEEE10hipError_tPvRmT1_T2_T3_mmT4_T5_P12ihipStream_tbEUlRKsE_EESO_SS_ST_mSU_SX_bEUlT_E_NS1_11comp_targetILNS1_3genE9ELNS1_11target_archE1100ELNS1_3gpuE3ELNS1_3repE0EEENS1_30default_config_static_selectorELNS0_4arch9wavefront6targetE1EEEvSR_,"axG",@progbits,_ZN7rocprim17ROCPRIM_400000_NS6detail17trampoline_kernelINS0_14default_configENS1_27upper_bound_config_selectorIsN6thrust23THRUST_200600_302600_NS6detail10any_assignEEEZNS1_14transform_implILb0ES3_S9_NS7_15normal_iteratorINS6_10device_ptrIsEEEENS6_16discard_iteratorINS6_11use_defaultEEEZNS1_13binary_searchIS3_S9_SE_SE_SH_NS1_21upper_bound_search_opENS7_16wrapped_functionINS0_4lessIvEEbEEEE10hipError_tPvRmT1_T2_T3_mmT4_T5_P12ihipStream_tbEUlRKsE_EESO_SS_ST_mSU_SX_bEUlT_E_NS1_11comp_targetILNS1_3genE9ELNS1_11target_archE1100ELNS1_3gpuE3ELNS1_3repE0EEENS1_30default_config_static_selectorELNS0_4arch9wavefront6targetE1EEEvSR_,comdat
.Lfunc_end598:
	.size	_ZN7rocprim17ROCPRIM_400000_NS6detail17trampoline_kernelINS0_14default_configENS1_27upper_bound_config_selectorIsN6thrust23THRUST_200600_302600_NS6detail10any_assignEEEZNS1_14transform_implILb0ES3_S9_NS7_15normal_iteratorINS6_10device_ptrIsEEEENS6_16discard_iteratorINS6_11use_defaultEEEZNS1_13binary_searchIS3_S9_SE_SE_SH_NS1_21upper_bound_search_opENS7_16wrapped_functionINS0_4lessIvEEbEEEE10hipError_tPvRmT1_T2_T3_mmT4_T5_P12ihipStream_tbEUlRKsE_EESO_SS_ST_mSU_SX_bEUlT_E_NS1_11comp_targetILNS1_3genE9ELNS1_11target_archE1100ELNS1_3gpuE3ELNS1_3repE0EEENS1_30default_config_static_selectorELNS0_4arch9wavefront6targetE1EEEvSR_, .Lfunc_end598-_ZN7rocprim17ROCPRIM_400000_NS6detail17trampoline_kernelINS0_14default_configENS1_27upper_bound_config_selectorIsN6thrust23THRUST_200600_302600_NS6detail10any_assignEEEZNS1_14transform_implILb0ES3_S9_NS7_15normal_iteratorINS6_10device_ptrIsEEEENS6_16discard_iteratorINS6_11use_defaultEEEZNS1_13binary_searchIS3_S9_SE_SE_SH_NS1_21upper_bound_search_opENS7_16wrapped_functionINS0_4lessIvEEbEEEE10hipError_tPvRmT1_T2_T3_mmT4_T5_P12ihipStream_tbEUlRKsE_EESO_SS_ST_mSU_SX_bEUlT_E_NS1_11comp_targetILNS1_3genE9ELNS1_11target_archE1100ELNS1_3gpuE3ELNS1_3repE0EEENS1_30default_config_static_selectorELNS0_4arch9wavefront6targetE1EEEvSR_
                                        ; -- End function
	.section	.AMDGPU.csdata,"",@progbits
; Kernel info:
; codeLenInByte = 0
; NumSgprs: 4
; NumVgprs: 0
; NumAgprs: 0
; TotalNumVgprs: 0
; ScratchSize: 0
; MemoryBound: 0
; FloatMode: 240
; IeeeMode: 1
; LDSByteSize: 0 bytes/workgroup (compile time only)
; SGPRBlocks: 0
; VGPRBlocks: 0
; NumSGPRsForWavesPerEU: 4
; NumVGPRsForWavesPerEU: 1
; AccumOffset: 4
; Occupancy: 8
; WaveLimiterHint : 0
; COMPUTE_PGM_RSRC2:SCRATCH_EN: 0
; COMPUTE_PGM_RSRC2:USER_SGPR: 6
; COMPUTE_PGM_RSRC2:TRAP_HANDLER: 0
; COMPUTE_PGM_RSRC2:TGID_X_EN: 1
; COMPUTE_PGM_RSRC2:TGID_Y_EN: 0
; COMPUTE_PGM_RSRC2:TGID_Z_EN: 0
; COMPUTE_PGM_RSRC2:TIDIG_COMP_CNT: 0
; COMPUTE_PGM_RSRC3_GFX90A:ACCUM_OFFSET: 0
; COMPUTE_PGM_RSRC3_GFX90A:TG_SPLIT: 0
	.section	.text._ZN7rocprim17ROCPRIM_400000_NS6detail17trampoline_kernelINS0_14default_configENS1_27upper_bound_config_selectorIsN6thrust23THRUST_200600_302600_NS6detail10any_assignEEEZNS1_14transform_implILb0ES3_S9_NS7_15normal_iteratorINS6_10device_ptrIsEEEENS6_16discard_iteratorINS6_11use_defaultEEEZNS1_13binary_searchIS3_S9_SE_SE_SH_NS1_21upper_bound_search_opENS7_16wrapped_functionINS0_4lessIvEEbEEEE10hipError_tPvRmT1_T2_T3_mmT4_T5_P12ihipStream_tbEUlRKsE_EESO_SS_ST_mSU_SX_bEUlT_E_NS1_11comp_targetILNS1_3genE8ELNS1_11target_archE1030ELNS1_3gpuE2ELNS1_3repE0EEENS1_30default_config_static_selectorELNS0_4arch9wavefront6targetE1EEEvSR_,"axG",@progbits,_ZN7rocprim17ROCPRIM_400000_NS6detail17trampoline_kernelINS0_14default_configENS1_27upper_bound_config_selectorIsN6thrust23THRUST_200600_302600_NS6detail10any_assignEEEZNS1_14transform_implILb0ES3_S9_NS7_15normal_iteratorINS6_10device_ptrIsEEEENS6_16discard_iteratorINS6_11use_defaultEEEZNS1_13binary_searchIS3_S9_SE_SE_SH_NS1_21upper_bound_search_opENS7_16wrapped_functionINS0_4lessIvEEbEEEE10hipError_tPvRmT1_T2_T3_mmT4_T5_P12ihipStream_tbEUlRKsE_EESO_SS_ST_mSU_SX_bEUlT_E_NS1_11comp_targetILNS1_3genE8ELNS1_11target_archE1030ELNS1_3gpuE2ELNS1_3repE0EEENS1_30default_config_static_selectorELNS0_4arch9wavefront6targetE1EEEvSR_,comdat
	.protected	_ZN7rocprim17ROCPRIM_400000_NS6detail17trampoline_kernelINS0_14default_configENS1_27upper_bound_config_selectorIsN6thrust23THRUST_200600_302600_NS6detail10any_assignEEEZNS1_14transform_implILb0ES3_S9_NS7_15normal_iteratorINS6_10device_ptrIsEEEENS6_16discard_iteratorINS6_11use_defaultEEEZNS1_13binary_searchIS3_S9_SE_SE_SH_NS1_21upper_bound_search_opENS7_16wrapped_functionINS0_4lessIvEEbEEEE10hipError_tPvRmT1_T2_T3_mmT4_T5_P12ihipStream_tbEUlRKsE_EESO_SS_ST_mSU_SX_bEUlT_E_NS1_11comp_targetILNS1_3genE8ELNS1_11target_archE1030ELNS1_3gpuE2ELNS1_3repE0EEENS1_30default_config_static_selectorELNS0_4arch9wavefront6targetE1EEEvSR_ ; -- Begin function _ZN7rocprim17ROCPRIM_400000_NS6detail17trampoline_kernelINS0_14default_configENS1_27upper_bound_config_selectorIsN6thrust23THRUST_200600_302600_NS6detail10any_assignEEEZNS1_14transform_implILb0ES3_S9_NS7_15normal_iteratorINS6_10device_ptrIsEEEENS6_16discard_iteratorINS6_11use_defaultEEEZNS1_13binary_searchIS3_S9_SE_SE_SH_NS1_21upper_bound_search_opENS7_16wrapped_functionINS0_4lessIvEEbEEEE10hipError_tPvRmT1_T2_T3_mmT4_T5_P12ihipStream_tbEUlRKsE_EESO_SS_ST_mSU_SX_bEUlT_E_NS1_11comp_targetILNS1_3genE8ELNS1_11target_archE1030ELNS1_3gpuE2ELNS1_3repE0EEENS1_30default_config_static_selectorELNS0_4arch9wavefront6targetE1EEEvSR_
	.globl	_ZN7rocprim17ROCPRIM_400000_NS6detail17trampoline_kernelINS0_14default_configENS1_27upper_bound_config_selectorIsN6thrust23THRUST_200600_302600_NS6detail10any_assignEEEZNS1_14transform_implILb0ES3_S9_NS7_15normal_iteratorINS6_10device_ptrIsEEEENS6_16discard_iteratorINS6_11use_defaultEEEZNS1_13binary_searchIS3_S9_SE_SE_SH_NS1_21upper_bound_search_opENS7_16wrapped_functionINS0_4lessIvEEbEEEE10hipError_tPvRmT1_T2_T3_mmT4_T5_P12ihipStream_tbEUlRKsE_EESO_SS_ST_mSU_SX_bEUlT_E_NS1_11comp_targetILNS1_3genE8ELNS1_11target_archE1030ELNS1_3gpuE2ELNS1_3repE0EEENS1_30default_config_static_selectorELNS0_4arch9wavefront6targetE1EEEvSR_
	.p2align	8
	.type	_ZN7rocprim17ROCPRIM_400000_NS6detail17trampoline_kernelINS0_14default_configENS1_27upper_bound_config_selectorIsN6thrust23THRUST_200600_302600_NS6detail10any_assignEEEZNS1_14transform_implILb0ES3_S9_NS7_15normal_iteratorINS6_10device_ptrIsEEEENS6_16discard_iteratorINS6_11use_defaultEEEZNS1_13binary_searchIS3_S9_SE_SE_SH_NS1_21upper_bound_search_opENS7_16wrapped_functionINS0_4lessIvEEbEEEE10hipError_tPvRmT1_T2_T3_mmT4_T5_P12ihipStream_tbEUlRKsE_EESO_SS_ST_mSU_SX_bEUlT_E_NS1_11comp_targetILNS1_3genE8ELNS1_11target_archE1030ELNS1_3gpuE2ELNS1_3repE0EEENS1_30default_config_static_selectorELNS0_4arch9wavefront6targetE1EEEvSR_,@function
_ZN7rocprim17ROCPRIM_400000_NS6detail17trampoline_kernelINS0_14default_configENS1_27upper_bound_config_selectorIsN6thrust23THRUST_200600_302600_NS6detail10any_assignEEEZNS1_14transform_implILb0ES3_S9_NS7_15normal_iteratorINS6_10device_ptrIsEEEENS6_16discard_iteratorINS6_11use_defaultEEEZNS1_13binary_searchIS3_S9_SE_SE_SH_NS1_21upper_bound_search_opENS7_16wrapped_functionINS0_4lessIvEEbEEEE10hipError_tPvRmT1_T2_T3_mmT4_T5_P12ihipStream_tbEUlRKsE_EESO_SS_ST_mSU_SX_bEUlT_E_NS1_11comp_targetILNS1_3genE8ELNS1_11target_archE1030ELNS1_3gpuE2ELNS1_3repE0EEENS1_30default_config_static_selectorELNS0_4arch9wavefront6targetE1EEEvSR_: ; @_ZN7rocprim17ROCPRIM_400000_NS6detail17trampoline_kernelINS0_14default_configENS1_27upper_bound_config_selectorIsN6thrust23THRUST_200600_302600_NS6detail10any_assignEEEZNS1_14transform_implILb0ES3_S9_NS7_15normal_iteratorINS6_10device_ptrIsEEEENS6_16discard_iteratorINS6_11use_defaultEEEZNS1_13binary_searchIS3_S9_SE_SE_SH_NS1_21upper_bound_search_opENS7_16wrapped_functionINS0_4lessIvEEbEEEE10hipError_tPvRmT1_T2_T3_mmT4_T5_P12ihipStream_tbEUlRKsE_EESO_SS_ST_mSU_SX_bEUlT_E_NS1_11comp_targetILNS1_3genE8ELNS1_11target_archE1030ELNS1_3gpuE2ELNS1_3repE0EEENS1_30default_config_static_selectorELNS0_4arch9wavefront6targetE1EEEvSR_
; %bb.0:
	.section	.rodata,"a",@progbits
	.p2align	6, 0x0
	.amdhsa_kernel _ZN7rocprim17ROCPRIM_400000_NS6detail17trampoline_kernelINS0_14default_configENS1_27upper_bound_config_selectorIsN6thrust23THRUST_200600_302600_NS6detail10any_assignEEEZNS1_14transform_implILb0ES3_S9_NS7_15normal_iteratorINS6_10device_ptrIsEEEENS6_16discard_iteratorINS6_11use_defaultEEEZNS1_13binary_searchIS3_S9_SE_SE_SH_NS1_21upper_bound_search_opENS7_16wrapped_functionINS0_4lessIvEEbEEEE10hipError_tPvRmT1_T2_T3_mmT4_T5_P12ihipStream_tbEUlRKsE_EESO_SS_ST_mSU_SX_bEUlT_E_NS1_11comp_targetILNS1_3genE8ELNS1_11target_archE1030ELNS1_3gpuE2ELNS1_3repE0EEENS1_30default_config_static_selectorELNS0_4arch9wavefront6targetE1EEEvSR_
		.amdhsa_group_segment_fixed_size 0
		.amdhsa_private_segment_fixed_size 0
		.amdhsa_kernarg_size 64
		.amdhsa_user_sgpr_count 6
		.amdhsa_user_sgpr_private_segment_buffer 1
		.amdhsa_user_sgpr_dispatch_ptr 0
		.amdhsa_user_sgpr_queue_ptr 0
		.amdhsa_user_sgpr_kernarg_segment_ptr 1
		.amdhsa_user_sgpr_dispatch_id 0
		.amdhsa_user_sgpr_flat_scratch_init 0
		.amdhsa_user_sgpr_kernarg_preload_length 0
		.amdhsa_user_sgpr_kernarg_preload_offset 0
		.amdhsa_user_sgpr_private_segment_size 0
		.amdhsa_uses_dynamic_stack 0
		.amdhsa_system_sgpr_private_segment_wavefront_offset 0
		.amdhsa_system_sgpr_workgroup_id_x 1
		.amdhsa_system_sgpr_workgroup_id_y 0
		.amdhsa_system_sgpr_workgroup_id_z 0
		.amdhsa_system_sgpr_workgroup_info 0
		.amdhsa_system_vgpr_workitem_id 0
		.amdhsa_next_free_vgpr 1
		.amdhsa_next_free_sgpr 0
		.amdhsa_accum_offset 4
		.amdhsa_reserve_vcc 0
		.amdhsa_reserve_flat_scratch 0
		.amdhsa_float_round_mode_32 0
		.amdhsa_float_round_mode_16_64 0
		.amdhsa_float_denorm_mode_32 3
		.amdhsa_float_denorm_mode_16_64 3
		.amdhsa_dx10_clamp 1
		.amdhsa_ieee_mode 1
		.amdhsa_fp16_overflow 0
		.amdhsa_tg_split 0
		.amdhsa_exception_fp_ieee_invalid_op 0
		.amdhsa_exception_fp_denorm_src 0
		.amdhsa_exception_fp_ieee_div_zero 0
		.amdhsa_exception_fp_ieee_overflow 0
		.amdhsa_exception_fp_ieee_underflow 0
		.amdhsa_exception_fp_ieee_inexact 0
		.amdhsa_exception_int_div_zero 0
	.end_amdhsa_kernel
	.section	.text._ZN7rocprim17ROCPRIM_400000_NS6detail17trampoline_kernelINS0_14default_configENS1_27upper_bound_config_selectorIsN6thrust23THRUST_200600_302600_NS6detail10any_assignEEEZNS1_14transform_implILb0ES3_S9_NS7_15normal_iteratorINS6_10device_ptrIsEEEENS6_16discard_iteratorINS6_11use_defaultEEEZNS1_13binary_searchIS3_S9_SE_SE_SH_NS1_21upper_bound_search_opENS7_16wrapped_functionINS0_4lessIvEEbEEEE10hipError_tPvRmT1_T2_T3_mmT4_T5_P12ihipStream_tbEUlRKsE_EESO_SS_ST_mSU_SX_bEUlT_E_NS1_11comp_targetILNS1_3genE8ELNS1_11target_archE1030ELNS1_3gpuE2ELNS1_3repE0EEENS1_30default_config_static_selectorELNS0_4arch9wavefront6targetE1EEEvSR_,"axG",@progbits,_ZN7rocprim17ROCPRIM_400000_NS6detail17trampoline_kernelINS0_14default_configENS1_27upper_bound_config_selectorIsN6thrust23THRUST_200600_302600_NS6detail10any_assignEEEZNS1_14transform_implILb0ES3_S9_NS7_15normal_iteratorINS6_10device_ptrIsEEEENS6_16discard_iteratorINS6_11use_defaultEEEZNS1_13binary_searchIS3_S9_SE_SE_SH_NS1_21upper_bound_search_opENS7_16wrapped_functionINS0_4lessIvEEbEEEE10hipError_tPvRmT1_T2_T3_mmT4_T5_P12ihipStream_tbEUlRKsE_EESO_SS_ST_mSU_SX_bEUlT_E_NS1_11comp_targetILNS1_3genE8ELNS1_11target_archE1030ELNS1_3gpuE2ELNS1_3repE0EEENS1_30default_config_static_selectorELNS0_4arch9wavefront6targetE1EEEvSR_,comdat
.Lfunc_end599:
	.size	_ZN7rocprim17ROCPRIM_400000_NS6detail17trampoline_kernelINS0_14default_configENS1_27upper_bound_config_selectorIsN6thrust23THRUST_200600_302600_NS6detail10any_assignEEEZNS1_14transform_implILb0ES3_S9_NS7_15normal_iteratorINS6_10device_ptrIsEEEENS6_16discard_iteratorINS6_11use_defaultEEEZNS1_13binary_searchIS3_S9_SE_SE_SH_NS1_21upper_bound_search_opENS7_16wrapped_functionINS0_4lessIvEEbEEEE10hipError_tPvRmT1_T2_T3_mmT4_T5_P12ihipStream_tbEUlRKsE_EESO_SS_ST_mSU_SX_bEUlT_E_NS1_11comp_targetILNS1_3genE8ELNS1_11target_archE1030ELNS1_3gpuE2ELNS1_3repE0EEENS1_30default_config_static_selectorELNS0_4arch9wavefront6targetE1EEEvSR_, .Lfunc_end599-_ZN7rocprim17ROCPRIM_400000_NS6detail17trampoline_kernelINS0_14default_configENS1_27upper_bound_config_selectorIsN6thrust23THRUST_200600_302600_NS6detail10any_assignEEEZNS1_14transform_implILb0ES3_S9_NS7_15normal_iteratorINS6_10device_ptrIsEEEENS6_16discard_iteratorINS6_11use_defaultEEEZNS1_13binary_searchIS3_S9_SE_SE_SH_NS1_21upper_bound_search_opENS7_16wrapped_functionINS0_4lessIvEEbEEEE10hipError_tPvRmT1_T2_T3_mmT4_T5_P12ihipStream_tbEUlRKsE_EESO_SS_ST_mSU_SX_bEUlT_E_NS1_11comp_targetILNS1_3genE8ELNS1_11target_archE1030ELNS1_3gpuE2ELNS1_3repE0EEENS1_30default_config_static_selectorELNS0_4arch9wavefront6targetE1EEEvSR_
                                        ; -- End function
	.section	.AMDGPU.csdata,"",@progbits
; Kernel info:
; codeLenInByte = 0
; NumSgprs: 4
; NumVgprs: 0
; NumAgprs: 0
; TotalNumVgprs: 0
; ScratchSize: 0
; MemoryBound: 0
; FloatMode: 240
; IeeeMode: 1
; LDSByteSize: 0 bytes/workgroup (compile time only)
; SGPRBlocks: 0
; VGPRBlocks: 0
; NumSGPRsForWavesPerEU: 4
; NumVGPRsForWavesPerEU: 1
; AccumOffset: 4
; Occupancy: 8
; WaveLimiterHint : 0
; COMPUTE_PGM_RSRC2:SCRATCH_EN: 0
; COMPUTE_PGM_RSRC2:USER_SGPR: 6
; COMPUTE_PGM_RSRC2:TRAP_HANDLER: 0
; COMPUTE_PGM_RSRC2:TGID_X_EN: 1
; COMPUTE_PGM_RSRC2:TGID_Y_EN: 0
; COMPUTE_PGM_RSRC2:TGID_Z_EN: 0
; COMPUTE_PGM_RSRC2:TIDIG_COMP_CNT: 0
; COMPUTE_PGM_RSRC3_GFX90A:ACCUM_OFFSET: 0
; COMPUTE_PGM_RSRC3_GFX90A:TG_SPLIT: 0
	.section	.text._ZN7rocprim17ROCPRIM_400000_NS6detail17trampoline_kernelINS0_14default_configENS1_29binary_search_config_selectorIxN6thrust23THRUST_200600_302600_NS6detail10any_assignEEEZNS1_14transform_implILb0ES3_S9_NS7_15normal_iteratorINS6_10device_ptrIxEEEENS6_16discard_iteratorINS6_11use_defaultEEEZNS1_13binary_searchIS3_S9_SE_SE_SH_NS1_16binary_search_opENS7_16wrapped_functionINS0_4lessIvEEbEEEE10hipError_tPvRmT1_T2_T3_mmT4_T5_P12ihipStream_tbEUlRKxE_EESO_SS_ST_mSU_SX_bEUlT_E_NS1_11comp_targetILNS1_3genE0ELNS1_11target_archE4294967295ELNS1_3gpuE0ELNS1_3repE0EEENS1_30default_config_static_selectorELNS0_4arch9wavefront6targetE1EEEvSR_,"axG",@progbits,_ZN7rocprim17ROCPRIM_400000_NS6detail17trampoline_kernelINS0_14default_configENS1_29binary_search_config_selectorIxN6thrust23THRUST_200600_302600_NS6detail10any_assignEEEZNS1_14transform_implILb0ES3_S9_NS7_15normal_iteratorINS6_10device_ptrIxEEEENS6_16discard_iteratorINS6_11use_defaultEEEZNS1_13binary_searchIS3_S9_SE_SE_SH_NS1_16binary_search_opENS7_16wrapped_functionINS0_4lessIvEEbEEEE10hipError_tPvRmT1_T2_T3_mmT4_T5_P12ihipStream_tbEUlRKxE_EESO_SS_ST_mSU_SX_bEUlT_E_NS1_11comp_targetILNS1_3genE0ELNS1_11target_archE4294967295ELNS1_3gpuE0ELNS1_3repE0EEENS1_30default_config_static_selectorELNS0_4arch9wavefront6targetE1EEEvSR_,comdat
	.protected	_ZN7rocprim17ROCPRIM_400000_NS6detail17trampoline_kernelINS0_14default_configENS1_29binary_search_config_selectorIxN6thrust23THRUST_200600_302600_NS6detail10any_assignEEEZNS1_14transform_implILb0ES3_S9_NS7_15normal_iteratorINS6_10device_ptrIxEEEENS6_16discard_iteratorINS6_11use_defaultEEEZNS1_13binary_searchIS3_S9_SE_SE_SH_NS1_16binary_search_opENS7_16wrapped_functionINS0_4lessIvEEbEEEE10hipError_tPvRmT1_T2_T3_mmT4_T5_P12ihipStream_tbEUlRKxE_EESO_SS_ST_mSU_SX_bEUlT_E_NS1_11comp_targetILNS1_3genE0ELNS1_11target_archE4294967295ELNS1_3gpuE0ELNS1_3repE0EEENS1_30default_config_static_selectorELNS0_4arch9wavefront6targetE1EEEvSR_ ; -- Begin function _ZN7rocprim17ROCPRIM_400000_NS6detail17trampoline_kernelINS0_14default_configENS1_29binary_search_config_selectorIxN6thrust23THRUST_200600_302600_NS6detail10any_assignEEEZNS1_14transform_implILb0ES3_S9_NS7_15normal_iteratorINS6_10device_ptrIxEEEENS6_16discard_iteratorINS6_11use_defaultEEEZNS1_13binary_searchIS3_S9_SE_SE_SH_NS1_16binary_search_opENS7_16wrapped_functionINS0_4lessIvEEbEEEE10hipError_tPvRmT1_T2_T3_mmT4_T5_P12ihipStream_tbEUlRKxE_EESO_SS_ST_mSU_SX_bEUlT_E_NS1_11comp_targetILNS1_3genE0ELNS1_11target_archE4294967295ELNS1_3gpuE0ELNS1_3repE0EEENS1_30default_config_static_selectorELNS0_4arch9wavefront6targetE1EEEvSR_
	.globl	_ZN7rocprim17ROCPRIM_400000_NS6detail17trampoline_kernelINS0_14default_configENS1_29binary_search_config_selectorIxN6thrust23THRUST_200600_302600_NS6detail10any_assignEEEZNS1_14transform_implILb0ES3_S9_NS7_15normal_iteratorINS6_10device_ptrIxEEEENS6_16discard_iteratorINS6_11use_defaultEEEZNS1_13binary_searchIS3_S9_SE_SE_SH_NS1_16binary_search_opENS7_16wrapped_functionINS0_4lessIvEEbEEEE10hipError_tPvRmT1_T2_T3_mmT4_T5_P12ihipStream_tbEUlRKxE_EESO_SS_ST_mSU_SX_bEUlT_E_NS1_11comp_targetILNS1_3genE0ELNS1_11target_archE4294967295ELNS1_3gpuE0ELNS1_3repE0EEENS1_30default_config_static_selectorELNS0_4arch9wavefront6targetE1EEEvSR_
	.p2align	8
	.type	_ZN7rocprim17ROCPRIM_400000_NS6detail17trampoline_kernelINS0_14default_configENS1_29binary_search_config_selectorIxN6thrust23THRUST_200600_302600_NS6detail10any_assignEEEZNS1_14transform_implILb0ES3_S9_NS7_15normal_iteratorINS6_10device_ptrIxEEEENS6_16discard_iteratorINS6_11use_defaultEEEZNS1_13binary_searchIS3_S9_SE_SE_SH_NS1_16binary_search_opENS7_16wrapped_functionINS0_4lessIvEEbEEEE10hipError_tPvRmT1_T2_T3_mmT4_T5_P12ihipStream_tbEUlRKxE_EESO_SS_ST_mSU_SX_bEUlT_E_NS1_11comp_targetILNS1_3genE0ELNS1_11target_archE4294967295ELNS1_3gpuE0ELNS1_3repE0EEENS1_30default_config_static_selectorELNS0_4arch9wavefront6targetE1EEEvSR_,@function
_ZN7rocprim17ROCPRIM_400000_NS6detail17trampoline_kernelINS0_14default_configENS1_29binary_search_config_selectorIxN6thrust23THRUST_200600_302600_NS6detail10any_assignEEEZNS1_14transform_implILb0ES3_S9_NS7_15normal_iteratorINS6_10device_ptrIxEEEENS6_16discard_iteratorINS6_11use_defaultEEEZNS1_13binary_searchIS3_S9_SE_SE_SH_NS1_16binary_search_opENS7_16wrapped_functionINS0_4lessIvEEbEEEE10hipError_tPvRmT1_T2_T3_mmT4_T5_P12ihipStream_tbEUlRKxE_EESO_SS_ST_mSU_SX_bEUlT_E_NS1_11comp_targetILNS1_3genE0ELNS1_11target_archE4294967295ELNS1_3gpuE0ELNS1_3repE0EEENS1_30default_config_static_selectorELNS0_4arch9wavefront6targetE1EEEvSR_: ; @_ZN7rocprim17ROCPRIM_400000_NS6detail17trampoline_kernelINS0_14default_configENS1_29binary_search_config_selectorIxN6thrust23THRUST_200600_302600_NS6detail10any_assignEEEZNS1_14transform_implILb0ES3_S9_NS7_15normal_iteratorINS6_10device_ptrIxEEEENS6_16discard_iteratorINS6_11use_defaultEEEZNS1_13binary_searchIS3_S9_SE_SE_SH_NS1_16binary_search_opENS7_16wrapped_functionINS0_4lessIvEEbEEEE10hipError_tPvRmT1_T2_T3_mmT4_T5_P12ihipStream_tbEUlRKxE_EESO_SS_ST_mSU_SX_bEUlT_E_NS1_11comp_targetILNS1_3genE0ELNS1_11target_archE4294967295ELNS1_3gpuE0ELNS1_3repE0EEENS1_30default_config_static_selectorELNS0_4arch9wavefront6targetE1EEEvSR_
; %bb.0:
	.section	.rodata,"a",@progbits
	.p2align	6, 0x0
	.amdhsa_kernel _ZN7rocprim17ROCPRIM_400000_NS6detail17trampoline_kernelINS0_14default_configENS1_29binary_search_config_selectorIxN6thrust23THRUST_200600_302600_NS6detail10any_assignEEEZNS1_14transform_implILb0ES3_S9_NS7_15normal_iteratorINS6_10device_ptrIxEEEENS6_16discard_iteratorINS6_11use_defaultEEEZNS1_13binary_searchIS3_S9_SE_SE_SH_NS1_16binary_search_opENS7_16wrapped_functionINS0_4lessIvEEbEEEE10hipError_tPvRmT1_T2_T3_mmT4_T5_P12ihipStream_tbEUlRKxE_EESO_SS_ST_mSU_SX_bEUlT_E_NS1_11comp_targetILNS1_3genE0ELNS1_11target_archE4294967295ELNS1_3gpuE0ELNS1_3repE0EEENS1_30default_config_static_selectorELNS0_4arch9wavefront6targetE1EEEvSR_
		.amdhsa_group_segment_fixed_size 0
		.amdhsa_private_segment_fixed_size 0
		.amdhsa_kernarg_size 64
		.amdhsa_user_sgpr_count 6
		.amdhsa_user_sgpr_private_segment_buffer 1
		.amdhsa_user_sgpr_dispatch_ptr 0
		.amdhsa_user_sgpr_queue_ptr 0
		.amdhsa_user_sgpr_kernarg_segment_ptr 1
		.amdhsa_user_sgpr_dispatch_id 0
		.amdhsa_user_sgpr_flat_scratch_init 0
		.amdhsa_user_sgpr_kernarg_preload_length 0
		.amdhsa_user_sgpr_kernarg_preload_offset 0
		.amdhsa_user_sgpr_private_segment_size 0
		.amdhsa_uses_dynamic_stack 0
		.amdhsa_system_sgpr_private_segment_wavefront_offset 0
		.amdhsa_system_sgpr_workgroup_id_x 1
		.amdhsa_system_sgpr_workgroup_id_y 0
		.amdhsa_system_sgpr_workgroup_id_z 0
		.amdhsa_system_sgpr_workgroup_info 0
		.amdhsa_system_vgpr_workitem_id 0
		.amdhsa_next_free_vgpr 1
		.amdhsa_next_free_sgpr 0
		.amdhsa_accum_offset 4
		.amdhsa_reserve_vcc 0
		.amdhsa_reserve_flat_scratch 0
		.amdhsa_float_round_mode_32 0
		.amdhsa_float_round_mode_16_64 0
		.amdhsa_float_denorm_mode_32 3
		.amdhsa_float_denorm_mode_16_64 3
		.amdhsa_dx10_clamp 1
		.amdhsa_ieee_mode 1
		.amdhsa_fp16_overflow 0
		.amdhsa_tg_split 0
		.amdhsa_exception_fp_ieee_invalid_op 0
		.amdhsa_exception_fp_denorm_src 0
		.amdhsa_exception_fp_ieee_div_zero 0
		.amdhsa_exception_fp_ieee_overflow 0
		.amdhsa_exception_fp_ieee_underflow 0
		.amdhsa_exception_fp_ieee_inexact 0
		.amdhsa_exception_int_div_zero 0
	.end_amdhsa_kernel
	.section	.text._ZN7rocprim17ROCPRIM_400000_NS6detail17trampoline_kernelINS0_14default_configENS1_29binary_search_config_selectorIxN6thrust23THRUST_200600_302600_NS6detail10any_assignEEEZNS1_14transform_implILb0ES3_S9_NS7_15normal_iteratorINS6_10device_ptrIxEEEENS6_16discard_iteratorINS6_11use_defaultEEEZNS1_13binary_searchIS3_S9_SE_SE_SH_NS1_16binary_search_opENS7_16wrapped_functionINS0_4lessIvEEbEEEE10hipError_tPvRmT1_T2_T3_mmT4_T5_P12ihipStream_tbEUlRKxE_EESO_SS_ST_mSU_SX_bEUlT_E_NS1_11comp_targetILNS1_3genE0ELNS1_11target_archE4294967295ELNS1_3gpuE0ELNS1_3repE0EEENS1_30default_config_static_selectorELNS0_4arch9wavefront6targetE1EEEvSR_,"axG",@progbits,_ZN7rocprim17ROCPRIM_400000_NS6detail17trampoline_kernelINS0_14default_configENS1_29binary_search_config_selectorIxN6thrust23THRUST_200600_302600_NS6detail10any_assignEEEZNS1_14transform_implILb0ES3_S9_NS7_15normal_iteratorINS6_10device_ptrIxEEEENS6_16discard_iteratorINS6_11use_defaultEEEZNS1_13binary_searchIS3_S9_SE_SE_SH_NS1_16binary_search_opENS7_16wrapped_functionINS0_4lessIvEEbEEEE10hipError_tPvRmT1_T2_T3_mmT4_T5_P12ihipStream_tbEUlRKxE_EESO_SS_ST_mSU_SX_bEUlT_E_NS1_11comp_targetILNS1_3genE0ELNS1_11target_archE4294967295ELNS1_3gpuE0ELNS1_3repE0EEENS1_30default_config_static_selectorELNS0_4arch9wavefront6targetE1EEEvSR_,comdat
.Lfunc_end600:
	.size	_ZN7rocprim17ROCPRIM_400000_NS6detail17trampoline_kernelINS0_14default_configENS1_29binary_search_config_selectorIxN6thrust23THRUST_200600_302600_NS6detail10any_assignEEEZNS1_14transform_implILb0ES3_S9_NS7_15normal_iteratorINS6_10device_ptrIxEEEENS6_16discard_iteratorINS6_11use_defaultEEEZNS1_13binary_searchIS3_S9_SE_SE_SH_NS1_16binary_search_opENS7_16wrapped_functionINS0_4lessIvEEbEEEE10hipError_tPvRmT1_T2_T3_mmT4_T5_P12ihipStream_tbEUlRKxE_EESO_SS_ST_mSU_SX_bEUlT_E_NS1_11comp_targetILNS1_3genE0ELNS1_11target_archE4294967295ELNS1_3gpuE0ELNS1_3repE0EEENS1_30default_config_static_selectorELNS0_4arch9wavefront6targetE1EEEvSR_, .Lfunc_end600-_ZN7rocprim17ROCPRIM_400000_NS6detail17trampoline_kernelINS0_14default_configENS1_29binary_search_config_selectorIxN6thrust23THRUST_200600_302600_NS6detail10any_assignEEEZNS1_14transform_implILb0ES3_S9_NS7_15normal_iteratorINS6_10device_ptrIxEEEENS6_16discard_iteratorINS6_11use_defaultEEEZNS1_13binary_searchIS3_S9_SE_SE_SH_NS1_16binary_search_opENS7_16wrapped_functionINS0_4lessIvEEbEEEE10hipError_tPvRmT1_T2_T3_mmT4_T5_P12ihipStream_tbEUlRKxE_EESO_SS_ST_mSU_SX_bEUlT_E_NS1_11comp_targetILNS1_3genE0ELNS1_11target_archE4294967295ELNS1_3gpuE0ELNS1_3repE0EEENS1_30default_config_static_selectorELNS0_4arch9wavefront6targetE1EEEvSR_
                                        ; -- End function
	.section	.AMDGPU.csdata,"",@progbits
; Kernel info:
; codeLenInByte = 0
; NumSgprs: 4
; NumVgprs: 0
; NumAgprs: 0
; TotalNumVgprs: 0
; ScratchSize: 0
; MemoryBound: 0
; FloatMode: 240
; IeeeMode: 1
; LDSByteSize: 0 bytes/workgroup (compile time only)
; SGPRBlocks: 0
; VGPRBlocks: 0
; NumSGPRsForWavesPerEU: 4
; NumVGPRsForWavesPerEU: 1
; AccumOffset: 4
; Occupancy: 8
; WaveLimiterHint : 0
; COMPUTE_PGM_RSRC2:SCRATCH_EN: 0
; COMPUTE_PGM_RSRC2:USER_SGPR: 6
; COMPUTE_PGM_RSRC2:TRAP_HANDLER: 0
; COMPUTE_PGM_RSRC2:TGID_X_EN: 1
; COMPUTE_PGM_RSRC2:TGID_Y_EN: 0
; COMPUTE_PGM_RSRC2:TGID_Z_EN: 0
; COMPUTE_PGM_RSRC2:TIDIG_COMP_CNT: 0
; COMPUTE_PGM_RSRC3_GFX90A:ACCUM_OFFSET: 0
; COMPUTE_PGM_RSRC3_GFX90A:TG_SPLIT: 0
	.section	.text._ZN7rocprim17ROCPRIM_400000_NS6detail17trampoline_kernelINS0_14default_configENS1_29binary_search_config_selectorIxN6thrust23THRUST_200600_302600_NS6detail10any_assignEEEZNS1_14transform_implILb0ES3_S9_NS7_15normal_iteratorINS6_10device_ptrIxEEEENS6_16discard_iteratorINS6_11use_defaultEEEZNS1_13binary_searchIS3_S9_SE_SE_SH_NS1_16binary_search_opENS7_16wrapped_functionINS0_4lessIvEEbEEEE10hipError_tPvRmT1_T2_T3_mmT4_T5_P12ihipStream_tbEUlRKxE_EESO_SS_ST_mSU_SX_bEUlT_E_NS1_11comp_targetILNS1_3genE5ELNS1_11target_archE942ELNS1_3gpuE9ELNS1_3repE0EEENS1_30default_config_static_selectorELNS0_4arch9wavefront6targetE1EEEvSR_,"axG",@progbits,_ZN7rocprim17ROCPRIM_400000_NS6detail17trampoline_kernelINS0_14default_configENS1_29binary_search_config_selectorIxN6thrust23THRUST_200600_302600_NS6detail10any_assignEEEZNS1_14transform_implILb0ES3_S9_NS7_15normal_iteratorINS6_10device_ptrIxEEEENS6_16discard_iteratorINS6_11use_defaultEEEZNS1_13binary_searchIS3_S9_SE_SE_SH_NS1_16binary_search_opENS7_16wrapped_functionINS0_4lessIvEEbEEEE10hipError_tPvRmT1_T2_T3_mmT4_T5_P12ihipStream_tbEUlRKxE_EESO_SS_ST_mSU_SX_bEUlT_E_NS1_11comp_targetILNS1_3genE5ELNS1_11target_archE942ELNS1_3gpuE9ELNS1_3repE0EEENS1_30default_config_static_selectorELNS0_4arch9wavefront6targetE1EEEvSR_,comdat
	.protected	_ZN7rocprim17ROCPRIM_400000_NS6detail17trampoline_kernelINS0_14default_configENS1_29binary_search_config_selectorIxN6thrust23THRUST_200600_302600_NS6detail10any_assignEEEZNS1_14transform_implILb0ES3_S9_NS7_15normal_iteratorINS6_10device_ptrIxEEEENS6_16discard_iteratorINS6_11use_defaultEEEZNS1_13binary_searchIS3_S9_SE_SE_SH_NS1_16binary_search_opENS7_16wrapped_functionINS0_4lessIvEEbEEEE10hipError_tPvRmT1_T2_T3_mmT4_T5_P12ihipStream_tbEUlRKxE_EESO_SS_ST_mSU_SX_bEUlT_E_NS1_11comp_targetILNS1_3genE5ELNS1_11target_archE942ELNS1_3gpuE9ELNS1_3repE0EEENS1_30default_config_static_selectorELNS0_4arch9wavefront6targetE1EEEvSR_ ; -- Begin function _ZN7rocprim17ROCPRIM_400000_NS6detail17trampoline_kernelINS0_14default_configENS1_29binary_search_config_selectorIxN6thrust23THRUST_200600_302600_NS6detail10any_assignEEEZNS1_14transform_implILb0ES3_S9_NS7_15normal_iteratorINS6_10device_ptrIxEEEENS6_16discard_iteratorINS6_11use_defaultEEEZNS1_13binary_searchIS3_S9_SE_SE_SH_NS1_16binary_search_opENS7_16wrapped_functionINS0_4lessIvEEbEEEE10hipError_tPvRmT1_T2_T3_mmT4_T5_P12ihipStream_tbEUlRKxE_EESO_SS_ST_mSU_SX_bEUlT_E_NS1_11comp_targetILNS1_3genE5ELNS1_11target_archE942ELNS1_3gpuE9ELNS1_3repE0EEENS1_30default_config_static_selectorELNS0_4arch9wavefront6targetE1EEEvSR_
	.globl	_ZN7rocprim17ROCPRIM_400000_NS6detail17trampoline_kernelINS0_14default_configENS1_29binary_search_config_selectorIxN6thrust23THRUST_200600_302600_NS6detail10any_assignEEEZNS1_14transform_implILb0ES3_S9_NS7_15normal_iteratorINS6_10device_ptrIxEEEENS6_16discard_iteratorINS6_11use_defaultEEEZNS1_13binary_searchIS3_S9_SE_SE_SH_NS1_16binary_search_opENS7_16wrapped_functionINS0_4lessIvEEbEEEE10hipError_tPvRmT1_T2_T3_mmT4_T5_P12ihipStream_tbEUlRKxE_EESO_SS_ST_mSU_SX_bEUlT_E_NS1_11comp_targetILNS1_3genE5ELNS1_11target_archE942ELNS1_3gpuE9ELNS1_3repE0EEENS1_30default_config_static_selectorELNS0_4arch9wavefront6targetE1EEEvSR_
	.p2align	8
	.type	_ZN7rocprim17ROCPRIM_400000_NS6detail17trampoline_kernelINS0_14default_configENS1_29binary_search_config_selectorIxN6thrust23THRUST_200600_302600_NS6detail10any_assignEEEZNS1_14transform_implILb0ES3_S9_NS7_15normal_iteratorINS6_10device_ptrIxEEEENS6_16discard_iteratorINS6_11use_defaultEEEZNS1_13binary_searchIS3_S9_SE_SE_SH_NS1_16binary_search_opENS7_16wrapped_functionINS0_4lessIvEEbEEEE10hipError_tPvRmT1_T2_T3_mmT4_T5_P12ihipStream_tbEUlRKxE_EESO_SS_ST_mSU_SX_bEUlT_E_NS1_11comp_targetILNS1_3genE5ELNS1_11target_archE942ELNS1_3gpuE9ELNS1_3repE0EEENS1_30default_config_static_selectorELNS0_4arch9wavefront6targetE1EEEvSR_,@function
_ZN7rocprim17ROCPRIM_400000_NS6detail17trampoline_kernelINS0_14default_configENS1_29binary_search_config_selectorIxN6thrust23THRUST_200600_302600_NS6detail10any_assignEEEZNS1_14transform_implILb0ES3_S9_NS7_15normal_iteratorINS6_10device_ptrIxEEEENS6_16discard_iteratorINS6_11use_defaultEEEZNS1_13binary_searchIS3_S9_SE_SE_SH_NS1_16binary_search_opENS7_16wrapped_functionINS0_4lessIvEEbEEEE10hipError_tPvRmT1_T2_T3_mmT4_T5_P12ihipStream_tbEUlRKxE_EESO_SS_ST_mSU_SX_bEUlT_E_NS1_11comp_targetILNS1_3genE5ELNS1_11target_archE942ELNS1_3gpuE9ELNS1_3repE0EEENS1_30default_config_static_selectorELNS0_4arch9wavefront6targetE1EEEvSR_: ; @_ZN7rocprim17ROCPRIM_400000_NS6detail17trampoline_kernelINS0_14default_configENS1_29binary_search_config_selectorIxN6thrust23THRUST_200600_302600_NS6detail10any_assignEEEZNS1_14transform_implILb0ES3_S9_NS7_15normal_iteratorINS6_10device_ptrIxEEEENS6_16discard_iteratorINS6_11use_defaultEEEZNS1_13binary_searchIS3_S9_SE_SE_SH_NS1_16binary_search_opENS7_16wrapped_functionINS0_4lessIvEEbEEEE10hipError_tPvRmT1_T2_T3_mmT4_T5_P12ihipStream_tbEUlRKxE_EESO_SS_ST_mSU_SX_bEUlT_E_NS1_11comp_targetILNS1_3genE5ELNS1_11target_archE942ELNS1_3gpuE9ELNS1_3repE0EEENS1_30default_config_static_selectorELNS0_4arch9wavefront6targetE1EEEvSR_
; %bb.0:
	.section	.rodata,"a",@progbits
	.p2align	6, 0x0
	.amdhsa_kernel _ZN7rocprim17ROCPRIM_400000_NS6detail17trampoline_kernelINS0_14default_configENS1_29binary_search_config_selectorIxN6thrust23THRUST_200600_302600_NS6detail10any_assignEEEZNS1_14transform_implILb0ES3_S9_NS7_15normal_iteratorINS6_10device_ptrIxEEEENS6_16discard_iteratorINS6_11use_defaultEEEZNS1_13binary_searchIS3_S9_SE_SE_SH_NS1_16binary_search_opENS7_16wrapped_functionINS0_4lessIvEEbEEEE10hipError_tPvRmT1_T2_T3_mmT4_T5_P12ihipStream_tbEUlRKxE_EESO_SS_ST_mSU_SX_bEUlT_E_NS1_11comp_targetILNS1_3genE5ELNS1_11target_archE942ELNS1_3gpuE9ELNS1_3repE0EEENS1_30default_config_static_selectorELNS0_4arch9wavefront6targetE1EEEvSR_
		.amdhsa_group_segment_fixed_size 0
		.amdhsa_private_segment_fixed_size 0
		.amdhsa_kernarg_size 64
		.amdhsa_user_sgpr_count 6
		.amdhsa_user_sgpr_private_segment_buffer 1
		.amdhsa_user_sgpr_dispatch_ptr 0
		.amdhsa_user_sgpr_queue_ptr 0
		.amdhsa_user_sgpr_kernarg_segment_ptr 1
		.amdhsa_user_sgpr_dispatch_id 0
		.amdhsa_user_sgpr_flat_scratch_init 0
		.amdhsa_user_sgpr_kernarg_preload_length 0
		.amdhsa_user_sgpr_kernarg_preload_offset 0
		.amdhsa_user_sgpr_private_segment_size 0
		.amdhsa_uses_dynamic_stack 0
		.amdhsa_system_sgpr_private_segment_wavefront_offset 0
		.amdhsa_system_sgpr_workgroup_id_x 1
		.amdhsa_system_sgpr_workgroup_id_y 0
		.amdhsa_system_sgpr_workgroup_id_z 0
		.amdhsa_system_sgpr_workgroup_info 0
		.amdhsa_system_vgpr_workitem_id 0
		.amdhsa_next_free_vgpr 1
		.amdhsa_next_free_sgpr 0
		.amdhsa_accum_offset 4
		.amdhsa_reserve_vcc 0
		.amdhsa_reserve_flat_scratch 0
		.amdhsa_float_round_mode_32 0
		.amdhsa_float_round_mode_16_64 0
		.amdhsa_float_denorm_mode_32 3
		.amdhsa_float_denorm_mode_16_64 3
		.amdhsa_dx10_clamp 1
		.amdhsa_ieee_mode 1
		.amdhsa_fp16_overflow 0
		.amdhsa_tg_split 0
		.amdhsa_exception_fp_ieee_invalid_op 0
		.amdhsa_exception_fp_denorm_src 0
		.amdhsa_exception_fp_ieee_div_zero 0
		.amdhsa_exception_fp_ieee_overflow 0
		.amdhsa_exception_fp_ieee_underflow 0
		.amdhsa_exception_fp_ieee_inexact 0
		.amdhsa_exception_int_div_zero 0
	.end_amdhsa_kernel
	.section	.text._ZN7rocprim17ROCPRIM_400000_NS6detail17trampoline_kernelINS0_14default_configENS1_29binary_search_config_selectorIxN6thrust23THRUST_200600_302600_NS6detail10any_assignEEEZNS1_14transform_implILb0ES3_S9_NS7_15normal_iteratorINS6_10device_ptrIxEEEENS6_16discard_iteratorINS6_11use_defaultEEEZNS1_13binary_searchIS3_S9_SE_SE_SH_NS1_16binary_search_opENS7_16wrapped_functionINS0_4lessIvEEbEEEE10hipError_tPvRmT1_T2_T3_mmT4_T5_P12ihipStream_tbEUlRKxE_EESO_SS_ST_mSU_SX_bEUlT_E_NS1_11comp_targetILNS1_3genE5ELNS1_11target_archE942ELNS1_3gpuE9ELNS1_3repE0EEENS1_30default_config_static_selectorELNS0_4arch9wavefront6targetE1EEEvSR_,"axG",@progbits,_ZN7rocprim17ROCPRIM_400000_NS6detail17trampoline_kernelINS0_14default_configENS1_29binary_search_config_selectorIxN6thrust23THRUST_200600_302600_NS6detail10any_assignEEEZNS1_14transform_implILb0ES3_S9_NS7_15normal_iteratorINS6_10device_ptrIxEEEENS6_16discard_iteratorINS6_11use_defaultEEEZNS1_13binary_searchIS3_S9_SE_SE_SH_NS1_16binary_search_opENS7_16wrapped_functionINS0_4lessIvEEbEEEE10hipError_tPvRmT1_T2_T3_mmT4_T5_P12ihipStream_tbEUlRKxE_EESO_SS_ST_mSU_SX_bEUlT_E_NS1_11comp_targetILNS1_3genE5ELNS1_11target_archE942ELNS1_3gpuE9ELNS1_3repE0EEENS1_30default_config_static_selectorELNS0_4arch9wavefront6targetE1EEEvSR_,comdat
.Lfunc_end601:
	.size	_ZN7rocprim17ROCPRIM_400000_NS6detail17trampoline_kernelINS0_14default_configENS1_29binary_search_config_selectorIxN6thrust23THRUST_200600_302600_NS6detail10any_assignEEEZNS1_14transform_implILb0ES3_S9_NS7_15normal_iteratorINS6_10device_ptrIxEEEENS6_16discard_iteratorINS6_11use_defaultEEEZNS1_13binary_searchIS3_S9_SE_SE_SH_NS1_16binary_search_opENS7_16wrapped_functionINS0_4lessIvEEbEEEE10hipError_tPvRmT1_T2_T3_mmT4_T5_P12ihipStream_tbEUlRKxE_EESO_SS_ST_mSU_SX_bEUlT_E_NS1_11comp_targetILNS1_3genE5ELNS1_11target_archE942ELNS1_3gpuE9ELNS1_3repE0EEENS1_30default_config_static_selectorELNS0_4arch9wavefront6targetE1EEEvSR_, .Lfunc_end601-_ZN7rocprim17ROCPRIM_400000_NS6detail17trampoline_kernelINS0_14default_configENS1_29binary_search_config_selectorIxN6thrust23THRUST_200600_302600_NS6detail10any_assignEEEZNS1_14transform_implILb0ES3_S9_NS7_15normal_iteratorINS6_10device_ptrIxEEEENS6_16discard_iteratorINS6_11use_defaultEEEZNS1_13binary_searchIS3_S9_SE_SE_SH_NS1_16binary_search_opENS7_16wrapped_functionINS0_4lessIvEEbEEEE10hipError_tPvRmT1_T2_T3_mmT4_T5_P12ihipStream_tbEUlRKxE_EESO_SS_ST_mSU_SX_bEUlT_E_NS1_11comp_targetILNS1_3genE5ELNS1_11target_archE942ELNS1_3gpuE9ELNS1_3repE0EEENS1_30default_config_static_selectorELNS0_4arch9wavefront6targetE1EEEvSR_
                                        ; -- End function
	.section	.AMDGPU.csdata,"",@progbits
; Kernel info:
; codeLenInByte = 0
; NumSgprs: 4
; NumVgprs: 0
; NumAgprs: 0
; TotalNumVgprs: 0
; ScratchSize: 0
; MemoryBound: 0
; FloatMode: 240
; IeeeMode: 1
; LDSByteSize: 0 bytes/workgroup (compile time only)
; SGPRBlocks: 0
; VGPRBlocks: 0
; NumSGPRsForWavesPerEU: 4
; NumVGPRsForWavesPerEU: 1
; AccumOffset: 4
; Occupancy: 8
; WaveLimiterHint : 0
; COMPUTE_PGM_RSRC2:SCRATCH_EN: 0
; COMPUTE_PGM_RSRC2:USER_SGPR: 6
; COMPUTE_PGM_RSRC2:TRAP_HANDLER: 0
; COMPUTE_PGM_RSRC2:TGID_X_EN: 1
; COMPUTE_PGM_RSRC2:TGID_Y_EN: 0
; COMPUTE_PGM_RSRC2:TGID_Z_EN: 0
; COMPUTE_PGM_RSRC2:TIDIG_COMP_CNT: 0
; COMPUTE_PGM_RSRC3_GFX90A:ACCUM_OFFSET: 0
; COMPUTE_PGM_RSRC3_GFX90A:TG_SPLIT: 0
	.section	.text._ZN7rocprim17ROCPRIM_400000_NS6detail17trampoline_kernelINS0_14default_configENS1_29binary_search_config_selectorIxN6thrust23THRUST_200600_302600_NS6detail10any_assignEEEZNS1_14transform_implILb0ES3_S9_NS7_15normal_iteratorINS6_10device_ptrIxEEEENS6_16discard_iteratorINS6_11use_defaultEEEZNS1_13binary_searchIS3_S9_SE_SE_SH_NS1_16binary_search_opENS7_16wrapped_functionINS0_4lessIvEEbEEEE10hipError_tPvRmT1_T2_T3_mmT4_T5_P12ihipStream_tbEUlRKxE_EESO_SS_ST_mSU_SX_bEUlT_E_NS1_11comp_targetILNS1_3genE4ELNS1_11target_archE910ELNS1_3gpuE8ELNS1_3repE0EEENS1_30default_config_static_selectorELNS0_4arch9wavefront6targetE1EEEvSR_,"axG",@progbits,_ZN7rocprim17ROCPRIM_400000_NS6detail17trampoline_kernelINS0_14default_configENS1_29binary_search_config_selectorIxN6thrust23THRUST_200600_302600_NS6detail10any_assignEEEZNS1_14transform_implILb0ES3_S9_NS7_15normal_iteratorINS6_10device_ptrIxEEEENS6_16discard_iteratorINS6_11use_defaultEEEZNS1_13binary_searchIS3_S9_SE_SE_SH_NS1_16binary_search_opENS7_16wrapped_functionINS0_4lessIvEEbEEEE10hipError_tPvRmT1_T2_T3_mmT4_T5_P12ihipStream_tbEUlRKxE_EESO_SS_ST_mSU_SX_bEUlT_E_NS1_11comp_targetILNS1_3genE4ELNS1_11target_archE910ELNS1_3gpuE8ELNS1_3repE0EEENS1_30default_config_static_selectorELNS0_4arch9wavefront6targetE1EEEvSR_,comdat
	.protected	_ZN7rocprim17ROCPRIM_400000_NS6detail17trampoline_kernelINS0_14default_configENS1_29binary_search_config_selectorIxN6thrust23THRUST_200600_302600_NS6detail10any_assignEEEZNS1_14transform_implILb0ES3_S9_NS7_15normal_iteratorINS6_10device_ptrIxEEEENS6_16discard_iteratorINS6_11use_defaultEEEZNS1_13binary_searchIS3_S9_SE_SE_SH_NS1_16binary_search_opENS7_16wrapped_functionINS0_4lessIvEEbEEEE10hipError_tPvRmT1_T2_T3_mmT4_T5_P12ihipStream_tbEUlRKxE_EESO_SS_ST_mSU_SX_bEUlT_E_NS1_11comp_targetILNS1_3genE4ELNS1_11target_archE910ELNS1_3gpuE8ELNS1_3repE0EEENS1_30default_config_static_selectorELNS0_4arch9wavefront6targetE1EEEvSR_ ; -- Begin function _ZN7rocprim17ROCPRIM_400000_NS6detail17trampoline_kernelINS0_14default_configENS1_29binary_search_config_selectorIxN6thrust23THRUST_200600_302600_NS6detail10any_assignEEEZNS1_14transform_implILb0ES3_S9_NS7_15normal_iteratorINS6_10device_ptrIxEEEENS6_16discard_iteratorINS6_11use_defaultEEEZNS1_13binary_searchIS3_S9_SE_SE_SH_NS1_16binary_search_opENS7_16wrapped_functionINS0_4lessIvEEbEEEE10hipError_tPvRmT1_T2_T3_mmT4_T5_P12ihipStream_tbEUlRKxE_EESO_SS_ST_mSU_SX_bEUlT_E_NS1_11comp_targetILNS1_3genE4ELNS1_11target_archE910ELNS1_3gpuE8ELNS1_3repE0EEENS1_30default_config_static_selectorELNS0_4arch9wavefront6targetE1EEEvSR_
	.globl	_ZN7rocprim17ROCPRIM_400000_NS6detail17trampoline_kernelINS0_14default_configENS1_29binary_search_config_selectorIxN6thrust23THRUST_200600_302600_NS6detail10any_assignEEEZNS1_14transform_implILb0ES3_S9_NS7_15normal_iteratorINS6_10device_ptrIxEEEENS6_16discard_iteratorINS6_11use_defaultEEEZNS1_13binary_searchIS3_S9_SE_SE_SH_NS1_16binary_search_opENS7_16wrapped_functionINS0_4lessIvEEbEEEE10hipError_tPvRmT1_T2_T3_mmT4_T5_P12ihipStream_tbEUlRKxE_EESO_SS_ST_mSU_SX_bEUlT_E_NS1_11comp_targetILNS1_3genE4ELNS1_11target_archE910ELNS1_3gpuE8ELNS1_3repE0EEENS1_30default_config_static_selectorELNS0_4arch9wavefront6targetE1EEEvSR_
	.p2align	8
	.type	_ZN7rocprim17ROCPRIM_400000_NS6detail17trampoline_kernelINS0_14default_configENS1_29binary_search_config_selectorIxN6thrust23THRUST_200600_302600_NS6detail10any_assignEEEZNS1_14transform_implILb0ES3_S9_NS7_15normal_iteratorINS6_10device_ptrIxEEEENS6_16discard_iteratorINS6_11use_defaultEEEZNS1_13binary_searchIS3_S9_SE_SE_SH_NS1_16binary_search_opENS7_16wrapped_functionINS0_4lessIvEEbEEEE10hipError_tPvRmT1_T2_T3_mmT4_T5_P12ihipStream_tbEUlRKxE_EESO_SS_ST_mSU_SX_bEUlT_E_NS1_11comp_targetILNS1_3genE4ELNS1_11target_archE910ELNS1_3gpuE8ELNS1_3repE0EEENS1_30default_config_static_selectorELNS0_4arch9wavefront6targetE1EEEvSR_,@function
_ZN7rocprim17ROCPRIM_400000_NS6detail17trampoline_kernelINS0_14default_configENS1_29binary_search_config_selectorIxN6thrust23THRUST_200600_302600_NS6detail10any_assignEEEZNS1_14transform_implILb0ES3_S9_NS7_15normal_iteratorINS6_10device_ptrIxEEEENS6_16discard_iteratorINS6_11use_defaultEEEZNS1_13binary_searchIS3_S9_SE_SE_SH_NS1_16binary_search_opENS7_16wrapped_functionINS0_4lessIvEEbEEEE10hipError_tPvRmT1_T2_T3_mmT4_T5_P12ihipStream_tbEUlRKxE_EESO_SS_ST_mSU_SX_bEUlT_E_NS1_11comp_targetILNS1_3genE4ELNS1_11target_archE910ELNS1_3gpuE8ELNS1_3repE0EEENS1_30default_config_static_selectorELNS0_4arch9wavefront6targetE1EEEvSR_: ; @_ZN7rocprim17ROCPRIM_400000_NS6detail17trampoline_kernelINS0_14default_configENS1_29binary_search_config_selectorIxN6thrust23THRUST_200600_302600_NS6detail10any_assignEEEZNS1_14transform_implILb0ES3_S9_NS7_15normal_iteratorINS6_10device_ptrIxEEEENS6_16discard_iteratorINS6_11use_defaultEEEZNS1_13binary_searchIS3_S9_SE_SE_SH_NS1_16binary_search_opENS7_16wrapped_functionINS0_4lessIvEEbEEEE10hipError_tPvRmT1_T2_T3_mmT4_T5_P12ihipStream_tbEUlRKxE_EESO_SS_ST_mSU_SX_bEUlT_E_NS1_11comp_targetILNS1_3genE4ELNS1_11target_archE910ELNS1_3gpuE8ELNS1_3repE0EEENS1_30default_config_static_selectorELNS0_4arch9wavefront6targetE1EEEvSR_
; %bb.0:
	s_endpgm
	.section	.rodata,"a",@progbits
	.p2align	6, 0x0
	.amdhsa_kernel _ZN7rocprim17ROCPRIM_400000_NS6detail17trampoline_kernelINS0_14default_configENS1_29binary_search_config_selectorIxN6thrust23THRUST_200600_302600_NS6detail10any_assignEEEZNS1_14transform_implILb0ES3_S9_NS7_15normal_iteratorINS6_10device_ptrIxEEEENS6_16discard_iteratorINS6_11use_defaultEEEZNS1_13binary_searchIS3_S9_SE_SE_SH_NS1_16binary_search_opENS7_16wrapped_functionINS0_4lessIvEEbEEEE10hipError_tPvRmT1_T2_T3_mmT4_T5_P12ihipStream_tbEUlRKxE_EESO_SS_ST_mSU_SX_bEUlT_E_NS1_11comp_targetILNS1_3genE4ELNS1_11target_archE910ELNS1_3gpuE8ELNS1_3repE0EEENS1_30default_config_static_selectorELNS0_4arch9wavefront6targetE1EEEvSR_
		.amdhsa_group_segment_fixed_size 0
		.amdhsa_private_segment_fixed_size 0
		.amdhsa_kernarg_size 64
		.amdhsa_user_sgpr_count 6
		.amdhsa_user_sgpr_private_segment_buffer 1
		.amdhsa_user_sgpr_dispatch_ptr 0
		.amdhsa_user_sgpr_queue_ptr 0
		.amdhsa_user_sgpr_kernarg_segment_ptr 1
		.amdhsa_user_sgpr_dispatch_id 0
		.amdhsa_user_sgpr_flat_scratch_init 0
		.amdhsa_user_sgpr_kernarg_preload_length 0
		.amdhsa_user_sgpr_kernarg_preload_offset 0
		.amdhsa_user_sgpr_private_segment_size 0
		.amdhsa_uses_dynamic_stack 0
		.amdhsa_system_sgpr_private_segment_wavefront_offset 0
		.amdhsa_system_sgpr_workgroup_id_x 1
		.amdhsa_system_sgpr_workgroup_id_y 0
		.amdhsa_system_sgpr_workgroup_id_z 0
		.amdhsa_system_sgpr_workgroup_info 0
		.amdhsa_system_vgpr_workitem_id 0
		.amdhsa_next_free_vgpr 1
		.amdhsa_next_free_sgpr 0
		.amdhsa_accum_offset 4
		.amdhsa_reserve_vcc 0
		.amdhsa_reserve_flat_scratch 0
		.amdhsa_float_round_mode_32 0
		.amdhsa_float_round_mode_16_64 0
		.amdhsa_float_denorm_mode_32 3
		.amdhsa_float_denorm_mode_16_64 3
		.amdhsa_dx10_clamp 1
		.amdhsa_ieee_mode 1
		.amdhsa_fp16_overflow 0
		.amdhsa_tg_split 0
		.amdhsa_exception_fp_ieee_invalid_op 0
		.amdhsa_exception_fp_denorm_src 0
		.amdhsa_exception_fp_ieee_div_zero 0
		.amdhsa_exception_fp_ieee_overflow 0
		.amdhsa_exception_fp_ieee_underflow 0
		.amdhsa_exception_fp_ieee_inexact 0
		.amdhsa_exception_int_div_zero 0
	.end_amdhsa_kernel
	.section	.text._ZN7rocprim17ROCPRIM_400000_NS6detail17trampoline_kernelINS0_14default_configENS1_29binary_search_config_selectorIxN6thrust23THRUST_200600_302600_NS6detail10any_assignEEEZNS1_14transform_implILb0ES3_S9_NS7_15normal_iteratorINS6_10device_ptrIxEEEENS6_16discard_iteratorINS6_11use_defaultEEEZNS1_13binary_searchIS3_S9_SE_SE_SH_NS1_16binary_search_opENS7_16wrapped_functionINS0_4lessIvEEbEEEE10hipError_tPvRmT1_T2_T3_mmT4_T5_P12ihipStream_tbEUlRKxE_EESO_SS_ST_mSU_SX_bEUlT_E_NS1_11comp_targetILNS1_3genE4ELNS1_11target_archE910ELNS1_3gpuE8ELNS1_3repE0EEENS1_30default_config_static_selectorELNS0_4arch9wavefront6targetE1EEEvSR_,"axG",@progbits,_ZN7rocprim17ROCPRIM_400000_NS6detail17trampoline_kernelINS0_14default_configENS1_29binary_search_config_selectorIxN6thrust23THRUST_200600_302600_NS6detail10any_assignEEEZNS1_14transform_implILb0ES3_S9_NS7_15normal_iteratorINS6_10device_ptrIxEEEENS6_16discard_iteratorINS6_11use_defaultEEEZNS1_13binary_searchIS3_S9_SE_SE_SH_NS1_16binary_search_opENS7_16wrapped_functionINS0_4lessIvEEbEEEE10hipError_tPvRmT1_T2_T3_mmT4_T5_P12ihipStream_tbEUlRKxE_EESO_SS_ST_mSU_SX_bEUlT_E_NS1_11comp_targetILNS1_3genE4ELNS1_11target_archE910ELNS1_3gpuE8ELNS1_3repE0EEENS1_30default_config_static_selectorELNS0_4arch9wavefront6targetE1EEEvSR_,comdat
.Lfunc_end602:
	.size	_ZN7rocprim17ROCPRIM_400000_NS6detail17trampoline_kernelINS0_14default_configENS1_29binary_search_config_selectorIxN6thrust23THRUST_200600_302600_NS6detail10any_assignEEEZNS1_14transform_implILb0ES3_S9_NS7_15normal_iteratorINS6_10device_ptrIxEEEENS6_16discard_iteratorINS6_11use_defaultEEEZNS1_13binary_searchIS3_S9_SE_SE_SH_NS1_16binary_search_opENS7_16wrapped_functionINS0_4lessIvEEbEEEE10hipError_tPvRmT1_T2_T3_mmT4_T5_P12ihipStream_tbEUlRKxE_EESO_SS_ST_mSU_SX_bEUlT_E_NS1_11comp_targetILNS1_3genE4ELNS1_11target_archE910ELNS1_3gpuE8ELNS1_3repE0EEENS1_30default_config_static_selectorELNS0_4arch9wavefront6targetE1EEEvSR_, .Lfunc_end602-_ZN7rocprim17ROCPRIM_400000_NS6detail17trampoline_kernelINS0_14default_configENS1_29binary_search_config_selectorIxN6thrust23THRUST_200600_302600_NS6detail10any_assignEEEZNS1_14transform_implILb0ES3_S9_NS7_15normal_iteratorINS6_10device_ptrIxEEEENS6_16discard_iteratorINS6_11use_defaultEEEZNS1_13binary_searchIS3_S9_SE_SE_SH_NS1_16binary_search_opENS7_16wrapped_functionINS0_4lessIvEEbEEEE10hipError_tPvRmT1_T2_T3_mmT4_T5_P12ihipStream_tbEUlRKxE_EESO_SS_ST_mSU_SX_bEUlT_E_NS1_11comp_targetILNS1_3genE4ELNS1_11target_archE910ELNS1_3gpuE8ELNS1_3repE0EEENS1_30default_config_static_selectorELNS0_4arch9wavefront6targetE1EEEvSR_
                                        ; -- End function
	.section	.AMDGPU.csdata,"",@progbits
; Kernel info:
; codeLenInByte = 4
; NumSgprs: 4
; NumVgprs: 0
; NumAgprs: 0
; TotalNumVgprs: 0
; ScratchSize: 0
; MemoryBound: 0
; FloatMode: 240
; IeeeMode: 1
; LDSByteSize: 0 bytes/workgroup (compile time only)
; SGPRBlocks: 0
; VGPRBlocks: 0
; NumSGPRsForWavesPerEU: 4
; NumVGPRsForWavesPerEU: 1
; AccumOffset: 4
; Occupancy: 8
; WaveLimiterHint : 0
; COMPUTE_PGM_RSRC2:SCRATCH_EN: 0
; COMPUTE_PGM_RSRC2:USER_SGPR: 6
; COMPUTE_PGM_RSRC2:TRAP_HANDLER: 0
; COMPUTE_PGM_RSRC2:TGID_X_EN: 1
; COMPUTE_PGM_RSRC2:TGID_Y_EN: 0
; COMPUTE_PGM_RSRC2:TGID_Z_EN: 0
; COMPUTE_PGM_RSRC2:TIDIG_COMP_CNT: 0
; COMPUTE_PGM_RSRC3_GFX90A:ACCUM_OFFSET: 0
; COMPUTE_PGM_RSRC3_GFX90A:TG_SPLIT: 0
	.section	.text._ZN7rocprim17ROCPRIM_400000_NS6detail17trampoline_kernelINS0_14default_configENS1_29binary_search_config_selectorIxN6thrust23THRUST_200600_302600_NS6detail10any_assignEEEZNS1_14transform_implILb0ES3_S9_NS7_15normal_iteratorINS6_10device_ptrIxEEEENS6_16discard_iteratorINS6_11use_defaultEEEZNS1_13binary_searchIS3_S9_SE_SE_SH_NS1_16binary_search_opENS7_16wrapped_functionINS0_4lessIvEEbEEEE10hipError_tPvRmT1_T2_T3_mmT4_T5_P12ihipStream_tbEUlRKxE_EESO_SS_ST_mSU_SX_bEUlT_E_NS1_11comp_targetILNS1_3genE3ELNS1_11target_archE908ELNS1_3gpuE7ELNS1_3repE0EEENS1_30default_config_static_selectorELNS0_4arch9wavefront6targetE1EEEvSR_,"axG",@progbits,_ZN7rocprim17ROCPRIM_400000_NS6detail17trampoline_kernelINS0_14default_configENS1_29binary_search_config_selectorIxN6thrust23THRUST_200600_302600_NS6detail10any_assignEEEZNS1_14transform_implILb0ES3_S9_NS7_15normal_iteratorINS6_10device_ptrIxEEEENS6_16discard_iteratorINS6_11use_defaultEEEZNS1_13binary_searchIS3_S9_SE_SE_SH_NS1_16binary_search_opENS7_16wrapped_functionINS0_4lessIvEEbEEEE10hipError_tPvRmT1_T2_T3_mmT4_T5_P12ihipStream_tbEUlRKxE_EESO_SS_ST_mSU_SX_bEUlT_E_NS1_11comp_targetILNS1_3genE3ELNS1_11target_archE908ELNS1_3gpuE7ELNS1_3repE0EEENS1_30default_config_static_selectorELNS0_4arch9wavefront6targetE1EEEvSR_,comdat
	.protected	_ZN7rocprim17ROCPRIM_400000_NS6detail17trampoline_kernelINS0_14default_configENS1_29binary_search_config_selectorIxN6thrust23THRUST_200600_302600_NS6detail10any_assignEEEZNS1_14transform_implILb0ES3_S9_NS7_15normal_iteratorINS6_10device_ptrIxEEEENS6_16discard_iteratorINS6_11use_defaultEEEZNS1_13binary_searchIS3_S9_SE_SE_SH_NS1_16binary_search_opENS7_16wrapped_functionINS0_4lessIvEEbEEEE10hipError_tPvRmT1_T2_T3_mmT4_T5_P12ihipStream_tbEUlRKxE_EESO_SS_ST_mSU_SX_bEUlT_E_NS1_11comp_targetILNS1_3genE3ELNS1_11target_archE908ELNS1_3gpuE7ELNS1_3repE0EEENS1_30default_config_static_selectorELNS0_4arch9wavefront6targetE1EEEvSR_ ; -- Begin function _ZN7rocprim17ROCPRIM_400000_NS6detail17trampoline_kernelINS0_14default_configENS1_29binary_search_config_selectorIxN6thrust23THRUST_200600_302600_NS6detail10any_assignEEEZNS1_14transform_implILb0ES3_S9_NS7_15normal_iteratorINS6_10device_ptrIxEEEENS6_16discard_iteratorINS6_11use_defaultEEEZNS1_13binary_searchIS3_S9_SE_SE_SH_NS1_16binary_search_opENS7_16wrapped_functionINS0_4lessIvEEbEEEE10hipError_tPvRmT1_T2_T3_mmT4_T5_P12ihipStream_tbEUlRKxE_EESO_SS_ST_mSU_SX_bEUlT_E_NS1_11comp_targetILNS1_3genE3ELNS1_11target_archE908ELNS1_3gpuE7ELNS1_3repE0EEENS1_30default_config_static_selectorELNS0_4arch9wavefront6targetE1EEEvSR_
	.globl	_ZN7rocprim17ROCPRIM_400000_NS6detail17trampoline_kernelINS0_14default_configENS1_29binary_search_config_selectorIxN6thrust23THRUST_200600_302600_NS6detail10any_assignEEEZNS1_14transform_implILb0ES3_S9_NS7_15normal_iteratorINS6_10device_ptrIxEEEENS6_16discard_iteratorINS6_11use_defaultEEEZNS1_13binary_searchIS3_S9_SE_SE_SH_NS1_16binary_search_opENS7_16wrapped_functionINS0_4lessIvEEbEEEE10hipError_tPvRmT1_T2_T3_mmT4_T5_P12ihipStream_tbEUlRKxE_EESO_SS_ST_mSU_SX_bEUlT_E_NS1_11comp_targetILNS1_3genE3ELNS1_11target_archE908ELNS1_3gpuE7ELNS1_3repE0EEENS1_30default_config_static_selectorELNS0_4arch9wavefront6targetE1EEEvSR_
	.p2align	8
	.type	_ZN7rocprim17ROCPRIM_400000_NS6detail17trampoline_kernelINS0_14default_configENS1_29binary_search_config_selectorIxN6thrust23THRUST_200600_302600_NS6detail10any_assignEEEZNS1_14transform_implILb0ES3_S9_NS7_15normal_iteratorINS6_10device_ptrIxEEEENS6_16discard_iteratorINS6_11use_defaultEEEZNS1_13binary_searchIS3_S9_SE_SE_SH_NS1_16binary_search_opENS7_16wrapped_functionINS0_4lessIvEEbEEEE10hipError_tPvRmT1_T2_T3_mmT4_T5_P12ihipStream_tbEUlRKxE_EESO_SS_ST_mSU_SX_bEUlT_E_NS1_11comp_targetILNS1_3genE3ELNS1_11target_archE908ELNS1_3gpuE7ELNS1_3repE0EEENS1_30default_config_static_selectorELNS0_4arch9wavefront6targetE1EEEvSR_,@function
_ZN7rocprim17ROCPRIM_400000_NS6detail17trampoline_kernelINS0_14default_configENS1_29binary_search_config_selectorIxN6thrust23THRUST_200600_302600_NS6detail10any_assignEEEZNS1_14transform_implILb0ES3_S9_NS7_15normal_iteratorINS6_10device_ptrIxEEEENS6_16discard_iteratorINS6_11use_defaultEEEZNS1_13binary_searchIS3_S9_SE_SE_SH_NS1_16binary_search_opENS7_16wrapped_functionINS0_4lessIvEEbEEEE10hipError_tPvRmT1_T2_T3_mmT4_T5_P12ihipStream_tbEUlRKxE_EESO_SS_ST_mSU_SX_bEUlT_E_NS1_11comp_targetILNS1_3genE3ELNS1_11target_archE908ELNS1_3gpuE7ELNS1_3repE0EEENS1_30default_config_static_selectorELNS0_4arch9wavefront6targetE1EEEvSR_: ; @_ZN7rocprim17ROCPRIM_400000_NS6detail17trampoline_kernelINS0_14default_configENS1_29binary_search_config_selectorIxN6thrust23THRUST_200600_302600_NS6detail10any_assignEEEZNS1_14transform_implILb0ES3_S9_NS7_15normal_iteratorINS6_10device_ptrIxEEEENS6_16discard_iteratorINS6_11use_defaultEEEZNS1_13binary_searchIS3_S9_SE_SE_SH_NS1_16binary_search_opENS7_16wrapped_functionINS0_4lessIvEEbEEEE10hipError_tPvRmT1_T2_T3_mmT4_T5_P12ihipStream_tbEUlRKxE_EESO_SS_ST_mSU_SX_bEUlT_E_NS1_11comp_targetILNS1_3genE3ELNS1_11target_archE908ELNS1_3gpuE7ELNS1_3repE0EEENS1_30default_config_static_selectorELNS0_4arch9wavefront6targetE1EEEvSR_
; %bb.0:
	.section	.rodata,"a",@progbits
	.p2align	6, 0x0
	.amdhsa_kernel _ZN7rocprim17ROCPRIM_400000_NS6detail17trampoline_kernelINS0_14default_configENS1_29binary_search_config_selectorIxN6thrust23THRUST_200600_302600_NS6detail10any_assignEEEZNS1_14transform_implILb0ES3_S9_NS7_15normal_iteratorINS6_10device_ptrIxEEEENS6_16discard_iteratorINS6_11use_defaultEEEZNS1_13binary_searchIS3_S9_SE_SE_SH_NS1_16binary_search_opENS7_16wrapped_functionINS0_4lessIvEEbEEEE10hipError_tPvRmT1_T2_T3_mmT4_T5_P12ihipStream_tbEUlRKxE_EESO_SS_ST_mSU_SX_bEUlT_E_NS1_11comp_targetILNS1_3genE3ELNS1_11target_archE908ELNS1_3gpuE7ELNS1_3repE0EEENS1_30default_config_static_selectorELNS0_4arch9wavefront6targetE1EEEvSR_
		.amdhsa_group_segment_fixed_size 0
		.amdhsa_private_segment_fixed_size 0
		.amdhsa_kernarg_size 64
		.amdhsa_user_sgpr_count 6
		.amdhsa_user_sgpr_private_segment_buffer 1
		.amdhsa_user_sgpr_dispatch_ptr 0
		.amdhsa_user_sgpr_queue_ptr 0
		.amdhsa_user_sgpr_kernarg_segment_ptr 1
		.amdhsa_user_sgpr_dispatch_id 0
		.amdhsa_user_sgpr_flat_scratch_init 0
		.amdhsa_user_sgpr_kernarg_preload_length 0
		.amdhsa_user_sgpr_kernarg_preload_offset 0
		.amdhsa_user_sgpr_private_segment_size 0
		.amdhsa_uses_dynamic_stack 0
		.amdhsa_system_sgpr_private_segment_wavefront_offset 0
		.amdhsa_system_sgpr_workgroup_id_x 1
		.amdhsa_system_sgpr_workgroup_id_y 0
		.amdhsa_system_sgpr_workgroup_id_z 0
		.amdhsa_system_sgpr_workgroup_info 0
		.amdhsa_system_vgpr_workitem_id 0
		.amdhsa_next_free_vgpr 1
		.amdhsa_next_free_sgpr 0
		.amdhsa_accum_offset 4
		.amdhsa_reserve_vcc 0
		.amdhsa_reserve_flat_scratch 0
		.amdhsa_float_round_mode_32 0
		.amdhsa_float_round_mode_16_64 0
		.amdhsa_float_denorm_mode_32 3
		.amdhsa_float_denorm_mode_16_64 3
		.amdhsa_dx10_clamp 1
		.amdhsa_ieee_mode 1
		.amdhsa_fp16_overflow 0
		.amdhsa_tg_split 0
		.amdhsa_exception_fp_ieee_invalid_op 0
		.amdhsa_exception_fp_denorm_src 0
		.amdhsa_exception_fp_ieee_div_zero 0
		.amdhsa_exception_fp_ieee_overflow 0
		.amdhsa_exception_fp_ieee_underflow 0
		.amdhsa_exception_fp_ieee_inexact 0
		.amdhsa_exception_int_div_zero 0
	.end_amdhsa_kernel
	.section	.text._ZN7rocprim17ROCPRIM_400000_NS6detail17trampoline_kernelINS0_14default_configENS1_29binary_search_config_selectorIxN6thrust23THRUST_200600_302600_NS6detail10any_assignEEEZNS1_14transform_implILb0ES3_S9_NS7_15normal_iteratorINS6_10device_ptrIxEEEENS6_16discard_iteratorINS6_11use_defaultEEEZNS1_13binary_searchIS3_S9_SE_SE_SH_NS1_16binary_search_opENS7_16wrapped_functionINS0_4lessIvEEbEEEE10hipError_tPvRmT1_T2_T3_mmT4_T5_P12ihipStream_tbEUlRKxE_EESO_SS_ST_mSU_SX_bEUlT_E_NS1_11comp_targetILNS1_3genE3ELNS1_11target_archE908ELNS1_3gpuE7ELNS1_3repE0EEENS1_30default_config_static_selectorELNS0_4arch9wavefront6targetE1EEEvSR_,"axG",@progbits,_ZN7rocprim17ROCPRIM_400000_NS6detail17trampoline_kernelINS0_14default_configENS1_29binary_search_config_selectorIxN6thrust23THRUST_200600_302600_NS6detail10any_assignEEEZNS1_14transform_implILb0ES3_S9_NS7_15normal_iteratorINS6_10device_ptrIxEEEENS6_16discard_iteratorINS6_11use_defaultEEEZNS1_13binary_searchIS3_S9_SE_SE_SH_NS1_16binary_search_opENS7_16wrapped_functionINS0_4lessIvEEbEEEE10hipError_tPvRmT1_T2_T3_mmT4_T5_P12ihipStream_tbEUlRKxE_EESO_SS_ST_mSU_SX_bEUlT_E_NS1_11comp_targetILNS1_3genE3ELNS1_11target_archE908ELNS1_3gpuE7ELNS1_3repE0EEENS1_30default_config_static_selectorELNS0_4arch9wavefront6targetE1EEEvSR_,comdat
.Lfunc_end603:
	.size	_ZN7rocprim17ROCPRIM_400000_NS6detail17trampoline_kernelINS0_14default_configENS1_29binary_search_config_selectorIxN6thrust23THRUST_200600_302600_NS6detail10any_assignEEEZNS1_14transform_implILb0ES3_S9_NS7_15normal_iteratorINS6_10device_ptrIxEEEENS6_16discard_iteratorINS6_11use_defaultEEEZNS1_13binary_searchIS3_S9_SE_SE_SH_NS1_16binary_search_opENS7_16wrapped_functionINS0_4lessIvEEbEEEE10hipError_tPvRmT1_T2_T3_mmT4_T5_P12ihipStream_tbEUlRKxE_EESO_SS_ST_mSU_SX_bEUlT_E_NS1_11comp_targetILNS1_3genE3ELNS1_11target_archE908ELNS1_3gpuE7ELNS1_3repE0EEENS1_30default_config_static_selectorELNS0_4arch9wavefront6targetE1EEEvSR_, .Lfunc_end603-_ZN7rocprim17ROCPRIM_400000_NS6detail17trampoline_kernelINS0_14default_configENS1_29binary_search_config_selectorIxN6thrust23THRUST_200600_302600_NS6detail10any_assignEEEZNS1_14transform_implILb0ES3_S9_NS7_15normal_iteratorINS6_10device_ptrIxEEEENS6_16discard_iteratorINS6_11use_defaultEEEZNS1_13binary_searchIS3_S9_SE_SE_SH_NS1_16binary_search_opENS7_16wrapped_functionINS0_4lessIvEEbEEEE10hipError_tPvRmT1_T2_T3_mmT4_T5_P12ihipStream_tbEUlRKxE_EESO_SS_ST_mSU_SX_bEUlT_E_NS1_11comp_targetILNS1_3genE3ELNS1_11target_archE908ELNS1_3gpuE7ELNS1_3repE0EEENS1_30default_config_static_selectorELNS0_4arch9wavefront6targetE1EEEvSR_
                                        ; -- End function
	.section	.AMDGPU.csdata,"",@progbits
; Kernel info:
; codeLenInByte = 0
; NumSgprs: 4
; NumVgprs: 0
; NumAgprs: 0
; TotalNumVgprs: 0
; ScratchSize: 0
; MemoryBound: 0
; FloatMode: 240
; IeeeMode: 1
; LDSByteSize: 0 bytes/workgroup (compile time only)
; SGPRBlocks: 0
; VGPRBlocks: 0
; NumSGPRsForWavesPerEU: 4
; NumVGPRsForWavesPerEU: 1
; AccumOffset: 4
; Occupancy: 8
; WaveLimiterHint : 0
; COMPUTE_PGM_RSRC2:SCRATCH_EN: 0
; COMPUTE_PGM_RSRC2:USER_SGPR: 6
; COMPUTE_PGM_RSRC2:TRAP_HANDLER: 0
; COMPUTE_PGM_RSRC2:TGID_X_EN: 1
; COMPUTE_PGM_RSRC2:TGID_Y_EN: 0
; COMPUTE_PGM_RSRC2:TGID_Z_EN: 0
; COMPUTE_PGM_RSRC2:TIDIG_COMP_CNT: 0
; COMPUTE_PGM_RSRC3_GFX90A:ACCUM_OFFSET: 0
; COMPUTE_PGM_RSRC3_GFX90A:TG_SPLIT: 0
	.section	.text._ZN7rocprim17ROCPRIM_400000_NS6detail17trampoline_kernelINS0_14default_configENS1_29binary_search_config_selectorIxN6thrust23THRUST_200600_302600_NS6detail10any_assignEEEZNS1_14transform_implILb0ES3_S9_NS7_15normal_iteratorINS6_10device_ptrIxEEEENS6_16discard_iteratorINS6_11use_defaultEEEZNS1_13binary_searchIS3_S9_SE_SE_SH_NS1_16binary_search_opENS7_16wrapped_functionINS0_4lessIvEEbEEEE10hipError_tPvRmT1_T2_T3_mmT4_T5_P12ihipStream_tbEUlRKxE_EESO_SS_ST_mSU_SX_bEUlT_E_NS1_11comp_targetILNS1_3genE2ELNS1_11target_archE906ELNS1_3gpuE6ELNS1_3repE0EEENS1_30default_config_static_selectorELNS0_4arch9wavefront6targetE1EEEvSR_,"axG",@progbits,_ZN7rocprim17ROCPRIM_400000_NS6detail17trampoline_kernelINS0_14default_configENS1_29binary_search_config_selectorIxN6thrust23THRUST_200600_302600_NS6detail10any_assignEEEZNS1_14transform_implILb0ES3_S9_NS7_15normal_iteratorINS6_10device_ptrIxEEEENS6_16discard_iteratorINS6_11use_defaultEEEZNS1_13binary_searchIS3_S9_SE_SE_SH_NS1_16binary_search_opENS7_16wrapped_functionINS0_4lessIvEEbEEEE10hipError_tPvRmT1_T2_T3_mmT4_T5_P12ihipStream_tbEUlRKxE_EESO_SS_ST_mSU_SX_bEUlT_E_NS1_11comp_targetILNS1_3genE2ELNS1_11target_archE906ELNS1_3gpuE6ELNS1_3repE0EEENS1_30default_config_static_selectorELNS0_4arch9wavefront6targetE1EEEvSR_,comdat
	.protected	_ZN7rocprim17ROCPRIM_400000_NS6detail17trampoline_kernelINS0_14default_configENS1_29binary_search_config_selectorIxN6thrust23THRUST_200600_302600_NS6detail10any_assignEEEZNS1_14transform_implILb0ES3_S9_NS7_15normal_iteratorINS6_10device_ptrIxEEEENS6_16discard_iteratorINS6_11use_defaultEEEZNS1_13binary_searchIS3_S9_SE_SE_SH_NS1_16binary_search_opENS7_16wrapped_functionINS0_4lessIvEEbEEEE10hipError_tPvRmT1_T2_T3_mmT4_T5_P12ihipStream_tbEUlRKxE_EESO_SS_ST_mSU_SX_bEUlT_E_NS1_11comp_targetILNS1_3genE2ELNS1_11target_archE906ELNS1_3gpuE6ELNS1_3repE0EEENS1_30default_config_static_selectorELNS0_4arch9wavefront6targetE1EEEvSR_ ; -- Begin function _ZN7rocprim17ROCPRIM_400000_NS6detail17trampoline_kernelINS0_14default_configENS1_29binary_search_config_selectorIxN6thrust23THRUST_200600_302600_NS6detail10any_assignEEEZNS1_14transform_implILb0ES3_S9_NS7_15normal_iteratorINS6_10device_ptrIxEEEENS6_16discard_iteratorINS6_11use_defaultEEEZNS1_13binary_searchIS3_S9_SE_SE_SH_NS1_16binary_search_opENS7_16wrapped_functionINS0_4lessIvEEbEEEE10hipError_tPvRmT1_T2_T3_mmT4_T5_P12ihipStream_tbEUlRKxE_EESO_SS_ST_mSU_SX_bEUlT_E_NS1_11comp_targetILNS1_3genE2ELNS1_11target_archE906ELNS1_3gpuE6ELNS1_3repE0EEENS1_30default_config_static_selectorELNS0_4arch9wavefront6targetE1EEEvSR_
	.globl	_ZN7rocprim17ROCPRIM_400000_NS6detail17trampoline_kernelINS0_14default_configENS1_29binary_search_config_selectorIxN6thrust23THRUST_200600_302600_NS6detail10any_assignEEEZNS1_14transform_implILb0ES3_S9_NS7_15normal_iteratorINS6_10device_ptrIxEEEENS6_16discard_iteratorINS6_11use_defaultEEEZNS1_13binary_searchIS3_S9_SE_SE_SH_NS1_16binary_search_opENS7_16wrapped_functionINS0_4lessIvEEbEEEE10hipError_tPvRmT1_T2_T3_mmT4_T5_P12ihipStream_tbEUlRKxE_EESO_SS_ST_mSU_SX_bEUlT_E_NS1_11comp_targetILNS1_3genE2ELNS1_11target_archE906ELNS1_3gpuE6ELNS1_3repE0EEENS1_30default_config_static_selectorELNS0_4arch9wavefront6targetE1EEEvSR_
	.p2align	8
	.type	_ZN7rocprim17ROCPRIM_400000_NS6detail17trampoline_kernelINS0_14default_configENS1_29binary_search_config_selectorIxN6thrust23THRUST_200600_302600_NS6detail10any_assignEEEZNS1_14transform_implILb0ES3_S9_NS7_15normal_iteratorINS6_10device_ptrIxEEEENS6_16discard_iteratorINS6_11use_defaultEEEZNS1_13binary_searchIS3_S9_SE_SE_SH_NS1_16binary_search_opENS7_16wrapped_functionINS0_4lessIvEEbEEEE10hipError_tPvRmT1_T2_T3_mmT4_T5_P12ihipStream_tbEUlRKxE_EESO_SS_ST_mSU_SX_bEUlT_E_NS1_11comp_targetILNS1_3genE2ELNS1_11target_archE906ELNS1_3gpuE6ELNS1_3repE0EEENS1_30default_config_static_selectorELNS0_4arch9wavefront6targetE1EEEvSR_,@function
_ZN7rocprim17ROCPRIM_400000_NS6detail17trampoline_kernelINS0_14default_configENS1_29binary_search_config_selectorIxN6thrust23THRUST_200600_302600_NS6detail10any_assignEEEZNS1_14transform_implILb0ES3_S9_NS7_15normal_iteratorINS6_10device_ptrIxEEEENS6_16discard_iteratorINS6_11use_defaultEEEZNS1_13binary_searchIS3_S9_SE_SE_SH_NS1_16binary_search_opENS7_16wrapped_functionINS0_4lessIvEEbEEEE10hipError_tPvRmT1_T2_T3_mmT4_T5_P12ihipStream_tbEUlRKxE_EESO_SS_ST_mSU_SX_bEUlT_E_NS1_11comp_targetILNS1_3genE2ELNS1_11target_archE906ELNS1_3gpuE6ELNS1_3repE0EEENS1_30default_config_static_selectorELNS0_4arch9wavefront6targetE1EEEvSR_: ; @_ZN7rocprim17ROCPRIM_400000_NS6detail17trampoline_kernelINS0_14default_configENS1_29binary_search_config_selectorIxN6thrust23THRUST_200600_302600_NS6detail10any_assignEEEZNS1_14transform_implILb0ES3_S9_NS7_15normal_iteratorINS6_10device_ptrIxEEEENS6_16discard_iteratorINS6_11use_defaultEEEZNS1_13binary_searchIS3_S9_SE_SE_SH_NS1_16binary_search_opENS7_16wrapped_functionINS0_4lessIvEEbEEEE10hipError_tPvRmT1_T2_T3_mmT4_T5_P12ihipStream_tbEUlRKxE_EESO_SS_ST_mSU_SX_bEUlT_E_NS1_11comp_targetILNS1_3genE2ELNS1_11target_archE906ELNS1_3gpuE6ELNS1_3repE0EEENS1_30default_config_static_selectorELNS0_4arch9wavefront6targetE1EEEvSR_
; %bb.0:
	.section	.rodata,"a",@progbits
	.p2align	6, 0x0
	.amdhsa_kernel _ZN7rocprim17ROCPRIM_400000_NS6detail17trampoline_kernelINS0_14default_configENS1_29binary_search_config_selectorIxN6thrust23THRUST_200600_302600_NS6detail10any_assignEEEZNS1_14transform_implILb0ES3_S9_NS7_15normal_iteratorINS6_10device_ptrIxEEEENS6_16discard_iteratorINS6_11use_defaultEEEZNS1_13binary_searchIS3_S9_SE_SE_SH_NS1_16binary_search_opENS7_16wrapped_functionINS0_4lessIvEEbEEEE10hipError_tPvRmT1_T2_T3_mmT4_T5_P12ihipStream_tbEUlRKxE_EESO_SS_ST_mSU_SX_bEUlT_E_NS1_11comp_targetILNS1_3genE2ELNS1_11target_archE906ELNS1_3gpuE6ELNS1_3repE0EEENS1_30default_config_static_selectorELNS0_4arch9wavefront6targetE1EEEvSR_
		.amdhsa_group_segment_fixed_size 0
		.amdhsa_private_segment_fixed_size 0
		.amdhsa_kernarg_size 64
		.amdhsa_user_sgpr_count 6
		.amdhsa_user_sgpr_private_segment_buffer 1
		.amdhsa_user_sgpr_dispatch_ptr 0
		.amdhsa_user_sgpr_queue_ptr 0
		.amdhsa_user_sgpr_kernarg_segment_ptr 1
		.amdhsa_user_sgpr_dispatch_id 0
		.amdhsa_user_sgpr_flat_scratch_init 0
		.amdhsa_user_sgpr_kernarg_preload_length 0
		.amdhsa_user_sgpr_kernarg_preload_offset 0
		.amdhsa_user_sgpr_private_segment_size 0
		.amdhsa_uses_dynamic_stack 0
		.amdhsa_system_sgpr_private_segment_wavefront_offset 0
		.amdhsa_system_sgpr_workgroup_id_x 1
		.amdhsa_system_sgpr_workgroup_id_y 0
		.amdhsa_system_sgpr_workgroup_id_z 0
		.amdhsa_system_sgpr_workgroup_info 0
		.amdhsa_system_vgpr_workitem_id 0
		.amdhsa_next_free_vgpr 1
		.amdhsa_next_free_sgpr 0
		.amdhsa_accum_offset 4
		.amdhsa_reserve_vcc 0
		.amdhsa_reserve_flat_scratch 0
		.amdhsa_float_round_mode_32 0
		.amdhsa_float_round_mode_16_64 0
		.amdhsa_float_denorm_mode_32 3
		.amdhsa_float_denorm_mode_16_64 3
		.amdhsa_dx10_clamp 1
		.amdhsa_ieee_mode 1
		.amdhsa_fp16_overflow 0
		.amdhsa_tg_split 0
		.amdhsa_exception_fp_ieee_invalid_op 0
		.amdhsa_exception_fp_denorm_src 0
		.amdhsa_exception_fp_ieee_div_zero 0
		.amdhsa_exception_fp_ieee_overflow 0
		.amdhsa_exception_fp_ieee_underflow 0
		.amdhsa_exception_fp_ieee_inexact 0
		.amdhsa_exception_int_div_zero 0
	.end_amdhsa_kernel
	.section	.text._ZN7rocprim17ROCPRIM_400000_NS6detail17trampoline_kernelINS0_14default_configENS1_29binary_search_config_selectorIxN6thrust23THRUST_200600_302600_NS6detail10any_assignEEEZNS1_14transform_implILb0ES3_S9_NS7_15normal_iteratorINS6_10device_ptrIxEEEENS6_16discard_iteratorINS6_11use_defaultEEEZNS1_13binary_searchIS3_S9_SE_SE_SH_NS1_16binary_search_opENS7_16wrapped_functionINS0_4lessIvEEbEEEE10hipError_tPvRmT1_T2_T3_mmT4_T5_P12ihipStream_tbEUlRKxE_EESO_SS_ST_mSU_SX_bEUlT_E_NS1_11comp_targetILNS1_3genE2ELNS1_11target_archE906ELNS1_3gpuE6ELNS1_3repE0EEENS1_30default_config_static_selectorELNS0_4arch9wavefront6targetE1EEEvSR_,"axG",@progbits,_ZN7rocprim17ROCPRIM_400000_NS6detail17trampoline_kernelINS0_14default_configENS1_29binary_search_config_selectorIxN6thrust23THRUST_200600_302600_NS6detail10any_assignEEEZNS1_14transform_implILb0ES3_S9_NS7_15normal_iteratorINS6_10device_ptrIxEEEENS6_16discard_iteratorINS6_11use_defaultEEEZNS1_13binary_searchIS3_S9_SE_SE_SH_NS1_16binary_search_opENS7_16wrapped_functionINS0_4lessIvEEbEEEE10hipError_tPvRmT1_T2_T3_mmT4_T5_P12ihipStream_tbEUlRKxE_EESO_SS_ST_mSU_SX_bEUlT_E_NS1_11comp_targetILNS1_3genE2ELNS1_11target_archE906ELNS1_3gpuE6ELNS1_3repE0EEENS1_30default_config_static_selectorELNS0_4arch9wavefront6targetE1EEEvSR_,comdat
.Lfunc_end604:
	.size	_ZN7rocprim17ROCPRIM_400000_NS6detail17trampoline_kernelINS0_14default_configENS1_29binary_search_config_selectorIxN6thrust23THRUST_200600_302600_NS6detail10any_assignEEEZNS1_14transform_implILb0ES3_S9_NS7_15normal_iteratorINS6_10device_ptrIxEEEENS6_16discard_iteratorINS6_11use_defaultEEEZNS1_13binary_searchIS3_S9_SE_SE_SH_NS1_16binary_search_opENS7_16wrapped_functionINS0_4lessIvEEbEEEE10hipError_tPvRmT1_T2_T3_mmT4_T5_P12ihipStream_tbEUlRKxE_EESO_SS_ST_mSU_SX_bEUlT_E_NS1_11comp_targetILNS1_3genE2ELNS1_11target_archE906ELNS1_3gpuE6ELNS1_3repE0EEENS1_30default_config_static_selectorELNS0_4arch9wavefront6targetE1EEEvSR_, .Lfunc_end604-_ZN7rocprim17ROCPRIM_400000_NS6detail17trampoline_kernelINS0_14default_configENS1_29binary_search_config_selectorIxN6thrust23THRUST_200600_302600_NS6detail10any_assignEEEZNS1_14transform_implILb0ES3_S9_NS7_15normal_iteratorINS6_10device_ptrIxEEEENS6_16discard_iteratorINS6_11use_defaultEEEZNS1_13binary_searchIS3_S9_SE_SE_SH_NS1_16binary_search_opENS7_16wrapped_functionINS0_4lessIvEEbEEEE10hipError_tPvRmT1_T2_T3_mmT4_T5_P12ihipStream_tbEUlRKxE_EESO_SS_ST_mSU_SX_bEUlT_E_NS1_11comp_targetILNS1_3genE2ELNS1_11target_archE906ELNS1_3gpuE6ELNS1_3repE0EEENS1_30default_config_static_selectorELNS0_4arch9wavefront6targetE1EEEvSR_
                                        ; -- End function
	.section	.AMDGPU.csdata,"",@progbits
; Kernel info:
; codeLenInByte = 0
; NumSgprs: 4
; NumVgprs: 0
; NumAgprs: 0
; TotalNumVgprs: 0
; ScratchSize: 0
; MemoryBound: 0
; FloatMode: 240
; IeeeMode: 1
; LDSByteSize: 0 bytes/workgroup (compile time only)
; SGPRBlocks: 0
; VGPRBlocks: 0
; NumSGPRsForWavesPerEU: 4
; NumVGPRsForWavesPerEU: 1
; AccumOffset: 4
; Occupancy: 8
; WaveLimiterHint : 0
; COMPUTE_PGM_RSRC2:SCRATCH_EN: 0
; COMPUTE_PGM_RSRC2:USER_SGPR: 6
; COMPUTE_PGM_RSRC2:TRAP_HANDLER: 0
; COMPUTE_PGM_RSRC2:TGID_X_EN: 1
; COMPUTE_PGM_RSRC2:TGID_Y_EN: 0
; COMPUTE_PGM_RSRC2:TGID_Z_EN: 0
; COMPUTE_PGM_RSRC2:TIDIG_COMP_CNT: 0
; COMPUTE_PGM_RSRC3_GFX90A:ACCUM_OFFSET: 0
; COMPUTE_PGM_RSRC3_GFX90A:TG_SPLIT: 0
	.section	.text._ZN7rocprim17ROCPRIM_400000_NS6detail17trampoline_kernelINS0_14default_configENS1_29binary_search_config_selectorIxN6thrust23THRUST_200600_302600_NS6detail10any_assignEEEZNS1_14transform_implILb0ES3_S9_NS7_15normal_iteratorINS6_10device_ptrIxEEEENS6_16discard_iteratorINS6_11use_defaultEEEZNS1_13binary_searchIS3_S9_SE_SE_SH_NS1_16binary_search_opENS7_16wrapped_functionINS0_4lessIvEEbEEEE10hipError_tPvRmT1_T2_T3_mmT4_T5_P12ihipStream_tbEUlRKxE_EESO_SS_ST_mSU_SX_bEUlT_E_NS1_11comp_targetILNS1_3genE10ELNS1_11target_archE1201ELNS1_3gpuE5ELNS1_3repE0EEENS1_30default_config_static_selectorELNS0_4arch9wavefront6targetE1EEEvSR_,"axG",@progbits,_ZN7rocprim17ROCPRIM_400000_NS6detail17trampoline_kernelINS0_14default_configENS1_29binary_search_config_selectorIxN6thrust23THRUST_200600_302600_NS6detail10any_assignEEEZNS1_14transform_implILb0ES3_S9_NS7_15normal_iteratorINS6_10device_ptrIxEEEENS6_16discard_iteratorINS6_11use_defaultEEEZNS1_13binary_searchIS3_S9_SE_SE_SH_NS1_16binary_search_opENS7_16wrapped_functionINS0_4lessIvEEbEEEE10hipError_tPvRmT1_T2_T3_mmT4_T5_P12ihipStream_tbEUlRKxE_EESO_SS_ST_mSU_SX_bEUlT_E_NS1_11comp_targetILNS1_3genE10ELNS1_11target_archE1201ELNS1_3gpuE5ELNS1_3repE0EEENS1_30default_config_static_selectorELNS0_4arch9wavefront6targetE1EEEvSR_,comdat
	.protected	_ZN7rocprim17ROCPRIM_400000_NS6detail17trampoline_kernelINS0_14default_configENS1_29binary_search_config_selectorIxN6thrust23THRUST_200600_302600_NS6detail10any_assignEEEZNS1_14transform_implILb0ES3_S9_NS7_15normal_iteratorINS6_10device_ptrIxEEEENS6_16discard_iteratorINS6_11use_defaultEEEZNS1_13binary_searchIS3_S9_SE_SE_SH_NS1_16binary_search_opENS7_16wrapped_functionINS0_4lessIvEEbEEEE10hipError_tPvRmT1_T2_T3_mmT4_T5_P12ihipStream_tbEUlRKxE_EESO_SS_ST_mSU_SX_bEUlT_E_NS1_11comp_targetILNS1_3genE10ELNS1_11target_archE1201ELNS1_3gpuE5ELNS1_3repE0EEENS1_30default_config_static_selectorELNS0_4arch9wavefront6targetE1EEEvSR_ ; -- Begin function _ZN7rocprim17ROCPRIM_400000_NS6detail17trampoline_kernelINS0_14default_configENS1_29binary_search_config_selectorIxN6thrust23THRUST_200600_302600_NS6detail10any_assignEEEZNS1_14transform_implILb0ES3_S9_NS7_15normal_iteratorINS6_10device_ptrIxEEEENS6_16discard_iteratorINS6_11use_defaultEEEZNS1_13binary_searchIS3_S9_SE_SE_SH_NS1_16binary_search_opENS7_16wrapped_functionINS0_4lessIvEEbEEEE10hipError_tPvRmT1_T2_T3_mmT4_T5_P12ihipStream_tbEUlRKxE_EESO_SS_ST_mSU_SX_bEUlT_E_NS1_11comp_targetILNS1_3genE10ELNS1_11target_archE1201ELNS1_3gpuE5ELNS1_3repE0EEENS1_30default_config_static_selectorELNS0_4arch9wavefront6targetE1EEEvSR_
	.globl	_ZN7rocprim17ROCPRIM_400000_NS6detail17trampoline_kernelINS0_14default_configENS1_29binary_search_config_selectorIxN6thrust23THRUST_200600_302600_NS6detail10any_assignEEEZNS1_14transform_implILb0ES3_S9_NS7_15normal_iteratorINS6_10device_ptrIxEEEENS6_16discard_iteratorINS6_11use_defaultEEEZNS1_13binary_searchIS3_S9_SE_SE_SH_NS1_16binary_search_opENS7_16wrapped_functionINS0_4lessIvEEbEEEE10hipError_tPvRmT1_T2_T3_mmT4_T5_P12ihipStream_tbEUlRKxE_EESO_SS_ST_mSU_SX_bEUlT_E_NS1_11comp_targetILNS1_3genE10ELNS1_11target_archE1201ELNS1_3gpuE5ELNS1_3repE0EEENS1_30default_config_static_selectorELNS0_4arch9wavefront6targetE1EEEvSR_
	.p2align	8
	.type	_ZN7rocprim17ROCPRIM_400000_NS6detail17trampoline_kernelINS0_14default_configENS1_29binary_search_config_selectorIxN6thrust23THRUST_200600_302600_NS6detail10any_assignEEEZNS1_14transform_implILb0ES3_S9_NS7_15normal_iteratorINS6_10device_ptrIxEEEENS6_16discard_iteratorINS6_11use_defaultEEEZNS1_13binary_searchIS3_S9_SE_SE_SH_NS1_16binary_search_opENS7_16wrapped_functionINS0_4lessIvEEbEEEE10hipError_tPvRmT1_T2_T3_mmT4_T5_P12ihipStream_tbEUlRKxE_EESO_SS_ST_mSU_SX_bEUlT_E_NS1_11comp_targetILNS1_3genE10ELNS1_11target_archE1201ELNS1_3gpuE5ELNS1_3repE0EEENS1_30default_config_static_selectorELNS0_4arch9wavefront6targetE1EEEvSR_,@function
_ZN7rocprim17ROCPRIM_400000_NS6detail17trampoline_kernelINS0_14default_configENS1_29binary_search_config_selectorIxN6thrust23THRUST_200600_302600_NS6detail10any_assignEEEZNS1_14transform_implILb0ES3_S9_NS7_15normal_iteratorINS6_10device_ptrIxEEEENS6_16discard_iteratorINS6_11use_defaultEEEZNS1_13binary_searchIS3_S9_SE_SE_SH_NS1_16binary_search_opENS7_16wrapped_functionINS0_4lessIvEEbEEEE10hipError_tPvRmT1_T2_T3_mmT4_T5_P12ihipStream_tbEUlRKxE_EESO_SS_ST_mSU_SX_bEUlT_E_NS1_11comp_targetILNS1_3genE10ELNS1_11target_archE1201ELNS1_3gpuE5ELNS1_3repE0EEENS1_30default_config_static_selectorELNS0_4arch9wavefront6targetE1EEEvSR_: ; @_ZN7rocprim17ROCPRIM_400000_NS6detail17trampoline_kernelINS0_14default_configENS1_29binary_search_config_selectorIxN6thrust23THRUST_200600_302600_NS6detail10any_assignEEEZNS1_14transform_implILb0ES3_S9_NS7_15normal_iteratorINS6_10device_ptrIxEEEENS6_16discard_iteratorINS6_11use_defaultEEEZNS1_13binary_searchIS3_S9_SE_SE_SH_NS1_16binary_search_opENS7_16wrapped_functionINS0_4lessIvEEbEEEE10hipError_tPvRmT1_T2_T3_mmT4_T5_P12ihipStream_tbEUlRKxE_EESO_SS_ST_mSU_SX_bEUlT_E_NS1_11comp_targetILNS1_3genE10ELNS1_11target_archE1201ELNS1_3gpuE5ELNS1_3repE0EEENS1_30default_config_static_selectorELNS0_4arch9wavefront6targetE1EEEvSR_
; %bb.0:
	.section	.rodata,"a",@progbits
	.p2align	6, 0x0
	.amdhsa_kernel _ZN7rocprim17ROCPRIM_400000_NS6detail17trampoline_kernelINS0_14default_configENS1_29binary_search_config_selectorIxN6thrust23THRUST_200600_302600_NS6detail10any_assignEEEZNS1_14transform_implILb0ES3_S9_NS7_15normal_iteratorINS6_10device_ptrIxEEEENS6_16discard_iteratorINS6_11use_defaultEEEZNS1_13binary_searchIS3_S9_SE_SE_SH_NS1_16binary_search_opENS7_16wrapped_functionINS0_4lessIvEEbEEEE10hipError_tPvRmT1_T2_T3_mmT4_T5_P12ihipStream_tbEUlRKxE_EESO_SS_ST_mSU_SX_bEUlT_E_NS1_11comp_targetILNS1_3genE10ELNS1_11target_archE1201ELNS1_3gpuE5ELNS1_3repE0EEENS1_30default_config_static_selectorELNS0_4arch9wavefront6targetE1EEEvSR_
		.amdhsa_group_segment_fixed_size 0
		.amdhsa_private_segment_fixed_size 0
		.amdhsa_kernarg_size 64
		.amdhsa_user_sgpr_count 6
		.amdhsa_user_sgpr_private_segment_buffer 1
		.amdhsa_user_sgpr_dispatch_ptr 0
		.amdhsa_user_sgpr_queue_ptr 0
		.amdhsa_user_sgpr_kernarg_segment_ptr 1
		.amdhsa_user_sgpr_dispatch_id 0
		.amdhsa_user_sgpr_flat_scratch_init 0
		.amdhsa_user_sgpr_kernarg_preload_length 0
		.amdhsa_user_sgpr_kernarg_preload_offset 0
		.amdhsa_user_sgpr_private_segment_size 0
		.amdhsa_uses_dynamic_stack 0
		.amdhsa_system_sgpr_private_segment_wavefront_offset 0
		.amdhsa_system_sgpr_workgroup_id_x 1
		.amdhsa_system_sgpr_workgroup_id_y 0
		.amdhsa_system_sgpr_workgroup_id_z 0
		.amdhsa_system_sgpr_workgroup_info 0
		.amdhsa_system_vgpr_workitem_id 0
		.amdhsa_next_free_vgpr 1
		.amdhsa_next_free_sgpr 0
		.amdhsa_accum_offset 4
		.amdhsa_reserve_vcc 0
		.amdhsa_reserve_flat_scratch 0
		.amdhsa_float_round_mode_32 0
		.amdhsa_float_round_mode_16_64 0
		.amdhsa_float_denorm_mode_32 3
		.amdhsa_float_denorm_mode_16_64 3
		.amdhsa_dx10_clamp 1
		.amdhsa_ieee_mode 1
		.amdhsa_fp16_overflow 0
		.amdhsa_tg_split 0
		.amdhsa_exception_fp_ieee_invalid_op 0
		.amdhsa_exception_fp_denorm_src 0
		.amdhsa_exception_fp_ieee_div_zero 0
		.amdhsa_exception_fp_ieee_overflow 0
		.amdhsa_exception_fp_ieee_underflow 0
		.amdhsa_exception_fp_ieee_inexact 0
		.amdhsa_exception_int_div_zero 0
	.end_amdhsa_kernel
	.section	.text._ZN7rocprim17ROCPRIM_400000_NS6detail17trampoline_kernelINS0_14default_configENS1_29binary_search_config_selectorIxN6thrust23THRUST_200600_302600_NS6detail10any_assignEEEZNS1_14transform_implILb0ES3_S9_NS7_15normal_iteratorINS6_10device_ptrIxEEEENS6_16discard_iteratorINS6_11use_defaultEEEZNS1_13binary_searchIS3_S9_SE_SE_SH_NS1_16binary_search_opENS7_16wrapped_functionINS0_4lessIvEEbEEEE10hipError_tPvRmT1_T2_T3_mmT4_T5_P12ihipStream_tbEUlRKxE_EESO_SS_ST_mSU_SX_bEUlT_E_NS1_11comp_targetILNS1_3genE10ELNS1_11target_archE1201ELNS1_3gpuE5ELNS1_3repE0EEENS1_30default_config_static_selectorELNS0_4arch9wavefront6targetE1EEEvSR_,"axG",@progbits,_ZN7rocprim17ROCPRIM_400000_NS6detail17trampoline_kernelINS0_14default_configENS1_29binary_search_config_selectorIxN6thrust23THRUST_200600_302600_NS6detail10any_assignEEEZNS1_14transform_implILb0ES3_S9_NS7_15normal_iteratorINS6_10device_ptrIxEEEENS6_16discard_iteratorINS6_11use_defaultEEEZNS1_13binary_searchIS3_S9_SE_SE_SH_NS1_16binary_search_opENS7_16wrapped_functionINS0_4lessIvEEbEEEE10hipError_tPvRmT1_T2_T3_mmT4_T5_P12ihipStream_tbEUlRKxE_EESO_SS_ST_mSU_SX_bEUlT_E_NS1_11comp_targetILNS1_3genE10ELNS1_11target_archE1201ELNS1_3gpuE5ELNS1_3repE0EEENS1_30default_config_static_selectorELNS0_4arch9wavefront6targetE1EEEvSR_,comdat
.Lfunc_end605:
	.size	_ZN7rocprim17ROCPRIM_400000_NS6detail17trampoline_kernelINS0_14default_configENS1_29binary_search_config_selectorIxN6thrust23THRUST_200600_302600_NS6detail10any_assignEEEZNS1_14transform_implILb0ES3_S9_NS7_15normal_iteratorINS6_10device_ptrIxEEEENS6_16discard_iteratorINS6_11use_defaultEEEZNS1_13binary_searchIS3_S9_SE_SE_SH_NS1_16binary_search_opENS7_16wrapped_functionINS0_4lessIvEEbEEEE10hipError_tPvRmT1_T2_T3_mmT4_T5_P12ihipStream_tbEUlRKxE_EESO_SS_ST_mSU_SX_bEUlT_E_NS1_11comp_targetILNS1_3genE10ELNS1_11target_archE1201ELNS1_3gpuE5ELNS1_3repE0EEENS1_30default_config_static_selectorELNS0_4arch9wavefront6targetE1EEEvSR_, .Lfunc_end605-_ZN7rocprim17ROCPRIM_400000_NS6detail17trampoline_kernelINS0_14default_configENS1_29binary_search_config_selectorIxN6thrust23THRUST_200600_302600_NS6detail10any_assignEEEZNS1_14transform_implILb0ES3_S9_NS7_15normal_iteratorINS6_10device_ptrIxEEEENS6_16discard_iteratorINS6_11use_defaultEEEZNS1_13binary_searchIS3_S9_SE_SE_SH_NS1_16binary_search_opENS7_16wrapped_functionINS0_4lessIvEEbEEEE10hipError_tPvRmT1_T2_T3_mmT4_T5_P12ihipStream_tbEUlRKxE_EESO_SS_ST_mSU_SX_bEUlT_E_NS1_11comp_targetILNS1_3genE10ELNS1_11target_archE1201ELNS1_3gpuE5ELNS1_3repE0EEENS1_30default_config_static_selectorELNS0_4arch9wavefront6targetE1EEEvSR_
                                        ; -- End function
	.section	.AMDGPU.csdata,"",@progbits
; Kernel info:
; codeLenInByte = 0
; NumSgprs: 4
; NumVgprs: 0
; NumAgprs: 0
; TotalNumVgprs: 0
; ScratchSize: 0
; MemoryBound: 0
; FloatMode: 240
; IeeeMode: 1
; LDSByteSize: 0 bytes/workgroup (compile time only)
; SGPRBlocks: 0
; VGPRBlocks: 0
; NumSGPRsForWavesPerEU: 4
; NumVGPRsForWavesPerEU: 1
; AccumOffset: 4
; Occupancy: 8
; WaveLimiterHint : 0
; COMPUTE_PGM_RSRC2:SCRATCH_EN: 0
; COMPUTE_PGM_RSRC2:USER_SGPR: 6
; COMPUTE_PGM_RSRC2:TRAP_HANDLER: 0
; COMPUTE_PGM_RSRC2:TGID_X_EN: 1
; COMPUTE_PGM_RSRC2:TGID_Y_EN: 0
; COMPUTE_PGM_RSRC2:TGID_Z_EN: 0
; COMPUTE_PGM_RSRC2:TIDIG_COMP_CNT: 0
; COMPUTE_PGM_RSRC3_GFX90A:ACCUM_OFFSET: 0
; COMPUTE_PGM_RSRC3_GFX90A:TG_SPLIT: 0
	.section	.text._ZN7rocprim17ROCPRIM_400000_NS6detail17trampoline_kernelINS0_14default_configENS1_29binary_search_config_selectorIxN6thrust23THRUST_200600_302600_NS6detail10any_assignEEEZNS1_14transform_implILb0ES3_S9_NS7_15normal_iteratorINS6_10device_ptrIxEEEENS6_16discard_iteratorINS6_11use_defaultEEEZNS1_13binary_searchIS3_S9_SE_SE_SH_NS1_16binary_search_opENS7_16wrapped_functionINS0_4lessIvEEbEEEE10hipError_tPvRmT1_T2_T3_mmT4_T5_P12ihipStream_tbEUlRKxE_EESO_SS_ST_mSU_SX_bEUlT_E_NS1_11comp_targetILNS1_3genE10ELNS1_11target_archE1200ELNS1_3gpuE4ELNS1_3repE0EEENS1_30default_config_static_selectorELNS0_4arch9wavefront6targetE1EEEvSR_,"axG",@progbits,_ZN7rocprim17ROCPRIM_400000_NS6detail17trampoline_kernelINS0_14default_configENS1_29binary_search_config_selectorIxN6thrust23THRUST_200600_302600_NS6detail10any_assignEEEZNS1_14transform_implILb0ES3_S9_NS7_15normal_iteratorINS6_10device_ptrIxEEEENS6_16discard_iteratorINS6_11use_defaultEEEZNS1_13binary_searchIS3_S9_SE_SE_SH_NS1_16binary_search_opENS7_16wrapped_functionINS0_4lessIvEEbEEEE10hipError_tPvRmT1_T2_T3_mmT4_T5_P12ihipStream_tbEUlRKxE_EESO_SS_ST_mSU_SX_bEUlT_E_NS1_11comp_targetILNS1_3genE10ELNS1_11target_archE1200ELNS1_3gpuE4ELNS1_3repE0EEENS1_30default_config_static_selectorELNS0_4arch9wavefront6targetE1EEEvSR_,comdat
	.protected	_ZN7rocprim17ROCPRIM_400000_NS6detail17trampoline_kernelINS0_14default_configENS1_29binary_search_config_selectorIxN6thrust23THRUST_200600_302600_NS6detail10any_assignEEEZNS1_14transform_implILb0ES3_S9_NS7_15normal_iteratorINS6_10device_ptrIxEEEENS6_16discard_iteratorINS6_11use_defaultEEEZNS1_13binary_searchIS3_S9_SE_SE_SH_NS1_16binary_search_opENS7_16wrapped_functionINS0_4lessIvEEbEEEE10hipError_tPvRmT1_T2_T3_mmT4_T5_P12ihipStream_tbEUlRKxE_EESO_SS_ST_mSU_SX_bEUlT_E_NS1_11comp_targetILNS1_3genE10ELNS1_11target_archE1200ELNS1_3gpuE4ELNS1_3repE0EEENS1_30default_config_static_selectorELNS0_4arch9wavefront6targetE1EEEvSR_ ; -- Begin function _ZN7rocprim17ROCPRIM_400000_NS6detail17trampoline_kernelINS0_14default_configENS1_29binary_search_config_selectorIxN6thrust23THRUST_200600_302600_NS6detail10any_assignEEEZNS1_14transform_implILb0ES3_S9_NS7_15normal_iteratorINS6_10device_ptrIxEEEENS6_16discard_iteratorINS6_11use_defaultEEEZNS1_13binary_searchIS3_S9_SE_SE_SH_NS1_16binary_search_opENS7_16wrapped_functionINS0_4lessIvEEbEEEE10hipError_tPvRmT1_T2_T3_mmT4_T5_P12ihipStream_tbEUlRKxE_EESO_SS_ST_mSU_SX_bEUlT_E_NS1_11comp_targetILNS1_3genE10ELNS1_11target_archE1200ELNS1_3gpuE4ELNS1_3repE0EEENS1_30default_config_static_selectorELNS0_4arch9wavefront6targetE1EEEvSR_
	.globl	_ZN7rocprim17ROCPRIM_400000_NS6detail17trampoline_kernelINS0_14default_configENS1_29binary_search_config_selectorIxN6thrust23THRUST_200600_302600_NS6detail10any_assignEEEZNS1_14transform_implILb0ES3_S9_NS7_15normal_iteratorINS6_10device_ptrIxEEEENS6_16discard_iteratorINS6_11use_defaultEEEZNS1_13binary_searchIS3_S9_SE_SE_SH_NS1_16binary_search_opENS7_16wrapped_functionINS0_4lessIvEEbEEEE10hipError_tPvRmT1_T2_T3_mmT4_T5_P12ihipStream_tbEUlRKxE_EESO_SS_ST_mSU_SX_bEUlT_E_NS1_11comp_targetILNS1_3genE10ELNS1_11target_archE1200ELNS1_3gpuE4ELNS1_3repE0EEENS1_30default_config_static_selectorELNS0_4arch9wavefront6targetE1EEEvSR_
	.p2align	8
	.type	_ZN7rocprim17ROCPRIM_400000_NS6detail17trampoline_kernelINS0_14default_configENS1_29binary_search_config_selectorIxN6thrust23THRUST_200600_302600_NS6detail10any_assignEEEZNS1_14transform_implILb0ES3_S9_NS7_15normal_iteratorINS6_10device_ptrIxEEEENS6_16discard_iteratorINS6_11use_defaultEEEZNS1_13binary_searchIS3_S9_SE_SE_SH_NS1_16binary_search_opENS7_16wrapped_functionINS0_4lessIvEEbEEEE10hipError_tPvRmT1_T2_T3_mmT4_T5_P12ihipStream_tbEUlRKxE_EESO_SS_ST_mSU_SX_bEUlT_E_NS1_11comp_targetILNS1_3genE10ELNS1_11target_archE1200ELNS1_3gpuE4ELNS1_3repE0EEENS1_30default_config_static_selectorELNS0_4arch9wavefront6targetE1EEEvSR_,@function
_ZN7rocprim17ROCPRIM_400000_NS6detail17trampoline_kernelINS0_14default_configENS1_29binary_search_config_selectorIxN6thrust23THRUST_200600_302600_NS6detail10any_assignEEEZNS1_14transform_implILb0ES3_S9_NS7_15normal_iteratorINS6_10device_ptrIxEEEENS6_16discard_iteratorINS6_11use_defaultEEEZNS1_13binary_searchIS3_S9_SE_SE_SH_NS1_16binary_search_opENS7_16wrapped_functionINS0_4lessIvEEbEEEE10hipError_tPvRmT1_T2_T3_mmT4_T5_P12ihipStream_tbEUlRKxE_EESO_SS_ST_mSU_SX_bEUlT_E_NS1_11comp_targetILNS1_3genE10ELNS1_11target_archE1200ELNS1_3gpuE4ELNS1_3repE0EEENS1_30default_config_static_selectorELNS0_4arch9wavefront6targetE1EEEvSR_: ; @_ZN7rocprim17ROCPRIM_400000_NS6detail17trampoline_kernelINS0_14default_configENS1_29binary_search_config_selectorIxN6thrust23THRUST_200600_302600_NS6detail10any_assignEEEZNS1_14transform_implILb0ES3_S9_NS7_15normal_iteratorINS6_10device_ptrIxEEEENS6_16discard_iteratorINS6_11use_defaultEEEZNS1_13binary_searchIS3_S9_SE_SE_SH_NS1_16binary_search_opENS7_16wrapped_functionINS0_4lessIvEEbEEEE10hipError_tPvRmT1_T2_T3_mmT4_T5_P12ihipStream_tbEUlRKxE_EESO_SS_ST_mSU_SX_bEUlT_E_NS1_11comp_targetILNS1_3genE10ELNS1_11target_archE1200ELNS1_3gpuE4ELNS1_3repE0EEENS1_30default_config_static_selectorELNS0_4arch9wavefront6targetE1EEEvSR_
; %bb.0:
	.section	.rodata,"a",@progbits
	.p2align	6, 0x0
	.amdhsa_kernel _ZN7rocprim17ROCPRIM_400000_NS6detail17trampoline_kernelINS0_14default_configENS1_29binary_search_config_selectorIxN6thrust23THRUST_200600_302600_NS6detail10any_assignEEEZNS1_14transform_implILb0ES3_S9_NS7_15normal_iteratorINS6_10device_ptrIxEEEENS6_16discard_iteratorINS6_11use_defaultEEEZNS1_13binary_searchIS3_S9_SE_SE_SH_NS1_16binary_search_opENS7_16wrapped_functionINS0_4lessIvEEbEEEE10hipError_tPvRmT1_T2_T3_mmT4_T5_P12ihipStream_tbEUlRKxE_EESO_SS_ST_mSU_SX_bEUlT_E_NS1_11comp_targetILNS1_3genE10ELNS1_11target_archE1200ELNS1_3gpuE4ELNS1_3repE0EEENS1_30default_config_static_selectorELNS0_4arch9wavefront6targetE1EEEvSR_
		.amdhsa_group_segment_fixed_size 0
		.amdhsa_private_segment_fixed_size 0
		.amdhsa_kernarg_size 64
		.amdhsa_user_sgpr_count 6
		.amdhsa_user_sgpr_private_segment_buffer 1
		.amdhsa_user_sgpr_dispatch_ptr 0
		.amdhsa_user_sgpr_queue_ptr 0
		.amdhsa_user_sgpr_kernarg_segment_ptr 1
		.amdhsa_user_sgpr_dispatch_id 0
		.amdhsa_user_sgpr_flat_scratch_init 0
		.amdhsa_user_sgpr_kernarg_preload_length 0
		.amdhsa_user_sgpr_kernarg_preload_offset 0
		.amdhsa_user_sgpr_private_segment_size 0
		.amdhsa_uses_dynamic_stack 0
		.amdhsa_system_sgpr_private_segment_wavefront_offset 0
		.amdhsa_system_sgpr_workgroup_id_x 1
		.amdhsa_system_sgpr_workgroup_id_y 0
		.amdhsa_system_sgpr_workgroup_id_z 0
		.amdhsa_system_sgpr_workgroup_info 0
		.amdhsa_system_vgpr_workitem_id 0
		.amdhsa_next_free_vgpr 1
		.amdhsa_next_free_sgpr 0
		.amdhsa_accum_offset 4
		.amdhsa_reserve_vcc 0
		.amdhsa_reserve_flat_scratch 0
		.amdhsa_float_round_mode_32 0
		.amdhsa_float_round_mode_16_64 0
		.amdhsa_float_denorm_mode_32 3
		.amdhsa_float_denorm_mode_16_64 3
		.amdhsa_dx10_clamp 1
		.amdhsa_ieee_mode 1
		.amdhsa_fp16_overflow 0
		.amdhsa_tg_split 0
		.amdhsa_exception_fp_ieee_invalid_op 0
		.amdhsa_exception_fp_denorm_src 0
		.amdhsa_exception_fp_ieee_div_zero 0
		.amdhsa_exception_fp_ieee_overflow 0
		.amdhsa_exception_fp_ieee_underflow 0
		.amdhsa_exception_fp_ieee_inexact 0
		.amdhsa_exception_int_div_zero 0
	.end_amdhsa_kernel
	.section	.text._ZN7rocprim17ROCPRIM_400000_NS6detail17trampoline_kernelINS0_14default_configENS1_29binary_search_config_selectorIxN6thrust23THRUST_200600_302600_NS6detail10any_assignEEEZNS1_14transform_implILb0ES3_S9_NS7_15normal_iteratorINS6_10device_ptrIxEEEENS6_16discard_iteratorINS6_11use_defaultEEEZNS1_13binary_searchIS3_S9_SE_SE_SH_NS1_16binary_search_opENS7_16wrapped_functionINS0_4lessIvEEbEEEE10hipError_tPvRmT1_T2_T3_mmT4_T5_P12ihipStream_tbEUlRKxE_EESO_SS_ST_mSU_SX_bEUlT_E_NS1_11comp_targetILNS1_3genE10ELNS1_11target_archE1200ELNS1_3gpuE4ELNS1_3repE0EEENS1_30default_config_static_selectorELNS0_4arch9wavefront6targetE1EEEvSR_,"axG",@progbits,_ZN7rocprim17ROCPRIM_400000_NS6detail17trampoline_kernelINS0_14default_configENS1_29binary_search_config_selectorIxN6thrust23THRUST_200600_302600_NS6detail10any_assignEEEZNS1_14transform_implILb0ES3_S9_NS7_15normal_iteratorINS6_10device_ptrIxEEEENS6_16discard_iteratorINS6_11use_defaultEEEZNS1_13binary_searchIS3_S9_SE_SE_SH_NS1_16binary_search_opENS7_16wrapped_functionINS0_4lessIvEEbEEEE10hipError_tPvRmT1_T2_T3_mmT4_T5_P12ihipStream_tbEUlRKxE_EESO_SS_ST_mSU_SX_bEUlT_E_NS1_11comp_targetILNS1_3genE10ELNS1_11target_archE1200ELNS1_3gpuE4ELNS1_3repE0EEENS1_30default_config_static_selectorELNS0_4arch9wavefront6targetE1EEEvSR_,comdat
.Lfunc_end606:
	.size	_ZN7rocprim17ROCPRIM_400000_NS6detail17trampoline_kernelINS0_14default_configENS1_29binary_search_config_selectorIxN6thrust23THRUST_200600_302600_NS6detail10any_assignEEEZNS1_14transform_implILb0ES3_S9_NS7_15normal_iteratorINS6_10device_ptrIxEEEENS6_16discard_iteratorINS6_11use_defaultEEEZNS1_13binary_searchIS3_S9_SE_SE_SH_NS1_16binary_search_opENS7_16wrapped_functionINS0_4lessIvEEbEEEE10hipError_tPvRmT1_T2_T3_mmT4_T5_P12ihipStream_tbEUlRKxE_EESO_SS_ST_mSU_SX_bEUlT_E_NS1_11comp_targetILNS1_3genE10ELNS1_11target_archE1200ELNS1_3gpuE4ELNS1_3repE0EEENS1_30default_config_static_selectorELNS0_4arch9wavefront6targetE1EEEvSR_, .Lfunc_end606-_ZN7rocprim17ROCPRIM_400000_NS6detail17trampoline_kernelINS0_14default_configENS1_29binary_search_config_selectorIxN6thrust23THRUST_200600_302600_NS6detail10any_assignEEEZNS1_14transform_implILb0ES3_S9_NS7_15normal_iteratorINS6_10device_ptrIxEEEENS6_16discard_iteratorINS6_11use_defaultEEEZNS1_13binary_searchIS3_S9_SE_SE_SH_NS1_16binary_search_opENS7_16wrapped_functionINS0_4lessIvEEbEEEE10hipError_tPvRmT1_T2_T3_mmT4_T5_P12ihipStream_tbEUlRKxE_EESO_SS_ST_mSU_SX_bEUlT_E_NS1_11comp_targetILNS1_3genE10ELNS1_11target_archE1200ELNS1_3gpuE4ELNS1_3repE0EEENS1_30default_config_static_selectorELNS0_4arch9wavefront6targetE1EEEvSR_
                                        ; -- End function
	.section	.AMDGPU.csdata,"",@progbits
; Kernel info:
; codeLenInByte = 0
; NumSgprs: 4
; NumVgprs: 0
; NumAgprs: 0
; TotalNumVgprs: 0
; ScratchSize: 0
; MemoryBound: 0
; FloatMode: 240
; IeeeMode: 1
; LDSByteSize: 0 bytes/workgroup (compile time only)
; SGPRBlocks: 0
; VGPRBlocks: 0
; NumSGPRsForWavesPerEU: 4
; NumVGPRsForWavesPerEU: 1
; AccumOffset: 4
; Occupancy: 8
; WaveLimiterHint : 0
; COMPUTE_PGM_RSRC2:SCRATCH_EN: 0
; COMPUTE_PGM_RSRC2:USER_SGPR: 6
; COMPUTE_PGM_RSRC2:TRAP_HANDLER: 0
; COMPUTE_PGM_RSRC2:TGID_X_EN: 1
; COMPUTE_PGM_RSRC2:TGID_Y_EN: 0
; COMPUTE_PGM_RSRC2:TGID_Z_EN: 0
; COMPUTE_PGM_RSRC2:TIDIG_COMP_CNT: 0
; COMPUTE_PGM_RSRC3_GFX90A:ACCUM_OFFSET: 0
; COMPUTE_PGM_RSRC3_GFX90A:TG_SPLIT: 0
	.section	.text._ZN7rocprim17ROCPRIM_400000_NS6detail17trampoline_kernelINS0_14default_configENS1_29binary_search_config_selectorIxN6thrust23THRUST_200600_302600_NS6detail10any_assignEEEZNS1_14transform_implILb0ES3_S9_NS7_15normal_iteratorINS6_10device_ptrIxEEEENS6_16discard_iteratorINS6_11use_defaultEEEZNS1_13binary_searchIS3_S9_SE_SE_SH_NS1_16binary_search_opENS7_16wrapped_functionINS0_4lessIvEEbEEEE10hipError_tPvRmT1_T2_T3_mmT4_T5_P12ihipStream_tbEUlRKxE_EESO_SS_ST_mSU_SX_bEUlT_E_NS1_11comp_targetILNS1_3genE9ELNS1_11target_archE1100ELNS1_3gpuE3ELNS1_3repE0EEENS1_30default_config_static_selectorELNS0_4arch9wavefront6targetE1EEEvSR_,"axG",@progbits,_ZN7rocprim17ROCPRIM_400000_NS6detail17trampoline_kernelINS0_14default_configENS1_29binary_search_config_selectorIxN6thrust23THRUST_200600_302600_NS6detail10any_assignEEEZNS1_14transform_implILb0ES3_S9_NS7_15normal_iteratorINS6_10device_ptrIxEEEENS6_16discard_iteratorINS6_11use_defaultEEEZNS1_13binary_searchIS3_S9_SE_SE_SH_NS1_16binary_search_opENS7_16wrapped_functionINS0_4lessIvEEbEEEE10hipError_tPvRmT1_T2_T3_mmT4_T5_P12ihipStream_tbEUlRKxE_EESO_SS_ST_mSU_SX_bEUlT_E_NS1_11comp_targetILNS1_3genE9ELNS1_11target_archE1100ELNS1_3gpuE3ELNS1_3repE0EEENS1_30default_config_static_selectorELNS0_4arch9wavefront6targetE1EEEvSR_,comdat
	.protected	_ZN7rocprim17ROCPRIM_400000_NS6detail17trampoline_kernelINS0_14default_configENS1_29binary_search_config_selectorIxN6thrust23THRUST_200600_302600_NS6detail10any_assignEEEZNS1_14transform_implILb0ES3_S9_NS7_15normal_iteratorINS6_10device_ptrIxEEEENS6_16discard_iteratorINS6_11use_defaultEEEZNS1_13binary_searchIS3_S9_SE_SE_SH_NS1_16binary_search_opENS7_16wrapped_functionINS0_4lessIvEEbEEEE10hipError_tPvRmT1_T2_T3_mmT4_T5_P12ihipStream_tbEUlRKxE_EESO_SS_ST_mSU_SX_bEUlT_E_NS1_11comp_targetILNS1_3genE9ELNS1_11target_archE1100ELNS1_3gpuE3ELNS1_3repE0EEENS1_30default_config_static_selectorELNS0_4arch9wavefront6targetE1EEEvSR_ ; -- Begin function _ZN7rocprim17ROCPRIM_400000_NS6detail17trampoline_kernelINS0_14default_configENS1_29binary_search_config_selectorIxN6thrust23THRUST_200600_302600_NS6detail10any_assignEEEZNS1_14transform_implILb0ES3_S9_NS7_15normal_iteratorINS6_10device_ptrIxEEEENS6_16discard_iteratorINS6_11use_defaultEEEZNS1_13binary_searchIS3_S9_SE_SE_SH_NS1_16binary_search_opENS7_16wrapped_functionINS0_4lessIvEEbEEEE10hipError_tPvRmT1_T2_T3_mmT4_T5_P12ihipStream_tbEUlRKxE_EESO_SS_ST_mSU_SX_bEUlT_E_NS1_11comp_targetILNS1_3genE9ELNS1_11target_archE1100ELNS1_3gpuE3ELNS1_3repE0EEENS1_30default_config_static_selectorELNS0_4arch9wavefront6targetE1EEEvSR_
	.globl	_ZN7rocprim17ROCPRIM_400000_NS6detail17trampoline_kernelINS0_14default_configENS1_29binary_search_config_selectorIxN6thrust23THRUST_200600_302600_NS6detail10any_assignEEEZNS1_14transform_implILb0ES3_S9_NS7_15normal_iteratorINS6_10device_ptrIxEEEENS6_16discard_iteratorINS6_11use_defaultEEEZNS1_13binary_searchIS3_S9_SE_SE_SH_NS1_16binary_search_opENS7_16wrapped_functionINS0_4lessIvEEbEEEE10hipError_tPvRmT1_T2_T3_mmT4_T5_P12ihipStream_tbEUlRKxE_EESO_SS_ST_mSU_SX_bEUlT_E_NS1_11comp_targetILNS1_3genE9ELNS1_11target_archE1100ELNS1_3gpuE3ELNS1_3repE0EEENS1_30default_config_static_selectorELNS0_4arch9wavefront6targetE1EEEvSR_
	.p2align	8
	.type	_ZN7rocprim17ROCPRIM_400000_NS6detail17trampoline_kernelINS0_14default_configENS1_29binary_search_config_selectorIxN6thrust23THRUST_200600_302600_NS6detail10any_assignEEEZNS1_14transform_implILb0ES3_S9_NS7_15normal_iteratorINS6_10device_ptrIxEEEENS6_16discard_iteratorINS6_11use_defaultEEEZNS1_13binary_searchIS3_S9_SE_SE_SH_NS1_16binary_search_opENS7_16wrapped_functionINS0_4lessIvEEbEEEE10hipError_tPvRmT1_T2_T3_mmT4_T5_P12ihipStream_tbEUlRKxE_EESO_SS_ST_mSU_SX_bEUlT_E_NS1_11comp_targetILNS1_3genE9ELNS1_11target_archE1100ELNS1_3gpuE3ELNS1_3repE0EEENS1_30default_config_static_selectorELNS0_4arch9wavefront6targetE1EEEvSR_,@function
_ZN7rocprim17ROCPRIM_400000_NS6detail17trampoline_kernelINS0_14default_configENS1_29binary_search_config_selectorIxN6thrust23THRUST_200600_302600_NS6detail10any_assignEEEZNS1_14transform_implILb0ES3_S9_NS7_15normal_iteratorINS6_10device_ptrIxEEEENS6_16discard_iteratorINS6_11use_defaultEEEZNS1_13binary_searchIS3_S9_SE_SE_SH_NS1_16binary_search_opENS7_16wrapped_functionINS0_4lessIvEEbEEEE10hipError_tPvRmT1_T2_T3_mmT4_T5_P12ihipStream_tbEUlRKxE_EESO_SS_ST_mSU_SX_bEUlT_E_NS1_11comp_targetILNS1_3genE9ELNS1_11target_archE1100ELNS1_3gpuE3ELNS1_3repE0EEENS1_30default_config_static_selectorELNS0_4arch9wavefront6targetE1EEEvSR_: ; @_ZN7rocprim17ROCPRIM_400000_NS6detail17trampoline_kernelINS0_14default_configENS1_29binary_search_config_selectorIxN6thrust23THRUST_200600_302600_NS6detail10any_assignEEEZNS1_14transform_implILb0ES3_S9_NS7_15normal_iteratorINS6_10device_ptrIxEEEENS6_16discard_iteratorINS6_11use_defaultEEEZNS1_13binary_searchIS3_S9_SE_SE_SH_NS1_16binary_search_opENS7_16wrapped_functionINS0_4lessIvEEbEEEE10hipError_tPvRmT1_T2_T3_mmT4_T5_P12ihipStream_tbEUlRKxE_EESO_SS_ST_mSU_SX_bEUlT_E_NS1_11comp_targetILNS1_3genE9ELNS1_11target_archE1100ELNS1_3gpuE3ELNS1_3repE0EEENS1_30default_config_static_selectorELNS0_4arch9wavefront6targetE1EEEvSR_
; %bb.0:
	.section	.rodata,"a",@progbits
	.p2align	6, 0x0
	.amdhsa_kernel _ZN7rocprim17ROCPRIM_400000_NS6detail17trampoline_kernelINS0_14default_configENS1_29binary_search_config_selectorIxN6thrust23THRUST_200600_302600_NS6detail10any_assignEEEZNS1_14transform_implILb0ES3_S9_NS7_15normal_iteratorINS6_10device_ptrIxEEEENS6_16discard_iteratorINS6_11use_defaultEEEZNS1_13binary_searchIS3_S9_SE_SE_SH_NS1_16binary_search_opENS7_16wrapped_functionINS0_4lessIvEEbEEEE10hipError_tPvRmT1_T2_T3_mmT4_T5_P12ihipStream_tbEUlRKxE_EESO_SS_ST_mSU_SX_bEUlT_E_NS1_11comp_targetILNS1_3genE9ELNS1_11target_archE1100ELNS1_3gpuE3ELNS1_3repE0EEENS1_30default_config_static_selectorELNS0_4arch9wavefront6targetE1EEEvSR_
		.amdhsa_group_segment_fixed_size 0
		.amdhsa_private_segment_fixed_size 0
		.amdhsa_kernarg_size 64
		.amdhsa_user_sgpr_count 6
		.amdhsa_user_sgpr_private_segment_buffer 1
		.amdhsa_user_sgpr_dispatch_ptr 0
		.amdhsa_user_sgpr_queue_ptr 0
		.amdhsa_user_sgpr_kernarg_segment_ptr 1
		.amdhsa_user_sgpr_dispatch_id 0
		.amdhsa_user_sgpr_flat_scratch_init 0
		.amdhsa_user_sgpr_kernarg_preload_length 0
		.amdhsa_user_sgpr_kernarg_preload_offset 0
		.amdhsa_user_sgpr_private_segment_size 0
		.amdhsa_uses_dynamic_stack 0
		.amdhsa_system_sgpr_private_segment_wavefront_offset 0
		.amdhsa_system_sgpr_workgroup_id_x 1
		.amdhsa_system_sgpr_workgroup_id_y 0
		.amdhsa_system_sgpr_workgroup_id_z 0
		.amdhsa_system_sgpr_workgroup_info 0
		.amdhsa_system_vgpr_workitem_id 0
		.amdhsa_next_free_vgpr 1
		.amdhsa_next_free_sgpr 0
		.amdhsa_accum_offset 4
		.amdhsa_reserve_vcc 0
		.amdhsa_reserve_flat_scratch 0
		.amdhsa_float_round_mode_32 0
		.amdhsa_float_round_mode_16_64 0
		.amdhsa_float_denorm_mode_32 3
		.amdhsa_float_denorm_mode_16_64 3
		.amdhsa_dx10_clamp 1
		.amdhsa_ieee_mode 1
		.amdhsa_fp16_overflow 0
		.amdhsa_tg_split 0
		.amdhsa_exception_fp_ieee_invalid_op 0
		.amdhsa_exception_fp_denorm_src 0
		.amdhsa_exception_fp_ieee_div_zero 0
		.amdhsa_exception_fp_ieee_overflow 0
		.amdhsa_exception_fp_ieee_underflow 0
		.amdhsa_exception_fp_ieee_inexact 0
		.amdhsa_exception_int_div_zero 0
	.end_amdhsa_kernel
	.section	.text._ZN7rocprim17ROCPRIM_400000_NS6detail17trampoline_kernelINS0_14default_configENS1_29binary_search_config_selectorIxN6thrust23THRUST_200600_302600_NS6detail10any_assignEEEZNS1_14transform_implILb0ES3_S9_NS7_15normal_iteratorINS6_10device_ptrIxEEEENS6_16discard_iteratorINS6_11use_defaultEEEZNS1_13binary_searchIS3_S9_SE_SE_SH_NS1_16binary_search_opENS7_16wrapped_functionINS0_4lessIvEEbEEEE10hipError_tPvRmT1_T2_T3_mmT4_T5_P12ihipStream_tbEUlRKxE_EESO_SS_ST_mSU_SX_bEUlT_E_NS1_11comp_targetILNS1_3genE9ELNS1_11target_archE1100ELNS1_3gpuE3ELNS1_3repE0EEENS1_30default_config_static_selectorELNS0_4arch9wavefront6targetE1EEEvSR_,"axG",@progbits,_ZN7rocprim17ROCPRIM_400000_NS6detail17trampoline_kernelINS0_14default_configENS1_29binary_search_config_selectorIxN6thrust23THRUST_200600_302600_NS6detail10any_assignEEEZNS1_14transform_implILb0ES3_S9_NS7_15normal_iteratorINS6_10device_ptrIxEEEENS6_16discard_iteratorINS6_11use_defaultEEEZNS1_13binary_searchIS3_S9_SE_SE_SH_NS1_16binary_search_opENS7_16wrapped_functionINS0_4lessIvEEbEEEE10hipError_tPvRmT1_T2_T3_mmT4_T5_P12ihipStream_tbEUlRKxE_EESO_SS_ST_mSU_SX_bEUlT_E_NS1_11comp_targetILNS1_3genE9ELNS1_11target_archE1100ELNS1_3gpuE3ELNS1_3repE0EEENS1_30default_config_static_selectorELNS0_4arch9wavefront6targetE1EEEvSR_,comdat
.Lfunc_end607:
	.size	_ZN7rocprim17ROCPRIM_400000_NS6detail17trampoline_kernelINS0_14default_configENS1_29binary_search_config_selectorIxN6thrust23THRUST_200600_302600_NS6detail10any_assignEEEZNS1_14transform_implILb0ES3_S9_NS7_15normal_iteratorINS6_10device_ptrIxEEEENS6_16discard_iteratorINS6_11use_defaultEEEZNS1_13binary_searchIS3_S9_SE_SE_SH_NS1_16binary_search_opENS7_16wrapped_functionINS0_4lessIvEEbEEEE10hipError_tPvRmT1_T2_T3_mmT4_T5_P12ihipStream_tbEUlRKxE_EESO_SS_ST_mSU_SX_bEUlT_E_NS1_11comp_targetILNS1_3genE9ELNS1_11target_archE1100ELNS1_3gpuE3ELNS1_3repE0EEENS1_30default_config_static_selectorELNS0_4arch9wavefront6targetE1EEEvSR_, .Lfunc_end607-_ZN7rocprim17ROCPRIM_400000_NS6detail17trampoline_kernelINS0_14default_configENS1_29binary_search_config_selectorIxN6thrust23THRUST_200600_302600_NS6detail10any_assignEEEZNS1_14transform_implILb0ES3_S9_NS7_15normal_iteratorINS6_10device_ptrIxEEEENS6_16discard_iteratorINS6_11use_defaultEEEZNS1_13binary_searchIS3_S9_SE_SE_SH_NS1_16binary_search_opENS7_16wrapped_functionINS0_4lessIvEEbEEEE10hipError_tPvRmT1_T2_T3_mmT4_T5_P12ihipStream_tbEUlRKxE_EESO_SS_ST_mSU_SX_bEUlT_E_NS1_11comp_targetILNS1_3genE9ELNS1_11target_archE1100ELNS1_3gpuE3ELNS1_3repE0EEENS1_30default_config_static_selectorELNS0_4arch9wavefront6targetE1EEEvSR_
                                        ; -- End function
	.section	.AMDGPU.csdata,"",@progbits
; Kernel info:
; codeLenInByte = 0
; NumSgprs: 4
; NumVgprs: 0
; NumAgprs: 0
; TotalNumVgprs: 0
; ScratchSize: 0
; MemoryBound: 0
; FloatMode: 240
; IeeeMode: 1
; LDSByteSize: 0 bytes/workgroup (compile time only)
; SGPRBlocks: 0
; VGPRBlocks: 0
; NumSGPRsForWavesPerEU: 4
; NumVGPRsForWavesPerEU: 1
; AccumOffset: 4
; Occupancy: 8
; WaveLimiterHint : 0
; COMPUTE_PGM_RSRC2:SCRATCH_EN: 0
; COMPUTE_PGM_RSRC2:USER_SGPR: 6
; COMPUTE_PGM_RSRC2:TRAP_HANDLER: 0
; COMPUTE_PGM_RSRC2:TGID_X_EN: 1
; COMPUTE_PGM_RSRC2:TGID_Y_EN: 0
; COMPUTE_PGM_RSRC2:TGID_Z_EN: 0
; COMPUTE_PGM_RSRC2:TIDIG_COMP_CNT: 0
; COMPUTE_PGM_RSRC3_GFX90A:ACCUM_OFFSET: 0
; COMPUTE_PGM_RSRC3_GFX90A:TG_SPLIT: 0
	.section	.text._ZN7rocprim17ROCPRIM_400000_NS6detail17trampoline_kernelINS0_14default_configENS1_29binary_search_config_selectorIxN6thrust23THRUST_200600_302600_NS6detail10any_assignEEEZNS1_14transform_implILb0ES3_S9_NS7_15normal_iteratorINS6_10device_ptrIxEEEENS6_16discard_iteratorINS6_11use_defaultEEEZNS1_13binary_searchIS3_S9_SE_SE_SH_NS1_16binary_search_opENS7_16wrapped_functionINS0_4lessIvEEbEEEE10hipError_tPvRmT1_T2_T3_mmT4_T5_P12ihipStream_tbEUlRKxE_EESO_SS_ST_mSU_SX_bEUlT_E_NS1_11comp_targetILNS1_3genE8ELNS1_11target_archE1030ELNS1_3gpuE2ELNS1_3repE0EEENS1_30default_config_static_selectorELNS0_4arch9wavefront6targetE1EEEvSR_,"axG",@progbits,_ZN7rocprim17ROCPRIM_400000_NS6detail17trampoline_kernelINS0_14default_configENS1_29binary_search_config_selectorIxN6thrust23THRUST_200600_302600_NS6detail10any_assignEEEZNS1_14transform_implILb0ES3_S9_NS7_15normal_iteratorINS6_10device_ptrIxEEEENS6_16discard_iteratorINS6_11use_defaultEEEZNS1_13binary_searchIS3_S9_SE_SE_SH_NS1_16binary_search_opENS7_16wrapped_functionINS0_4lessIvEEbEEEE10hipError_tPvRmT1_T2_T3_mmT4_T5_P12ihipStream_tbEUlRKxE_EESO_SS_ST_mSU_SX_bEUlT_E_NS1_11comp_targetILNS1_3genE8ELNS1_11target_archE1030ELNS1_3gpuE2ELNS1_3repE0EEENS1_30default_config_static_selectorELNS0_4arch9wavefront6targetE1EEEvSR_,comdat
	.protected	_ZN7rocprim17ROCPRIM_400000_NS6detail17trampoline_kernelINS0_14default_configENS1_29binary_search_config_selectorIxN6thrust23THRUST_200600_302600_NS6detail10any_assignEEEZNS1_14transform_implILb0ES3_S9_NS7_15normal_iteratorINS6_10device_ptrIxEEEENS6_16discard_iteratorINS6_11use_defaultEEEZNS1_13binary_searchIS3_S9_SE_SE_SH_NS1_16binary_search_opENS7_16wrapped_functionINS0_4lessIvEEbEEEE10hipError_tPvRmT1_T2_T3_mmT4_T5_P12ihipStream_tbEUlRKxE_EESO_SS_ST_mSU_SX_bEUlT_E_NS1_11comp_targetILNS1_3genE8ELNS1_11target_archE1030ELNS1_3gpuE2ELNS1_3repE0EEENS1_30default_config_static_selectorELNS0_4arch9wavefront6targetE1EEEvSR_ ; -- Begin function _ZN7rocprim17ROCPRIM_400000_NS6detail17trampoline_kernelINS0_14default_configENS1_29binary_search_config_selectorIxN6thrust23THRUST_200600_302600_NS6detail10any_assignEEEZNS1_14transform_implILb0ES3_S9_NS7_15normal_iteratorINS6_10device_ptrIxEEEENS6_16discard_iteratorINS6_11use_defaultEEEZNS1_13binary_searchIS3_S9_SE_SE_SH_NS1_16binary_search_opENS7_16wrapped_functionINS0_4lessIvEEbEEEE10hipError_tPvRmT1_T2_T3_mmT4_T5_P12ihipStream_tbEUlRKxE_EESO_SS_ST_mSU_SX_bEUlT_E_NS1_11comp_targetILNS1_3genE8ELNS1_11target_archE1030ELNS1_3gpuE2ELNS1_3repE0EEENS1_30default_config_static_selectorELNS0_4arch9wavefront6targetE1EEEvSR_
	.globl	_ZN7rocprim17ROCPRIM_400000_NS6detail17trampoline_kernelINS0_14default_configENS1_29binary_search_config_selectorIxN6thrust23THRUST_200600_302600_NS6detail10any_assignEEEZNS1_14transform_implILb0ES3_S9_NS7_15normal_iteratorINS6_10device_ptrIxEEEENS6_16discard_iteratorINS6_11use_defaultEEEZNS1_13binary_searchIS3_S9_SE_SE_SH_NS1_16binary_search_opENS7_16wrapped_functionINS0_4lessIvEEbEEEE10hipError_tPvRmT1_T2_T3_mmT4_T5_P12ihipStream_tbEUlRKxE_EESO_SS_ST_mSU_SX_bEUlT_E_NS1_11comp_targetILNS1_3genE8ELNS1_11target_archE1030ELNS1_3gpuE2ELNS1_3repE0EEENS1_30default_config_static_selectorELNS0_4arch9wavefront6targetE1EEEvSR_
	.p2align	8
	.type	_ZN7rocprim17ROCPRIM_400000_NS6detail17trampoline_kernelINS0_14default_configENS1_29binary_search_config_selectorIxN6thrust23THRUST_200600_302600_NS6detail10any_assignEEEZNS1_14transform_implILb0ES3_S9_NS7_15normal_iteratorINS6_10device_ptrIxEEEENS6_16discard_iteratorINS6_11use_defaultEEEZNS1_13binary_searchIS3_S9_SE_SE_SH_NS1_16binary_search_opENS7_16wrapped_functionINS0_4lessIvEEbEEEE10hipError_tPvRmT1_T2_T3_mmT4_T5_P12ihipStream_tbEUlRKxE_EESO_SS_ST_mSU_SX_bEUlT_E_NS1_11comp_targetILNS1_3genE8ELNS1_11target_archE1030ELNS1_3gpuE2ELNS1_3repE0EEENS1_30default_config_static_selectorELNS0_4arch9wavefront6targetE1EEEvSR_,@function
_ZN7rocprim17ROCPRIM_400000_NS6detail17trampoline_kernelINS0_14default_configENS1_29binary_search_config_selectorIxN6thrust23THRUST_200600_302600_NS6detail10any_assignEEEZNS1_14transform_implILb0ES3_S9_NS7_15normal_iteratorINS6_10device_ptrIxEEEENS6_16discard_iteratorINS6_11use_defaultEEEZNS1_13binary_searchIS3_S9_SE_SE_SH_NS1_16binary_search_opENS7_16wrapped_functionINS0_4lessIvEEbEEEE10hipError_tPvRmT1_T2_T3_mmT4_T5_P12ihipStream_tbEUlRKxE_EESO_SS_ST_mSU_SX_bEUlT_E_NS1_11comp_targetILNS1_3genE8ELNS1_11target_archE1030ELNS1_3gpuE2ELNS1_3repE0EEENS1_30default_config_static_selectorELNS0_4arch9wavefront6targetE1EEEvSR_: ; @_ZN7rocprim17ROCPRIM_400000_NS6detail17trampoline_kernelINS0_14default_configENS1_29binary_search_config_selectorIxN6thrust23THRUST_200600_302600_NS6detail10any_assignEEEZNS1_14transform_implILb0ES3_S9_NS7_15normal_iteratorINS6_10device_ptrIxEEEENS6_16discard_iteratorINS6_11use_defaultEEEZNS1_13binary_searchIS3_S9_SE_SE_SH_NS1_16binary_search_opENS7_16wrapped_functionINS0_4lessIvEEbEEEE10hipError_tPvRmT1_T2_T3_mmT4_T5_P12ihipStream_tbEUlRKxE_EESO_SS_ST_mSU_SX_bEUlT_E_NS1_11comp_targetILNS1_3genE8ELNS1_11target_archE1030ELNS1_3gpuE2ELNS1_3repE0EEENS1_30default_config_static_selectorELNS0_4arch9wavefront6targetE1EEEvSR_
; %bb.0:
	.section	.rodata,"a",@progbits
	.p2align	6, 0x0
	.amdhsa_kernel _ZN7rocprim17ROCPRIM_400000_NS6detail17trampoline_kernelINS0_14default_configENS1_29binary_search_config_selectorIxN6thrust23THRUST_200600_302600_NS6detail10any_assignEEEZNS1_14transform_implILb0ES3_S9_NS7_15normal_iteratorINS6_10device_ptrIxEEEENS6_16discard_iteratorINS6_11use_defaultEEEZNS1_13binary_searchIS3_S9_SE_SE_SH_NS1_16binary_search_opENS7_16wrapped_functionINS0_4lessIvEEbEEEE10hipError_tPvRmT1_T2_T3_mmT4_T5_P12ihipStream_tbEUlRKxE_EESO_SS_ST_mSU_SX_bEUlT_E_NS1_11comp_targetILNS1_3genE8ELNS1_11target_archE1030ELNS1_3gpuE2ELNS1_3repE0EEENS1_30default_config_static_selectorELNS0_4arch9wavefront6targetE1EEEvSR_
		.amdhsa_group_segment_fixed_size 0
		.amdhsa_private_segment_fixed_size 0
		.amdhsa_kernarg_size 64
		.amdhsa_user_sgpr_count 6
		.amdhsa_user_sgpr_private_segment_buffer 1
		.amdhsa_user_sgpr_dispatch_ptr 0
		.amdhsa_user_sgpr_queue_ptr 0
		.amdhsa_user_sgpr_kernarg_segment_ptr 1
		.amdhsa_user_sgpr_dispatch_id 0
		.amdhsa_user_sgpr_flat_scratch_init 0
		.amdhsa_user_sgpr_kernarg_preload_length 0
		.amdhsa_user_sgpr_kernarg_preload_offset 0
		.amdhsa_user_sgpr_private_segment_size 0
		.amdhsa_uses_dynamic_stack 0
		.amdhsa_system_sgpr_private_segment_wavefront_offset 0
		.amdhsa_system_sgpr_workgroup_id_x 1
		.amdhsa_system_sgpr_workgroup_id_y 0
		.amdhsa_system_sgpr_workgroup_id_z 0
		.amdhsa_system_sgpr_workgroup_info 0
		.amdhsa_system_vgpr_workitem_id 0
		.amdhsa_next_free_vgpr 1
		.amdhsa_next_free_sgpr 0
		.amdhsa_accum_offset 4
		.amdhsa_reserve_vcc 0
		.amdhsa_reserve_flat_scratch 0
		.amdhsa_float_round_mode_32 0
		.amdhsa_float_round_mode_16_64 0
		.amdhsa_float_denorm_mode_32 3
		.amdhsa_float_denorm_mode_16_64 3
		.amdhsa_dx10_clamp 1
		.amdhsa_ieee_mode 1
		.amdhsa_fp16_overflow 0
		.amdhsa_tg_split 0
		.amdhsa_exception_fp_ieee_invalid_op 0
		.amdhsa_exception_fp_denorm_src 0
		.amdhsa_exception_fp_ieee_div_zero 0
		.amdhsa_exception_fp_ieee_overflow 0
		.amdhsa_exception_fp_ieee_underflow 0
		.amdhsa_exception_fp_ieee_inexact 0
		.amdhsa_exception_int_div_zero 0
	.end_amdhsa_kernel
	.section	.text._ZN7rocprim17ROCPRIM_400000_NS6detail17trampoline_kernelINS0_14default_configENS1_29binary_search_config_selectorIxN6thrust23THRUST_200600_302600_NS6detail10any_assignEEEZNS1_14transform_implILb0ES3_S9_NS7_15normal_iteratorINS6_10device_ptrIxEEEENS6_16discard_iteratorINS6_11use_defaultEEEZNS1_13binary_searchIS3_S9_SE_SE_SH_NS1_16binary_search_opENS7_16wrapped_functionINS0_4lessIvEEbEEEE10hipError_tPvRmT1_T2_T3_mmT4_T5_P12ihipStream_tbEUlRKxE_EESO_SS_ST_mSU_SX_bEUlT_E_NS1_11comp_targetILNS1_3genE8ELNS1_11target_archE1030ELNS1_3gpuE2ELNS1_3repE0EEENS1_30default_config_static_selectorELNS0_4arch9wavefront6targetE1EEEvSR_,"axG",@progbits,_ZN7rocprim17ROCPRIM_400000_NS6detail17trampoline_kernelINS0_14default_configENS1_29binary_search_config_selectorIxN6thrust23THRUST_200600_302600_NS6detail10any_assignEEEZNS1_14transform_implILb0ES3_S9_NS7_15normal_iteratorINS6_10device_ptrIxEEEENS6_16discard_iteratorINS6_11use_defaultEEEZNS1_13binary_searchIS3_S9_SE_SE_SH_NS1_16binary_search_opENS7_16wrapped_functionINS0_4lessIvEEbEEEE10hipError_tPvRmT1_T2_T3_mmT4_T5_P12ihipStream_tbEUlRKxE_EESO_SS_ST_mSU_SX_bEUlT_E_NS1_11comp_targetILNS1_3genE8ELNS1_11target_archE1030ELNS1_3gpuE2ELNS1_3repE0EEENS1_30default_config_static_selectorELNS0_4arch9wavefront6targetE1EEEvSR_,comdat
.Lfunc_end608:
	.size	_ZN7rocprim17ROCPRIM_400000_NS6detail17trampoline_kernelINS0_14default_configENS1_29binary_search_config_selectorIxN6thrust23THRUST_200600_302600_NS6detail10any_assignEEEZNS1_14transform_implILb0ES3_S9_NS7_15normal_iteratorINS6_10device_ptrIxEEEENS6_16discard_iteratorINS6_11use_defaultEEEZNS1_13binary_searchIS3_S9_SE_SE_SH_NS1_16binary_search_opENS7_16wrapped_functionINS0_4lessIvEEbEEEE10hipError_tPvRmT1_T2_T3_mmT4_T5_P12ihipStream_tbEUlRKxE_EESO_SS_ST_mSU_SX_bEUlT_E_NS1_11comp_targetILNS1_3genE8ELNS1_11target_archE1030ELNS1_3gpuE2ELNS1_3repE0EEENS1_30default_config_static_selectorELNS0_4arch9wavefront6targetE1EEEvSR_, .Lfunc_end608-_ZN7rocprim17ROCPRIM_400000_NS6detail17trampoline_kernelINS0_14default_configENS1_29binary_search_config_selectorIxN6thrust23THRUST_200600_302600_NS6detail10any_assignEEEZNS1_14transform_implILb0ES3_S9_NS7_15normal_iteratorINS6_10device_ptrIxEEEENS6_16discard_iteratorINS6_11use_defaultEEEZNS1_13binary_searchIS3_S9_SE_SE_SH_NS1_16binary_search_opENS7_16wrapped_functionINS0_4lessIvEEbEEEE10hipError_tPvRmT1_T2_T3_mmT4_T5_P12ihipStream_tbEUlRKxE_EESO_SS_ST_mSU_SX_bEUlT_E_NS1_11comp_targetILNS1_3genE8ELNS1_11target_archE1030ELNS1_3gpuE2ELNS1_3repE0EEENS1_30default_config_static_selectorELNS0_4arch9wavefront6targetE1EEEvSR_
                                        ; -- End function
	.section	.AMDGPU.csdata,"",@progbits
; Kernel info:
; codeLenInByte = 0
; NumSgprs: 4
; NumVgprs: 0
; NumAgprs: 0
; TotalNumVgprs: 0
; ScratchSize: 0
; MemoryBound: 0
; FloatMode: 240
; IeeeMode: 1
; LDSByteSize: 0 bytes/workgroup (compile time only)
; SGPRBlocks: 0
; VGPRBlocks: 0
; NumSGPRsForWavesPerEU: 4
; NumVGPRsForWavesPerEU: 1
; AccumOffset: 4
; Occupancy: 8
; WaveLimiterHint : 0
; COMPUTE_PGM_RSRC2:SCRATCH_EN: 0
; COMPUTE_PGM_RSRC2:USER_SGPR: 6
; COMPUTE_PGM_RSRC2:TRAP_HANDLER: 0
; COMPUTE_PGM_RSRC2:TGID_X_EN: 1
; COMPUTE_PGM_RSRC2:TGID_Y_EN: 0
; COMPUTE_PGM_RSRC2:TGID_Z_EN: 0
; COMPUTE_PGM_RSRC2:TIDIG_COMP_CNT: 0
; COMPUTE_PGM_RSRC3_GFX90A:ACCUM_OFFSET: 0
; COMPUTE_PGM_RSRC3_GFX90A:TG_SPLIT: 0
	.section	.text._ZN7rocprim17ROCPRIM_400000_NS6detail17trampoline_kernelINS0_14default_configENS1_29binary_search_config_selectorIiN6thrust23THRUST_200600_302600_NS6detail10any_assignEEEZNS1_14transform_implILb0ES3_S9_NS7_15normal_iteratorINS6_10device_ptrIiEEEENS6_16discard_iteratorINS6_11use_defaultEEEZNS1_13binary_searchIS3_S9_SE_SE_SH_NS1_16binary_search_opENS7_16wrapped_functionINS0_4lessIvEEbEEEE10hipError_tPvRmT1_T2_T3_mmT4_T5_P12ihipStream_tbEUlRKiE_EESO_SS_ST_mSU_SX_bEUlT_E_NS1_11comp_targetILNS1_3genE0ELNS1_11target_archE4294967295ELNS1_3gpuE0ELNS1_3repE0EEENS1_30default_config_static_selectorELNS0_4arch9wavefront6targetE1EEEvSR_,"axG",@progbits,_ZN7rocprim17ROCPRIM_400000_NS6detail17trampoline_kernelINS0_14default_configENS1_29binary_search_config_selectorIiN6thrust23THRUST_200600_302600_NS6detail10any_assignEEEZNS1_14transform_implILb0ES3_S9_NS7_15normal_iteratorINS6_10device_ptrIiEEEENS6_16discard_iteratorINS6_11use_defaultEEEZNS1_13binary_searchIS3_S9_SE_SE_SH_NS1_16binary_search_opENS7_16wrapped_functionINS0_4lessIvEEbEEEE10hipError_tPvRmT1_T2_T3_mmT4_T5_P12ihipStream_tbEUlRKiE_EESO_SS_ST_mSU_SX_bEUlT_E_NS1_11comp_targetILNS1_3genE0ELNS1_11target_archE4294967295ELNS1_3gpuE0ELNS1_3repE0EEENS1_30default_config_static_selectorELNS0_4arch9wavefront6targetE1EEEvSR_,comdat
	.protected	_ZN7rocprim17ROCPRIM_400000_NS6detail17trampoline_kernelINS0_14default_configENS1_29binary_search_config_selectorIiN6thrust23THRUST_200600_302600_NS6detail10any_assignEEEZNS1_14transform_implILb0ES3_S9_NS7_15normal_iteratorINS6_10device_ptrIiEEEENS6_16discard_iteratorINS6_11use_defaultEEEZNS1_13binary_searchIS3_S9_SE_SE_SH_NS1_16binary_search_opENS7_16wrapped_functionINS0_4lessIvEEbEEEE10hipError_tPvRmT1_T2_T3_mmT4_T5_P12ihipStream_tbEUlRKiE_EESO_SS_ST_mSU_SX_bEUlT_E_NS1_11comp_targetILNS1_3genE0ELNS1_11target_archE4294967295ELNS1_3gpuE0ELNS1_3repE0EEENS1_30default_config_static_selectorELNS0_4arch9wavefront6targetE1EEEvSR_ ; -- Begin function _ZN7rocprim17ROCPRIM_400000_NS6detail17trampoline_kernelINS0_14default_configENS1_29binary_search_config_selectorIiN6thrust23THRUST_200600_302600_NS6detail10any_assignEEEZNS1_14transform_implILb0ES3_S9_NS7_15normal_iteratorINS6_10device_ptrIiEEEENS6_16discard_iteratorINS6_11use_defaultEEEZNS1_13binary_searchIS3_S9_SE_SE_SH_NS1_16binary_search_opENS7_16wrapped_functionINS0_4lessIvEEbEEEE10hipError_tPvRmT1_T2_T3_mmT4_T5_P12ihipStream_tbEUlRKiE_EESO_SS_ST_mSU_SX_bEUlT_E_NS1_11comp_targetILNS1_3genE0ELNS1_11target_archE4294967295ELNS1_3gpuE0ELNS1_3repE0EEENS1_30default_config_static_selectorELNS0_4arch9wavefront6targetE1EEEvSR_
	.globl	_ZN7rocprim17ROCPRIM_400000_NS6detail17trampoline_kernelINS0_14default_configENS1_29binary_search_config_selectorIiN6thrust23THRUST_200600_302600_NS6detail10any_assignEEEZNS1_14transform_implILb0ES3_S9_NS7_15normal_iteratorINS6_10device_ptrIiEEEENS6_16discard_iteratorINS6_11use_defaultEEEZNS1_13binary_searchIS3_S9_SE_SE_SH_NS1_16binary_search_opENS7_16wrapped_functionINS0_4lessIvEEbEEEE10hipError_tPvRmT1_T2_T3_mmT4_T5_P12ihipStream_tbEUlRKiE_EESO_SS_ST_mSU_SX_bEUlT_E_NS1_11comp_targetILNS1_3genE0ELNS1_11target_archE4294967295ELNS1_3gpuE0ELNS1_3repE0EEENS1_30default_config_static_selectorELNS0_4arch9wavefront6targetE1EEEvSR_
	.p2align	8
	.type	_ZN7rocprim17ROCPRIM_400000_NS6detail17trampoline_kernelINS0_14default_configENS1_29binary_search_config_selectorIiN6thrust23THRUST_200600_302600_NS6detail10any_assignEEEZNS1_14transform_implILb0ES3_S9_NS7_15normal_iteratorINS6_10device_ptrIiEEEENS6_16discard_iteratorINS6_11use_defaultEEEZNS1_13binary_searchIS3_S9_SE_SE_SH_NS1_16binary_search_opENS7_16wrapped_functionINS0_4lessIvEEbEEEE10hipError_tPvRmT1_T2_T3_mmT4_T5_P12ihipStream_tbEUlRKiE_EESO_SS_ST_mSU_SX_bEUlT_E_NS1_11comp_targetILNS1_3genE0ELNS1_11target_archE4294967295ELNS1_3gpuE0ELNS1_3repE0EEENS1_30default_config_static_selectorELNS0_4arch9wavefront6targetE1EEEvSR_,@function
_ZN7rocprim17ROCPRIM_400000_NS6detail17trampoline_kernelINS0_14default_configENS1_29binary_search_config_selectorIiN6thrust23THRUST_200600_302600_NS6detail10any_assignEEEZNS1_14transform_implILb0ES3_S9_NS7_15normal_iteratorINS6_10device_ptrIiEEEENS6_16discard_iteratorINS6_11use_defaultEEEZNS1_13binary_searchIS3_S9_SE_SE_SH_NS1_16binary_search_opENS7_16wrapped_functionINS0_4lessIvEEbEEEE10hipError_tPvRmT1_T2_T3_mmT4_T5_P12ihipStream_tbEUlRKiE_EESO_SS_ST_mSU_SX_bEUlT_E_NS1_11comp_targetILNS1_3genE0ELNS1_11target_archE4294967295ELNS1_3gpuE0ELNS1_3repE0EEENS1_30default_config_static_selectorELNS0_4arch9wavefront6targetE1EEEvSR_: ; @_ZN7rocprim17ROCPRIM_400000_NS6detail17trampoline_kernelINS0_14default_configENS1_29binary_search_config_selectorIiN6thrust23THRUST_200600_302600_NS6detail10any_assignEEEZNS1_14transform_implILb0ES3_S9_NS7_15normal_iteratorINS6_10device_ptrIiEEEENS6_16discard_iteratorINS6_11use_defaultEEEZNS1_13binary_searchIS3_S9_SE_SE_SH_NS1_16binary_search_opENS7_16wrapped_functionINS0_4lessIvEEbEEEE10hipError_tPvRmT1_T2_T3_mmT4_T5_P12ihipStream_tbEUlRKiE_EESO_SS_ST_mSU_SX_bEUlT_E_NS1_11comp_targetILNS1_3genE0ELNS1_11target_archE4294967295ELNS1_3gpuE0ELNS1_3repE0EEENS1_30default_config_static_selectorELNS0_4arch9wavefront6targetE1EEEvSR_
; %bb.0:
	.section	.rodata,"a",@progbits
	.p2align	6, 0x0
	.amdhsa_kernel _ZN7rocprim17ROCPRIM_400000_NS6detail17trampoline_kernelINS0_14default_configENS1_29binary_search_config_selectorIiN6thrust23THRUST_200600_302600_NS6detail10any_assignEEEZNS1_14transform_implILb0ES3_S9_NS7_15normal_iteratorINS6_10device_ptrIiEEEENS6_16discard_iteratorINS6_11use_defaultEEEZNS1_13binary_searchIS3_S9_SE_SE_SH_NS1_16binary_search_opENS7_16wrapped_functionINS0_4lessIvEEbEEEE10hipError_tPvRmT1_T2_T3_mmT4_T5_P12ihipStream_tbEUlRKiE_EESO_SS_ST_mSU_SX_bEUlT_E_NS1_11comp_targetILNS1_3genE0ELNS1_11target_archE4294967295ELNS1_3gpuE0ELNS1_3repE0EEENS1_30default_config_static_selectorELNS0_4arch9wavefront6targetE1EEEvSR_
		.amdhsa_group_segment_fixed_size 0
		.amdhsa_private_segment_fixed_size 0
		.amdhsa_kernarg_size 64
		.amdhsa_user_sgpr_count 6
		.amdhsa_user_sgpr_private_segment_buffer 1
		.amdhsa_user_sgpr_dispatch_ptr 0
		.amdhsa_user_sgpr_queue_ptr 0
		.amdhsa_user_sgpr_kernarg_segment_ptr 1
		.amdhsa_user_sgpr_dispatch_id 0
		.amdhsa_user_sgpr_flat_scratch_init 0
		.amdhsa_user_sgpr_kernarg_preload_length 0
		.amdhsa_user_sgpr_kernarg_preload_offset 0
		.amdhsa_user_sgpr_private_segment_size 0
		.amdhsa_uses_dynamic_stack 0
		.amdhsa_system_sgpr_private_segment_wavefront_offset 0
		.amdhsa_system_sgpr_workgroup_id_x 1
		.amdhsa_system_sgpr_workgroup_id_y 0
		.amdhsa_system_sgpr_workgroup_id_z 0
		.amdhsa_system_sgpr_workgroup_info 0
		.amdhsa_system_vgpr_workitem_id 0
		.amdhsa_next_free_vgpr 1
		.amdhsa_next_free_sgpr 0
		.amdhsa_accum_offset 4
		.amdhsa_reserve_vcc 0
		.amdhsa_reserve_flat_scratch 0
		.amdhsa_float_round_mode_32 0
		.amdhsa_float_round_mode_16_64 0
		.amdhsa_float_denorm_mode_32 3
		.amdhsa_float_denorm_mode_16_64 3
		.amdhsa_dx10_clamp 1
		.amdhsa_ieee_mode 1
		.amdhsa_fp16_overflow 0
		.amdhsa_tg_split 0
		.amdhsa_exception_fp_ieee_invalid_op 0
		.amdhsa_exception_fp_denorm_src 0
		.amdhsa_exception_fp_ieee_div_zero 0
		.amdhsa_exception_fp_ieee_overflow 0
		.amdhsa_exception_fp_ieee_underflow 0
		.amdhsa_exception_fp_ieee_inexact 0
		.amdhsa_exception_int_div_zero 0
	.end_amdhsa_kernel
	.section	.text._ZN7rocprim17ROCPRIM_400000_NS6detail17trampoline_kernelINS0_14default_configENS1_29binary_search_config_selectorIiN6thrust23THRUST_200600_302600_NS6detail10any_assignEEEZNS1_14transform_implILb0ES3_S9_NS7_15normal_iteratorINS6_10device_ptrIiEEEENS6_16discard_iteratorINS6_11use_defaultEEEZNS1_13binary_searchIS3_S9_SE_SE_SH_NS1_16binary_search_opENS7_16wrapped_functionINS0_4lessIvEEbEEEE10hipError_tPvRmT1_T2_T3_mmT4_T5_P12ihipStream_tbEUlRKiE_EESO_SS_ST_mSU_SX_bEUlT_E_NS1_11comp_targetILNS1_3genE0ELNS1_11target_archE4294967295ELNS1_3gpuE0ELNS1_3repE0EEENS1_30default_config_static_selectorELNS0_4arch9wavefront6targetE1EEEvSR_,"axG",@progbits,_ZN7rocprim17ROCPRIM_400000_NS6detail17trampoline_kernelINS0_14default_configENS1_29binary_search_config_selectorIiN6thrust23THRUST_200600_302600_NS6detail10any_assignEEEZNS1_14transform_implILb0ES3_S9_NS7_15normal_iteratorINS6_10device_ptrIiEEEENS6_16discard_iteratorINS6_11use_defaultEEEZNS1_13binary_searchIS3_S9_SE_SE_SH_NS1_16binary_search_opENS7_16wrapped_functionINS0_4lessIvEEbEEEE10hipError_tPvRmT1_T2_T3_mmT4_T5_P12ihipStream_tbEUlRKiE_EESO_SS_ST_mSU_SX_bEUlT_E_NS1_11comp_targetILNS1_3genE0ELNS1_11target_archE4294967295ELNS1_3gpuE0ELNS1_3repE0EEENS1_30default_config_static_selectorELNS0_4arch9wavefront6targetE1EEEvSR_,comdat
.Lfunc_end609:
	.size	_ZN7rocprim17ROCPRIM_400000_NS6detail17trampoline_kernelINS0_14default_configENS1_29binary_search_config_selectorIiN6thrust23THRUST_200600_302600_NS6detail10any_assignEEEZNS1_14transform_implILb0ES3_S9_NS7_15normal_iteratorINS6_10device_ptrIiEEEENS6_16discard_iteratorINS6_11use_defaultEEEZNS1_13binary_searchIS3_S9_SE_SE_SH_NS1_16binary_search_opENS7_16wrapped_functionINS0_4lessIvEEbEEEE10hipError_tPvRmT1_T2_T3_mmT4_T5_P12ihipStream_tbEUlRKiE_EESO_SS_ST_mSU_SX_bEUlT_E_NS1_11comp_targetILNS1_3genE0ELNS1_11target_archE4294967295ELNS1_3gpuE0ELNS1_3repE0EEENS1_30default_config_static_selectorELNS0_4arch9wavefront6targetE1EEEvSR_, .Lfunc_end609-_ZN7rocprim17ROCPRIM_400000_NS6detail17trampoline_kernelINS0_14default_configENS1_29binary_search_config_selectorIiN6thrust23THRUST_200600_302600_NS6detail10any_assignEEEZNS1_14transform_implILb0ES3_S9_NS7_15normal_iteratorINS6_10device_ptrIiEEEENS6_16discard_iteratorINS6_11use_defaultEEEZNS1_13binary_searchIS3_S9_SE_SE_SH_NS1_16binary_search_opENS7_16wrapped_functionINS0_4lessIvEEbEEEE10hipError_tPvRmT1_T2_T3_mmT4_T5_P12ihipStream_tbEUlRKiE_EESO_SS_ST_mSU_SX_bEUlT_E_NS1_11comp_targetILNS1_3genE0ELNS1_11target_archE4294967295ELNS1_3gpuE0ELNS1_3repE0EEENS1_30default_config_static_selectorELNS0_4arch9wavefront6targetE1EEEvSR_
                                        ; -- End function
	.section	.AMDGPU.csdata,"",@progbits
; Kernel info:
; codeLenInByte = 0
; NumSgprs: 4
; NumVgprs: 0
; NumAgprs: 0
; TotalNumVgprs: 0
; ScratchSize: 0
; MemoryBound: 0
; FloatMode: 240
; IeeeMode: 1
; LDSByteSize: 0 bytes/workgroup (compile time only)
; SGPRBlocks: 0
; VGPRBlocks: 0
; NumSGPRsForWavesPerEU: 4
; NumVGPRsForWavesPerEU: 1
; AccumOffset: 4
; Occupancy: 8
; WaveLimiterHint : 0
; COMPUTE_PGM_RSRC2:SCRATCH_EN: 0
; COMPUTE_PGM_RSRC2:USER_SGPR: 6
; COMPUTE_PGM_RSRC2:TRAP_HANDLER: 0
; COMPUTE_PGM_RSRC2:TGID_X_EN: 1
; COMPUTE_PGM_RSRC2:TGID_Y_EN: 0
; COMPUTE_PGM_RSRC2:TGID_Z_EN: 0
; COMPUTE_PGM_RSRC2:TIDIG_COMP_CNT: 0
; COMPUTE_PGM_RSRC3_GFX90A:ACCUM_OFFSET: 0
; COMPUTE_PGM_RSRC3_GFX90A:TG_SPLIT: 0
	.section	.text._ZN7rocprim17ROCPRIM_400000_NS6detail17trampoline_kernelINS0_14default_configENS1_29binary_search_config_selectorIiN6thrust23THRUST_200600_302600_NS6detail10any_assignEEEZNS1_14transform_implILb0ES3_S9_NS7_15normal_iteratorINS6_10device_ptrIiEEEENS6_16discard_iteratorINS6_11use_defaultEEEZNS1_13binary_searchIS3_S9_SE_SE_SH_NS1_16binary_search_opENS7_16wrapped_functionINS0_4lessIvEEbEEEE10hipError_tPvRmT1_T2_T3_mmT4_T5_P12ihipStream_tbEUlRKiE_EESO_SS_ST_mSU_SX_bEUlT_E_NS1_11comp_targetILNS1_3genE5ELNS1_11target_archE942ELNS1_3gpuE9ELNS1_3repE0EEENS1_30default_config_static_selectorELNS0_4arch9wavefront6targetE1EEEvSR_,"axG",@progbits,_ZN7rocprim17ROCPRIM_400000_NS6detail17trampoline_kernelINS0_14default_configENS1_29binary_search_config_selectorIiN6thrust23THRUST_200600_302600_NS6detail10any_assignEEEZNS1_14transform_implILb0ES3_S9_NS7_15normal_iteratorINS6_10device_ptrIiEEEENS6_16discard_iteratorINS6_11use_defaultEEEZNS1_13binary_searchIS3_S9_SE_SE_SH_NS1_16binary_search_opENS7_16wrapped_functionINS0_4lessIvEEbEEEE10hipError_tPvRmT1_T2_T3_mmT4_T5_P12ihipStream_tbEUlRKiE_EESO_SS_ST_mSU_SX_bEUlT_E_NS1_11comp_targetILNS1_3genE5ELNS1_11target_archE942ELNS1_3gpuE9ELNS1_3repE0EEENS1_30default_config_static_selectorELNS0_4arch9wavefront6targetE1EEEvSR_,comdat
	.protected	_ZN7rocprim17ROCPRIM_400000_NS6detail17trampoline_kernelINS0_14default_configENS1_29binary_search_config_selectorIiN6thrust23THRUST_200600_302600_NS6detail10any_assignEEEZNS1_14transform_implILb0ES3_S9_NS7_15normal_iteratorINS6_10device_ptrIiEEEENS6_16discard_iteratorINS6_11use_defaultEEEZNS1_13binary_searchIS3_S9_SE_SE_SH_NS1_16binary_search_opENS7_16wrapped_functionINS0_4lessIvEEbEEEE10hipError_tPvRmT1_T2_T3_mmT4_T5_P12ihipStream_tbEUlRKiE_EESO_SS_ST_mSU_SX_bEUlT_E_NS1_11comp_targetILNS1_3genE5ELNS1_11target_archE942ELNS1_3gpuE9ELNS1_3repE0EEENS1_30default_config_static_selectorELNS0_4arch9wavefront6targetE1EEEvSR_ ; -- Begin function _ZN7rocprim17ROCPRIM_400000_NS6detail17trampoline_kernelINS0_14default_configENS1_29binary_search_config_selectorIiN6thrust23THRUST_200600_302600_NS6detail10any_assignEEEZNS1_14transform_implILb0ES3_S9_NS7_15normal_iteratorINS6_10device_ptrIiEEEENS6_16discard_iteratorINS6_11use_defaultEEEZNS1_13binary_searchIS3_S9_SE_SE_SH_NS1_16binary_search_opENS7_16wrapped_functionINS0_4lessIvEEbEEEE10hipError_tPvRmT1_T2_T3_mmT4_T5_P12ihipStream_tbEUlRKiE_EESO_SS_ST_mSU_SX_bEUlT_E_NS1_11comp_targetILNS1_3genE5ELNS1_11target_archE942ELNS1_3gpuE9ELNS1_3repE0EEENS1_30default_config_static_selectorELNS0_4arch9wavefront6targetE1EEEvSR_
	.globl	_ZN7rocprim17ROCPRIM_400000_NS6detail17trampoline_kernelINS0_14default_configENS1_29binary_search_config_selectorIiN6thrust23THRUST_200600_302600_NS6detail10any_assignEEEZNS1_14transform_implILb0ES3_S9_NS7_15normal_iteratorINS6_10device_ptrIiEEEENS6_16discard_iteratorINS6_11use_defaultEEEZNS1_13binary_searchIS3_S9_SE_SE_SH_NS1_16binary_search_opENS7_16wrapped_functionINS0_4lessIvEEbEEEE10hipError_tPvRmT1_T2_T3_mmT4_T5_P12ihipStream_tbEUlRKiE_EESO_SS_ST_mSU_SX_bEUlT_E_NS1_11comp_targetILNS1_3genE5ELNS1_11target_archE942ELNS1_3gpuE9ELNS1_3repE0EEENS1_30default_config_static_selectorELNS0_4arch9wavefront6targetE1EEEvSR_
	.p2align	8
	.type	_ZN7rocprim17ROCPRIM_400000_NS6detail17trampoline_kernelINS0_14default_configENS1_29binary_search_config_selectorIiN6thrust23THRUST_200600_302600_NS6detail10any_assignEEEZNS1_14transform_implILb0ES3_S9_NS7_15normal_iteratorINS6_10device_ptrIiEEEENS6_16discard_iteratorINS6_11use_defaultEEEZNS1_13binary_searchIS3_S9_SE_SE_SH_NS1_16binary_search_opENS7_16wrapped_functionINS0_4lessIvEEbEEEE10hipError_tPvRmT1_T2_T3_mmT4_T5_P12ihipStream_tbEUlRKiE_EESO_SS_ST_mSU_SX_bEUlT_E_NS1_11comp_targetILNS1_3genE5ELNS1_11target_archE942ELNS1_3gpuE9ELNS1_3repE0EEENS1_30default_config_static_selectorELNS0_4arch9wavefront6targetE1EEEvSR_,@function
_ZN7rocprim17ROCPRIM_400000_NS6detail17trampoline_kernelINS0_14default_configENS1_29binary_search_config_selectorIiN6thrust23THRUST_200600_302600_NS6detail10any_assignEEEZNS1_14transform_implILb0ES3_S9_NS7_15normal_iteratorINS6_10device_ptrIiEEEENS6_16discard_iteratorINS6_11use_defaultEEEZNS1_13binary_searchIS3_S9_SE_SE_SH_NS1_16binary_search_opENS7_16wrapped_functionINS0_4lessIvEEbEEEE10hipError_tPvRmT1_T2_T3_mmT4_T5_P12ihipStream_tbEUlRKiE_EESO_SS_ST_mSU_SX_bEUlT_E_NS1_11comp_targetILNS1_3genE5ELNS1_11target_archE942ELNS1_3gpuE9ELNS1_3repE0EEENS1_30default_config_static_selectorELNS0_4arch9wavefront6targetE1EEEvSR_: ; @_ZN7rocprim17ROCPRIM_400000_NS6detail17trampoline_kernelINS0_14default_configENS1_29binary_search_config_selectorIiN6thrust23THRUST_200600_302600_NS6detail10any_assignEEEZNS1_14transform_implILb0ES3_S9_NS7_15normal_iteratorINS6_10device_ptrIiEEEENS6_16discard_iteratorINS6_11use_defaultEEEZNS1_13binary_searchIS3_S9_SE_SE_SH_NS1_16binary_search_opENS7_16wrapped_functionINS0_4lessIvEEbEEEE10hipError_tPvRmT1_T2_T3_mmT4_T5_P12ihipStream_tbEUlRKiE_EESO_SS_ST_mSU_SX_bEUlT_E_NS1_11comp_targetILNS1_3genE5ELNS1_11target_archE942ELNS1_3gpuE9ELNS1_3repE0EEENS1_30default_config_static_selectorELNS0_4arch9wavefront6targetE1EEEvSR_
; %bb.0:
	.section	.rodata,"a",@progbits
	.p2align	6, 0x0
	.amdhsa_kernel _ZN7rocprim17ROCPRIM_400000_NS6detail17trampoline_kernelINS0_14default_configENS1_29binary_search_config_selectorIiN6thrust23THRUST_200600_302600_NS6detail10any_assignEEEZNS1_14transform_implILb0ES3_S9_NS7_15normal_iteratorINS6_10device_ptrIiEEEENS6_16discard_iteratorINS6_11use_defaultEEEZNS1_13binary_searchIS3_S9_SE_SE_SH_NS1_16binary_search_opENS7_16wrapped_functionINS0_4lessIvEEbEEEE10hipError_tPvRmT1_T2_T3_mmT4_T5_P12ihipStream_tbEUlRKiE_EESO_SS_ST_mSU_SX_bEUlT_E_NS1_11comp_targetILNS1_3genE5ELNS1_11target_archE942ELNS1_3gpuE9ELNS1_3repE0EEENS1_30default_config_static_selectorELNS0_4arch9wavefront6targetE1EEEvSR_
		.amdhsa_group_segment_fixed_size 0
		.amdhsa_private_segment_fixed_size 0
		.amdhsa_kernarg_size 64
		.amdhsa_user_sgpr_count 6
		.amdhsa_user_sgpr_private_segment_buffer 1
		.amdhsa_user_sgpr_dispatch_ptr 0
		.amdhsa_user_sgpr_queue_ptr 0
		.amdhsa_user_sgpr_kernarg_segment_ptr 1
		.amdhsa_user_sgpr_dispatch_id 0
		.amdhsa_user_sgpr_flat_scratch_init 0
		.amdhsa_user_sgpr_kernarg_preload_length 0
		.amdhsa_user_sgpr_kernarg_preload_offset 0
		.amdhsa_user_sgpr_private_segment_size 0
		.amdhsa_uses_dynamic_stack 0
		.amdhsa_system_sgpr_private_segment_wavefront_offset 0
		.amdhsa_system_sgpr_workgroup_id_x 1
		.amdhsa_system_sgpr_workgroup_id_y 0
		.amdhsa_system_sgpr_workgroup_id_z 0
		.amdhsa_system_sgpr_workgroup_info 0
		.amdhsa_system_vgpr_workitem_id 0
		.amdhsa_next_free_vgpr 1
		.amdhsa_next_free_sgpr 0
		.amdhsa_accum_offset 4
		.amdhsa_reserve_vcc 0
		.amdhsa_reserve_flat_scratch 0
		.amdhsa_float_round_mode_32 0
		.amdhsa_float_round_mode_16_64 0
		.amdhsa_float_denorm_mode_32 3
		.amdhsa_float_denorm_mode_16_64 3
		.amdhsa_dx10_clamp 1
		.amdhsa_ieee_mode 1
		.amdhsa_fp16_overflow 0
		.amdhsa_tg_split 0
		.amdhsa_exception_fp_ieee_invalid_op 0
		.amdhsa_exception_fp_denorm_src 0
		.amdhsa_exception_fp_ieee_div_zero 0
		.amdhsa_exception_fp_ieee_overflow 0
		.amdhsa_exception_fp_ieee_underflow 0
		.amdhsa_exception_fp_ieee_inexact 0
		.amdhsa_exception_int_div_zero 0
	.end_amdhsa_kernel
	.section	.text._ZN7rocprim17ROCPRIM_400000_NS6detail17trampoline_kernelINS0_14default_configENS1_29binary_search_config_selectorIiN6thrust23THRUST_200600_302600_NS6detail10any_assignEEEZNS1_14transform_implILb0ES3_S9_NS7_15normal_iteratorINS6_10device_ptrIiEEEENS6_16discard_iteratorINS6_11use_defaultEEEZNS1_13binary_searchIS3_S9_SE_SE_SH_NS1_16binary_search_opENS7_16wrapped_functionINS0_4lessIvEEbEEEE10hipError_tPvRmT1_T2_T3_mmT4_T5_P12ihipStream_tbEUlRKiE_EESO_SS_ST_mSU_SX_bEUlT_E_NS1_11comp_targetILNS1_3genE5ELNS1_11target_archE942ELNS1_3gpuE9ELNS1_3repE0EEENS1_30default_config_static_selectorELNS0_4arch9wavefront6targetE1EEEvSR_,"axG",@progbits,_ZN7rocprim17ROCPRIM_400000_NS6detail17trampoline_kernelINS0_14default_configENS1_29binary_search_config_selectorIiN6thrust23THRUST_200600_302600_NS6detail10any_assignEEEZNS1_14transform_implILb0ES3_S9_NS7_15normal_iteratorINS6_10device_ptrIiEEEENS6_16discard_iteratorINS6_11use_defaultEEEZNS1_13binary_searchIS3_S9_SE_SE_SH_NS1_16binary_search_opENS7_16wrapped_functionINS0_4lessIvEEbEEEE10hipError_tPvRmT1_T2_T3_mmT4_T5_P12ihipStream_tbEUlRKiE_EESO_SS_ST_mSU_SX_bEUlT_E_NS1_11comp_targetILNS1_3genE5ELNS1_11target_archE942ELNS1_3gpuE9ELNS1_3repE0EEENS1_30default_config_static_selectorELNS0_4arch9wavefront6targetE1EEEvSR_,comdat
.Lfunc_end610:
	.size	_ZN7rocprim17ROCPRIM_400000_NS6detail17trampoline_kernelINS0_14default_configENS1_29binary_search_config_selectorIiN6thrust23THRUST_200600_302600_NS6detail10any_assignEEEZNS1_14transform_implILb0ES3_S9_NS7_15normal_iteratorINS6_10device_ptrIiEEEENS6_16discard_iteratorINS6_11use_defaultEEEZNS1_13binary_searchIS3_S9_SE_SE_SH_NS1_16binary_search_opENS7_16wrapped_functionINS0_4lessIvEEbEEEE10hipError_tPvRmT1_T2_T3_mmT4_T5_P12ihipStream_tbEUlRKiE_EESO_SS_ST_mSU_SX_bEUlT_E_NS1_11comp_targetILNS1_3genE5ELNS1_11target_archE942ELNS1_3gpuE9ELNS1_3repE0EEENS1_30default_config_static_selectorELNS0_4arch9wavefront6targetE1EEEvSR_, .Lfunc_end610-_ZN7rocprim17ROCPRIM_400000_NS6detail17trampoline_kernelINS0_14default_configENS1_29binary_search_config_selectorIiN6thrust23THRUST_200600_302600_NS6detail10any_assignEEEZNS1_14transform_implILb0ES3_S9_NS7_15normal_iteratorINS6_10device_ptrIiEEEENS6_16discard_iteratorINS6_11use_defaultEEEZNS1_13binary_searchIS3_S9_SE_SE_SH_NS1_16binary_search_opENS7_16wrapped_functionINS0_4lessIvEEbEEEE10hipError_tPvRmT1_T2_T3_mmT4_T5_P12ihipStream_tbEUlRKiE_EESO_SS_ST_mSU_SX_bEUlT_E_NS1_11comp_targetILNS1_3genE5ELNS1_11target_archE942ELNS1_3gpuE9ELNS1_3repE0EEENS1_30default_config_static_selectorELNS0_4arch9wavefront6targetE1EEEvSR_
                                        ; -- End function
	.section	.AMDGPU.csdata,"",@progbits
; Kernel info:
; codeLenInByte = 0
; NumSgprs: 4
; NumVgprs: 0
; NumAgprs: 0
; TotalNumVgprs: 0
; ScratchSize: 0
; MemoryBound: 0
; FloatMode: 240
; IeeeMode: 1
; LDSByteSize: 0 bytes/workgroup (compile time only)
; SGPRBlocks: 0
; VGPRBlocks: 0
; NumSGPRsForWavesPerEU: 4
; NumVGPRsForWavesPerEU: 1
; AccumOffset: 4
; Occupancy: 8
; WaveLimiterHint : 0
; COMPUTE_PGM_RSRC2:SCRATCH_EN: 0
; COMPUTE_PGM_RSRC2:USER_SGPR: 6
; COMPUTE_PGM_RSRC2:TRAP_HANDLER: 0
; COMPUTE_PGM_RSRC2:TGID_X_EN: 1
; COMPUTE_PGM_RSRC2:TGID_Y_EN: 0
; COMPUTE_PGM_RSRC2:TGID_Z_EN: 0
; COMPUTE_PGM_RSRC2:TIDIG_COMP_CNT: 0
; COMPUTE_PGM_RSRC3_GFX90A:ACCUM_OFFSET: 0
; COMPUTE_PGM_RSRC3_GFX90A:TG_SPLIT: 0
	.section	.text._ZN7rocprim17ROCPRIM_400000_NS6detail17trampoline_kernelINS0_14default_configENS1_29binary_search_config_selectorIiN6thrust23THRUST_200600_302600_NS6detail10any_assignEEEZNS1_14transform_implILb0ES3_S9_NS7_15normal_iteratorINS6_10device_ptrIiEEEENS6_16discard_iteratorINS6_11use_defaultEEEZNS1_13binary_searchIS3_S9_SE_SE_SH_NS1_16binary_search_opENS7_16wrapped_functionINS0_4lessIvEEbEEEE10hipError_tPvRmT1_T2_T3_mmT4_T5_P12ihipStream_tbEUlRKiE_EESO_SS_ST_mSU_SX_bEUlT_E_NS1_11comp_targetILNS1_3genE4ELNS1_11target_archE910ELNS1_3gpuE8ELNS1_3repE0EEENS1_30default_config_static_selectorELNS0_4arch9wavefront6targetE1EEEvSR_,"axG",@progbits,_ZN7rocprim17ROCPRIM_400000_NS6detail17trampoline_kernelINS0_14default_configENS1_29binary_search_config_selectorIiN6thrust23THRUST_200600_302600_NS6detail10any_assignEEEZNS1_14transform_implILb0ES3_S9_NS7_15normal_iteratorINS6_10device_ptrIiEEEENS6_16discard_iteratorINS6_11use_defaultEEEZNS1_13binary_searchIS3_S9_SE_SE_SH_NS1_16binary_search_opENS7_16wrapped_functionINS0_4lessIvEEbEEEE10hipError_tPvRmT1_T2_T3_mmT4_T5_P12ihipStream_tbEUlRKiE_EESO_SS_ST_mSU_SX_bEUlT_E_NS1_11comp_targetILNS1_3genE4ELNS1_11target_archE910ELNS1_3gpuE8ELNS1_3repE0EEENS1_30default_config_static_selectorELNS0_4arch9wavefront6targetE1EEEvSR_,comdat
	.protected	_ZN7rocprim17ROCPRIM_400000_NS6detail17trampoline_kernelINS0_14default_configENS1_29binary_search_config_selectorIiN6thrust23THRUST_200600_302600_NS6detail10any_assignEEEZNS1_14transform_implILb0ES3_S9_NS7_15normal_iteratorINS6_10device_ptrIiEEEENS6_16discard_iteratorINS6_11use_defaultEEEZNS1_13binary_searchIS3_S9_SE_SE_SH_NS1_16binary_search_opENS7_16wrapped_functionINS0_4lessIvEEbEEEE10hipError_tPvRmT1_T2_T3_mmT4_T5_P12ihipStream_tbEUlRKiE_EESO_SS_ST_mSU_SX_bEUlT_E_NS1_11comp_targetILNS1_3genE4ELNS1_11target_archE910ELNS1_3gpuE8ELNS1_3repE0EEENS1_30default_config_static_selectorELNS0_4arch9wavefront6targetE1EEEvSR_ ; -- Begin function _ZN7rocprim17ROCPRIM_400000_NS6detail17trampoline_kernelINS0_14default_configENS1_29binary_search_config_selectorIiN6thrust23THRUST_200600_302600_NS6detail10any_assignEEEZNS1_14transform_implILb0ES3_S9_NS7_15normal_iteratorINS6_10device_ptrIiEEEENS6_16discard_iteratorINS6_11use_defaultEEEZNS1_13binary_searchIS3_S9_SE_SE_SH_NS1_16binary_search_opENS7_16wrapped_functionINS0_4lessIvEEbEEEE10hipError_tPvRmT1_T2_T3_mmT4_T5_P12ihipStream_tbEUlRKiE_EESO_SS_ST_mSU_SX_bEUlT_E_NS1_11comp_targetILNS1_3genE4ELNS1_11target_archE910ELNS1_3gpuE8ELNS1_3repE0EEENS1_30default_config_static_selectorELNS0_4arch9wavefront6targetE1EEEvSR_
	.globl	_ZN7rocprim17ROCPRIM_400000_NS6detail17trampoline_kernelINS0_14default_configENS1_29binary_search_config_selectorIiN6thrust23THRUST_200600_302600_NS6detail10any_assignEEEZNS1_14transform_implILb0ES3_S9_NS7_15normal_iteratorINS6_10device_ptrIiEEEENS6_16discard_iteratorINS6_11use_defaultEEEZNS1_13binary_searchIS3_S9_SE_SE_SH_NS1_16binary_search_opENS7_16wrapped_functionINS0_4lessIvEEbEEEE10hipError_tPvRmT1_T2_T3_mmT4_T5_P12ihipStream_tbEUlRKiE_EESO_SS_ST_mSU_SX_bEUlT_E_NS1_11comp_targetILNS1_3genE4ELNS1_11target_archE910ELNS1_3gpuE8ELNS1_3repE0EEENS1_30default_config_static_selectorELNS0_4arch9wavefront6targetE1EEEvSR_
	.p2align	8
	.type	_ZN7rocprim17ROCPRIM_400000_NS6detail17trampoline_kernelINS0_14default_configENS1_29binary_search_config_selectorIiN6thrust23THRUST_200600_302600_NS6detail10any_assignEEEZNS1_14transform_implILb0ES3_S9_NS7_15normal_iteratorINS6_10device_ptrIiEEEENS6_16discard_iteratorINS6_11use_defaultEEEZNS1_13binary_searchIS3_S9_SE_SE_SH_NS1_16binary_search_opENS7_16wrapped_functionINS0_4lessIvEEbEEEE10hipError_tPvRmT1_T2_T3_mmT4_T5_P12ihipStream_tbEUlRKiE_EESO_SS_ST_mSU_SX_bEUlT_E_NS1_11comp_targetILNS1_3genE4ELNS1_11target_archE910ELNS1_3gpuE8ELNS1_3repE0EEENS1_30default_config_static_selectorELNS0_4arch9wavefront6targetE1EEEvSR_,@function
_ZN7rocprim17ROCPRIM_400000_NS6detail17trampoline_kernelINS0_14default_configENS1_29binary_search_config_selectorIiN6thrust23THRUST_200600_302600_NS6detail10any_assignEEEZNS1_14transform_implILb0ES3_S9_NS7_15normal_iteratorINS6_10device_ptrIiEEEENS6_16discard_iteratorINS6_11use_defaultEEEZNS1_13binary_searchIS3_S9_SE_SE_SH_NS1_16binary_search_opENS7_16wrapped_functionINS0_4lessIvEEbEEEE10hipError_tPvRmT1_T2_T3_mmT4_T5_P12ihipStream_tbEUlRKiE_EESO_SS_ST_mSU_SX_bEUlT_E_NS1_11comp_targetILNS1_3genE4ELNS1_11target_archE910ELNS1_3gpuE8ELNS1_3repE0EEENS1_30default_config_static_selectorELNS0_4arch9wavefront6targetE1EEEvSR_: ; @_ZN7rocprim17ROCPRIM_400000_NS6detail17trampoline_kernelINS0_14default_configENS1_29binary_search_config_selectorIiN6thrust23THRUST_200600_302600_NS6detail10any_assignEEEZNS1_14transform_implILb0ES3_S9_NS7_15normal_iteratorINS6_10device_ptrIiEEEENS6_16discard_iteratorINS6_11use_defaultEEEZNS1_13binary_searchIS3_S9_SE_SE_SH_NS1_16binary_search_opENS7_16wrapped_functionINS0_4lessIvEEbEEEE10hipError_tPvRmT1_T2_T3_mmT4_T5_P12ihipStream_tbEUlRKiE_EESO_SS_ST_mSU_SX_bEUlT_E_NS1_11comp_targetILNS1_3genE4ELNS1_11target_archE910ELNS1_3gpuE8ELNS1_3repE0EEENS1_30default_config_static_selectorELNS0_4arch9wavefront6targetE1EEEvSR_
; %bb.0:
	s_endpgm
	.section	.rodata,"a",@progbits
	.p2align	6, 0x0
	.amdhsa_kernel _ZN7rocprim17ROCPRIM_400000_NS6detail17trampoline_kernelINS0_14default_configENS1_29binary_search_config_selectorIiN6thrust23THRUST_200600_302600_NS6detail10any_assignEEEZNS1_14transform_implILb0ES3_S9_NS7_15normal_iteratorINS6_10device_ptrIiEEEENS6_16discard_iteratorINS6_11use_defaultEEEZNS1_13binary_searchIS3_S9_SE_SE_SH_NS1_16binary_search_opENS7_16wrapped_functionINS0_4lessIvEEbEEEE10hipError_tPvRmT1_T2_T3_mmT4_T5_P12ihipStream_tbEUlRKiE_EESO_SS_ST_mSU_SX_bEUlT_E_NS1_11comp_targetILNS1_3genE4ELNS1_11target_archE910ELNS1_3gpuE8ELNS1_3repE0EEENS1_30default_config_static_selectorELNS0_4arch9wavefront6targetE1EEEvSR_
		.amdhsa_group_segment_fixed_size 0
		.amdhsa_private_segment_fixed_size 0
		.amdhsa_kernarg_size 64
		.amdhsa_user_sgpr_count 6
		.amdhsa_user_sgpr_private_segment_buffer 1
		.amdhsa_user_sgpr_dispatch_ptr 0
		.amdhsa_user_sgpr_queue_ptr 0
		.amdhsa_user_sgpr_kernarg_segment_ptr 1
		.amdhsa_user_sgpr_dispatch_id 0
		.amdhsa_user_sgpr_flat_scratch_init 0
		.amdhsa_user_sgpr_kernarg_preload_length 0
		.amdhsa_user_sgpr_kernarg_preload_offset 0
		.amdhsa_user_sgpr_private_segment_size 0
		.amdhsa_uses_dynamic_stack 0
		.amdhsa_system_sgpr_private_segment_wavefront_offset 0
		.amdhsa_system_sgpr_workgroup_id_x 1
		.amdhsa_system_sgpr_workgroup_id_y 0
		.amdhsa_system_sgpr_workgroup_id_z 0
		.amdhsa_system_sgpr_workgroup_info 0
		.amdhsa_system_vgpr_workitem_id 0
		.amdhsa_next_free_vgpr 1
		.amdhsa_next_free_sgpr 0
		.amdhsa_accum_offset 4
		.amdhsa_reserve_vcc 0
		.amdhsa_reserve_flat_scratch 0
		.amdhsa_float_round_mode_32 0
		.amdhsa_float_round_mode_16_64 0
		.amdhsa_float_denorm_mode_32 3
		.amdhsa_float_denorm_mode_16_64 3
		.amdhsa_dx10_clamp 1
		.amdhsa_ieee_mode 1
		.amdhsa_fp16_overflow 0
		.amdhsa_tg_split 0
		.amdhsa_exception_fp_ieee_invalid_op 0
		.amdhsa_exception_fp_denorm_src 0
		.amdhsa_exception_fp_ieee_div_zero 0
		.amdhsa_exception_fp_ieee_overflow 0
		.amdhsa_exception_fp_ieee_underflow 0
		.amdhsa_exception_fp_ieee_inexact 0
		.amdhsa_exception_int_div_zero 0
	.end_amdhsa_kernel
	.section	.text._ZN7rocprim17ROCPRIM_400000_NS6detail17trampoline_kernelINS0_14default_configENS1_29binary_search_config_selectorIiN6thrust23THRUST_200600_302600_NS6detail10any_assignEEEZNS1_14transform_implILb0ES3_S9_NS7_15normal_iteratorINS6_10device_ptrIiEEEENS6_16discard_iteratorINS6_11use_defaultEEEZNS1_13binary_searchIS3_S9_SE_SE_SH_NS1_16binary_search_opENS7_16wrapped_functionINS0_4lessIvEEbEEEE10hipError_tPvRmT1_T2_T3_mmT4_T5_P12ihipStream_tbEUlRKiE_EESO_SS_ST_mSU_SX_bEUlT_E_NS1_11comp_targetILNS1_3genE4ELNS1_11target_archE910ELNS1_3gpuE8ELNS1_3repE0EEENS1_30default_config_static_selectorELNS0_4arch9wavefront6targetE1EEEvSR_,"axG",@progbits,_ZN7rocprim17ROCPRIM_400000_NS6detail17trampoline_kernelINS0_14default_configENS1_29binary_search_config_selectorIiN6thrust23THRUST_200600_302600_NS6detail10any_assignEEEZNS1_14transform_implILb0ES3_S9_NS7_15normal_iteratorINS6_10device_ptrIiEEEENS6_16discard_iteratorINS6_11use_defaultEEEZNS1_13binary_searchIS3_S9_SE_SE_SH_NS1_16binary_search_opENS7_16wrapped_functionINS0_4lessIvEEbEEEE10hipError_tPvRmT1_T2_T3_mmT4_T5_P12ihipStream_tbEUlRKiE_EESO_SS_ST_mSU_SX_bEUlT_E_NS1_11comp_targetILNS1_3genE4ELNS1_11target_archE910ELNS1_3gpuE8ELNS1_3repE0EEENS1_30default_config_static_selectorELNS0_4arch9wavefront6targetE1EEEvSR_,comdat
.Lfunc_end611:
	.size	_ZN7rocprim17ROCPRIM_400000_NS6detail17trampoline_kernelINS0_14default_configENS1_29binary_search_config_selectorIiN6thrust23THRUST_200600_302600_NS6detail10any_assignEEEZNS1_14transform_implILb0ES3_S9_NS7_15normal_iteratorINS6_10device_ptrIiEEEENS6_16discard_iteratorINS6_11use_defaultEEEZNS1_13binary_searchIS3_S9_SE_SE_SH_NS1_16binary_search_opENS7_16wrapped_functionINS0_4lessIvEEbEEEE10hipError_tPvRmT1_T2_T3_mmT4_T5_P12ihipStream_tbEUlRKiE_EESO_SS_ST_mSU_SX_bEUlT_E_NS1_11comp_targetILNS1_3genE4ELNS1_11target_archE910ELNS1_3gpuE8ELNS1_3repE0EEENS1_30default_config_static_selectorELNS0_4arch9wavefront6targetE1EEEvSR_, .Lfunc_end611-_ZN7rocprim17ROCPRIM_400000_NS6detail17trampoline_kernelINS0_14default_configENS1_29binary_search_config_selectorIiN6thrust23THRUST_200600_302600_NS6detail10any_assignEEEZNS1_14transform_implILb0ES3_S9_NS7_15normal_iteratorINS6_10device_ptrIiEEEENS6_16discard_iteratorINS6_11use_defaultEEEZNS1_13binary_searchIS3_S9_SE_SE_SH_NS1_16binary_search_opENS7_16wrapped_functionINS0_4lessIvEEbEEEE10hipError_tPvRmT1_T2_T3_mmT4_T5_P12ihipStream_tbEUlRKiE_EESO_SS_ST_mSU_SX_bEUlT_E_NS1_11comp_targetILNS1_3genE4ELNS1_11target_archE910ELNS1_3gpuE8ELNS1_3repE0EEENS1_30default_config_static_selectorELNS0_4arch9wavefront6targetE1EEEvSR_
                                        ; -- End function
	.section	.AMDGPU.csdata,"",@progbits
; Kernel info:
; codeLenInByte = 4
; NumSgprs: 4
; NumVgprs: 0
; NumAgprs: 0
; TotalNumVgprs: 0
; ScratchSize: 0
; MemoryBound: 0
; FloatMode: 240
; IeeeMode: 1
; LDSByteSize: 0 bytes/workgroup (compile time only)
; SGPRBlocks: 0
; VGPRBlocks: 0
; NumSGPRsForWavesPerEU: 4
; NumVGPRsForWavesPerEU: 1
; AccumOffset: 4
; Occupancy: 8
; WaveLimiterHint : 0
; COMPUTE_PGM_RSRC2:SCRATCH_EN: 0
; COMPUTE_PGM_RSRC2:USER_SGPR: 6
; COMPUTE_PGM_RSRC2:TRAP_HANDLER: 0
; COMPUTE_PGM_RSRC2:TGID_X_EN: 1
; COMPUTE_PGM_RSRC2:TGID_Y_EN: 0
; COMPUTE_PGM_RSRC2:TGID_Z_EN: 0
; COMPUTE_PGM_RSRC2:TIDIG_COMP_CNT: 0
; COMPUTE_PGM_RSRC3_GFX90A:ACCUM_OFFSET: 0
; COMPUTE_PGM_RSRC3_GFX90A:TG_SPLIT: 0
	.section	.text._ZN7rocprim17ROCPRIM_400000_NS6detail17trampoline_kernelINS0_14default_configENS1_29binary_search_config_selectorIiN6thrust23THRUST_200600_302600_NS6detail10any_assignEEEZNS1_14transform_implILb0ES3_S9_NS7_15normal_iteratorINS6_10device_ptrIiEEEENS6_16discard_iteratorINS6_11use_defaultEEEZNS1_13binary_searchIS3_S9_SE_SE_SH_NS1_16binary_search_opENS7_16wrapped_functionINS0_4lessIvEEbEEEE10hipError_tPvRmT1_T2_T3_mmT4_T5_P12ihipStream_tbEUlRKiE_EESO_SS_ST_mSU_SX_bEUlT_E_NS1_11comp_targetILNS1_3genE3ELNS1_11target_archE908ELNS1_3gpuE7ELNS1_3repE0EEENS1_30default_config_static_selectorELNS0_4arch9wavefront6targetE1EEEvSR_,"axG",@progbits,_ZN7rocprim17ROCPRIM_400000_NS6detail17trampoline_kernelINS0_14default_configENS1_29binary_search_config_selectorIiN6thrust23THRUST_200600_302600_NS6detail10any_assignEEEZNS1_14transform_implILb0ES3_S9_NS7_15normal_iteratorINS6_10device_ptrIiEEEENS6_16discard_iteratorINS6_11use_defaultEEEZNS1_13binary_searchIS3_S9_SE_SE_SH_NS1_16binary_search_opENS7_16wrapped_functionINS0_4lessIvEEbEEEE10hipError_tPvRmT1_T2_T3_mmT4_T5_P12ihipStream_tbEUlRKiE_EESO_SS_ST_mSU_SX_bEUlT_E_NS1_11comp_targetILNS1_3genE3ELNS1_11target_archE908ELNS1_3gpuE7ELNS1_3repE0EEENS1_30default_config_static_selectorELNS0_4arch9wavefront6targetE1EEEvSR_,comdat
	.protected	_ZN7rocprim17ROCPRIM_400000_NS6detail17trampoline_kernelINS0_14default_configENS1_29binary_search_config_selectorIiN6thrust23THRUST_200600_302600_NS6detail10any_assignEEEZNS1_14transform_implILb0ES3_S9_NS7_15normal_iteratorINS6_10device_ptrIiEEEENS6_16discard_iteratorINS6_11use_defaultEEEZNS1_13binary_searchIS3_S9_SE_SE_SH_NS1_16binary_search_opENS7_16wrapped_functionINS0_4lessIvEEbEEEE10hipError_tPvRmT1_T2_T3_mmT4_T5_P12ihipStream_tbEUlRKiE_EESO_SS_ST_mSU_SX_bEUlT_E_NS1_11comp_targetILNS1_3genE3ELNS1_11target_archE908ELNS1_3gpuE7ELNS1_3repE0EEENS1_30default_config_static_selectorELNS0_4arch9wavefront6targetE1EEEvSR_ ; -- Begin function _ZN7rocprim17ROCPRIM_400000_NS6detail17trampoline_kernelINS0_14default_configENS1_29binary_search_config_selectorIiN6thrust23THRUST_200600_302600_NS6detail10any_assignEEEZNS1_14transform_implILb0ES3_S9_NS7_15normal_iteratorINS6_10device_ptrIiEEEENS6_16discard_iteratorINS6_11use_defaultEEEZNS1_13binary_searchIS3_S9_SE_SE_SH_NS1_16binary_search_opENS7_16wrapped_functionINS0_4lessIvEEbEEEE10hipError_tPvRmT1_T2_T3_mmT4_T5_P12ihipStream_tbEUlRKiE_EESO_SS_ST_mSU_SX_bEUlT_E_NS1_11comp_targetILNS1_3genE3ELNS1_11target_archE908ELNS1_3gpuE7ELNS1_3repE0EEENS1_30default_config_static_selectorELNS0_4arch9wavefront6targetE1EEEvSR_
	.globl	_ZN7rocprim17ROCPRIM_400000_NS6detail17trampoline_kernelINS0_14default_configENS1_29binary_search_config_selectorIiN6thrust23THRUST_200600_302600_NS6detail10any_assignEEEZNS1_14transform_implILb0ES3_S9_NS7_15normal_iteratorINS6_10device_ptrIiEEEENS6_16discard_iteratorINS6_11use_defaultEEEZNS1_13binary_searchIS3_S9_SE_SE_SH_NS1_16binary_search_opENS7_16wrapped_functionINS0_4lessIvEEbEEEE10hipError_tPvRmT1_T2_T3_mmT4_T5_P12ihipStream_tbEUlRKiE_EESO_SS_ST_mSU_SX_bEUlT_E_NS1_11comp_targetILNS1_3genE3ELNS1_11target_archE908ELNS1_3gpuE7ELNS1_3repE0EEENS1_30default_config_static_selectorELNS0_4arch9wavefront6targetE1EEEvSR_
	.p2align	8
	.type	_ZN7rocprim17ROCPRIM_400000_NS6detail17trampoline_kernelINS0_14default_configENS1_29binary_search_config_selectorIiN6thrust23THRUST_200600_302600_NS6detail10any_assignEEEZNS1_14transform_implILb0ES3_S9_NS7_15normal_iteratorINS6_10device_ptrIiEEEENS6_16discard_iteratorINS6_11use_defaultEEEZNS1_13binary_searchIS3_S9_SE_SE_SH_NS1_16binary_search_opENS7_16wrapped_functionINS0_4lessIvEEbEEEE10hipError_tPvRmT1_T2_T3_mmT4_T5_P12ihipStream_tbEUlRKiE_EESO_SS_ST_mSU_SX_bEUlT_E_NS1_11comp_targetILNS1_3genE3ELNS1_11target_archE908ELNS1_3gpuE7ELNS1_3repE0EEENS1_30default_config_static_selectorELNS0_4arch9wavefront6targetE1EEEvSR_,@function
_ZN7rocprim17ROCPRIM_400000_NS6detail17trampoline_kernelINS0_14default_configENS1_29binary_search_config_selectorIiN6thrust23THRUST_200600_302600_NS6detail10any_assignEEEZNS1_14transform_implILb0ES3_S9_NS7_15normal_iteratorINS6_10device_ptrIiEEEENS6_16discard_iteratorINS6_11use_defaultEEEZNS1_13binary_searchIS3_S9_SE_SE_SH_NS1_16binary_search_opENS7_16wrapped_functionINS0_4lessIvEEbEEEE10hipError_tPvRmT1_T2_T3_mmT4_T5_P12ihipStream_tbEUlRKiE_EESO_SS_ST_mSU_SX_bEUlT_E_NS1_11comp_targetILNS1_3genE3ELNS1_11target_archE908ELNS1_3gpuE7ELNS1_3repE0EEENS1_30default_config_static_selectorELNS0_4arch9wavefront6targetE1EEEvSR_: ; @_ZN7rocprim17ROCPRIM_400000_NS6detail17trampoline_kernelINS0_14default_configENS1_29binary_search_config_selectorIiN6thrust23THRUST_200600_302600_NS6detail10any_assignEEEZNS1_14transform_implILb0ES3_S9_NS7_15normal_iteratorINS6_10device_ptrIiEEEENS6_16discard_iteratorINS6_11use_defaultEEEZNS1_13binary_searchIS3_S9_SE_SE_SH_NS1_16binary_search_opENS7_16wrapped_functionINS0_4lessIvEEbEEEE10hipError_tPvRmT1_T2_T3_mmT4_T5_P12ihipStream_tbEUlRKiE_EESO_SS_ST_mSU_SX_bEUlT_E_NS1_11comp_targetILNS1_3genE3ELNS1_11target_archE908ELNS1_3gpuE7ELNS1_3repE0EEENS1_30default_config_static_selectorELNS0_4arch9wavefront6targetE1EEEvSR_
; %bb.0:
	.section	.rodata,"a",@progbits
	.p2align	6, 0x0
	.amdhsa_kernel _ZN7rocprim17ROCPRIM_400000_NS6detail17trampoline_kernelINS0_14default_configENS1_29binary_search_config_selectorIiN6thrust23THRUST_200600_302600_NS6detail10any_assignEEEZNS1_14transform_implILb0ES3_S9_NS7_15normal_iteratorINS6_10device_ptrIiEEEENS6_16discard_iteratorINS6_11use_defaultEEEZNS1_13binary_searchIS3_S9_SE_SE_SH_NS1_16binary_search_opENS7_16wrapped_functionINS0_4lessIvEEbEEEE10hipError_tPvRmT1_T2_T3_mmT4_T5_P12ihipStream_tbEUlRKiE_EESO_SS_ST_mSU_SX_bEUlT_E_NS1_11comp_targetILNS1_3genE3ELNS1_11target_archE908ELNS1_3gpuE7ELNS1_3repE0EEENS1_30default_config_static_selectorELNS0_4arch9wavefront6targetE1EEEvSR_
		.amdhsa_group_segment_fixed_size 0
		.amdhsa_private_segment_fixed_size 0
		.amdhsa_kernarg_size 64
		.amdhsa_user_sgpr_count 6
		.amdhsa_user_sgpr_private_segment_buffer 1
		.amdhsa_user_sgpr_dispatch_ptr 0
		.amdhsa_user_sgpr_queue_ptr 0
		.amdhsa_user_sgpr_kernarg_segment_ptr 1
		.amdhsa_user_sgpr_dispatch_id 0
		.amdhsa_user_sgpr_flat_scratch_init 0
		.amdhsa_user_sgpr_kernarg_preload_length 0
		.amdhsa_user_sgpr_kernarg_preload_offset 0
		.amdhsa_user_sgpr_private_segment_size 0
		.amdhsa_uses_dynamic_stack 0
		.amdhsa_system_sgpr_private_segment_wavefront_offset 0
		.amdhsa_system_sgpr_workgroup_id_x 1
		.amdhsa_system_sgpr_workgroup_id_y 0
		.amdhsa_system_sgpr_workgroup_id_z 0
		.amdhsa_system_sgpr_workgroup_info 0
		.amdhsa_system_vgpr_workitem_id 0
		.amdhsa_next_free_vgpr 1
		.amdhsa_next_free_sgpr 0
		.amdhsa_accum_offset 4
		.amdhsa_reserve_vcc 0
		.amdhsa_reserve_flat_scratch 0
		.amdhsa_float_round_mode_32 0
		.amdhsa_float_round_mode_16_64 0
		.amdhsa_float_denorm_mode_32 3
		.amdhsa_float_denorm_mode_16_64 3
		.amdhsa_dx10_clamp 1
		.amdhsa_ieee_mode 1
		.amdhsa_fp16_overflow 0
		.amdhsa_tg_split 0
		.amdhsa_exception_fp_ieee_invalid_op 0
		.amdhsa_exception_fp_denorm_src 0
		.amdhsa_exception_fp_ieee_div_zero 0
		.amdhsa_exception_fp_ieee_overflow 0
		.amdhsa_exception_fp_ieee_underflow 0
		.amdhsa_exception_fp_ieee_inexact 0
		.amdhsa_exception_int_div_zero 0
	.end_amdhsa_kernel
	.section	.text._ZN7rocprim17ROCPRIM_400000_NS6detail17trampoline_kernelINS0_14default_configENS1_29binary_search_config_selectorIiN6thrust23THRUST_200600_302600_NS6detail10any_assignEEEZNS1_14transform_implILb0ES3_S9_NS7_15normal_iteratorINS6_10device_ptrIiEEEENS6_16discard_iteratorINS6_11use_defaultEEEZNS1_13binary_searchIS3_S9_SE_SE_SH_NS1_16binary_search_opENS7_16wrapped_functionINS0_4lessIvEEbEEEE10hipError_tPvRmT1_T2_T3_mmT4_T5_P12ihipStream_tbEUlRKiE_EESO_SS_ST_mSU_SX_bEUlT_E_NS1_11comp_targetILNS1_3genE3ELNS1_11target_archE908ELNS1_3gpuE7ELNS1_3repE0EEENS1_30default_config_static_selectorELNS0_4arch9wavefront6targetE1EEEvSR_,"axG",@progbits,_ZN7rocprim17ROCPRIM_400000_NS6detail17trampoline_kernelINS0_14default_configENS1_29binary_search_config_selectorIiN6thrust23THRUST_200600_302600_NS6detail10any_assignEEEZNS1_14transform_implILb0ES3_S9_NS7_15normal_iteratorINS6_10device_ptrIiEEEENS6_16discard_iteratorINS6_11use_defaultEEEZNS1_13binary_searchIS3_S9_SE_SE_SH_NS1_16binary_search_opENS7_16wrapped_functionINS0_4lessIvEEbEEEE10hipError_tPvRmT1_T2_T3_mmT4_T5_P12ihipStream_tbEUlRKiE_EESO_SS_ST_mSU_SX_bEUlT_E_NS1_11comp_targetILNS1_3genE3ELNS1_11target_archE908ELNS1_3gpuE7ELNS1_3repE0EEENS1_30default_config_static_selectorELNS0_4arch9wavefront6targetE1EEEvSR_,comdat
.Lfunc_end612:
	.size	_ZN7rocprim17ROCPRIM_400000_NS6detail17trampoline_kernelINS0_14default_configENS1_29binary_search_config_selectorIiN6thrust23THRUST_200600_302600_NS6detail10any_assignEEEZNS1_14transform_implILb0ES3_S9_NS7_15normal_iteratorINS6_10device_ptrIiEEEENS6_16discard_iteratorINS6_11use_defaultEEEZNS1_13binary_searchIS3_S9_SE_SE_SH_NS1_16binary_search_opENS7_16wrapped_functionINS0_4lessIvEEbEEEE10hipError_tPvRmT1_T2_T3_mmT4_T5_P12ihipStream_tbEUlRKiE_EESO_SS_ST_mSU_SX_bEUlT_E_NS1_11comp_targetILNS1_3genE3ELNS1_11target_archE908ELNS1_3gpuE7ELNS1_3repE0EEENS1_30default_config_static_selectorELNS0_4arch9wavefront6targetE1EEEvSR_, .Lfunc_end612-_ZN7rocprim17ROCPRIM_400000_NS6detail17trampoline_kernelINS0_14default_configENS1_29binary_search_config_selectorIiN6thrust23THRUST_200600_302600_NS6detail10any_assignEEEZNS1_14transform_implILb0ES3_S9_NS7_15normal_iteratorINS6_10device_ptrIiEEEENS6_16discard_iteratorINS6_11use_defaultEEEZNS1_13binary_searchIS3_S9_SE_SE_SH_NS1_16binary_search_opENS7_16wrapped_functionINS0_4lessIvEEbEEEE10hipError_tPvRmT1_T2_T3_mmT4_T5_P12ihipStream_tbEUlRKiE_EESO_SS_ST_mSU_SX_bEUlT_E_NS1_11comp_targetILNS1_3genE3ELNS1_11target_archE908ELNS1_3gpuE7ELNS1_3repE0EEENS1_30default_config_static_selectorELNS0_4arch9wavefront6targetE1EEEvSR_
                                        ; -- End function
	.section	.AMDGPU.csdata,"",@progbits
; Kernel info:
; codeLenInByte = 0
; NumSgprs: 4
; NumVgprs: 0
; NumAgprs: 0
; TotalNumVgprs: 0
; ScratchSize: 0
; MemoryBound: 0
; FloatMode: 240
; IeeeMode: 1
; LDSByteSize: 0 bytes/workgroup (compile time only)
; SGPRBlocks: 0
; VGPRBlocks: 0
; NumSGPRsForWavesPerEU: 4
; NumVGPRsForWavesPerEU: 1
; AccumOffset: 4
; Occupancy: 8
; WaveLimiterHint : 0
; COMPUTE_PGM_RSRC2:SCRATCH_EN: 0
; COMPUTE_PGM_RSRC2:USER_SGPR: 6
; COMPUTE_PGM_RSRC2:TRAP_HANDLER: 0
; COMPUTE_PGM_RSRC2:TGID_X_EN: 1
; COMPUTE_PGM_RSRC2:TGID_Y_EN: 0
; COMPUTE_PGM_RSRC2:TGID_Z_EN: 0
; COMPUTE_PGM_RSRC2:TIDIG_COMP_CNT: 0
; COMPUTE_PGM_RSRC3_GFX90A:ACCUM_OFFSET: 0
; COMPUTE_PGM_RSRC3_GFX90A:TG_SPLIT: 0
	.section	.text._ZN7rocprim17ROCPRIM_400000_NS6detail17trampoline_kernelINS0_14default_configENS1_29binary_search_config_selectorIiN6thrust23THRUST_200600_302600_NS6detail10any_assignEEEZNS1_14transform_implILb0ES3_S9_NS7_15normal_iteratorINS6_10device_ptrIiEEEENS6_16discard_iteratorINS6_11use_defaultEEEZNS1_13binary_searchIS3_S9_SE_SE_SH_NS1_16binary_search_opENS7_16wrapped_functionINS0_4lessIvEEbEEEE10hipError_tPvRmT1_T2_T3_mmT4_T5_P12ihipStream_tbEUlRKiE_EESO_SS_ST_mSU_SX_bEUlT_E_NS1_11comp_targetILNS1_3genE2ELNS1_11target_archE906ELNS1_3gpuE6ELNS1_3repE0EEENS1_30default_config_static_selectorELNS0_4arch9wavefront6targetE1EEEvSR_,"axG",@progbits,_ZN7rocprim17ROCPRIM_400000_NS6detail17trampoline_kernelINS0_14default_configENS1_29binary_search_config_selectorIiN6thrust23THRUST_200600_302600_NS6detail10any_assignEEEZNS1_14transform_implILb0ES3_S9_NS7_15normal_iteratorINS6_10device_ptrIiEEEENS6_16discard_iteratorINS6_11use_defaultEEEZNS1_13binary_searchIS3_S9_SE_SE_SH_NS1_16binary_search_opENS7_16wrapped_functionINS0_4lessIvEEbEEEE10hipError_tPvRmT1_T2_T3_mmT4_T5_P12ihipStream_tbEUlRKiE_EESO_SS_ST_mSU_SX_bEUlT_E_NS1_11comp_targetILNS1_3genE2ELNS1_11target_archE906ELNS1_3gpuE6ELNS1_3repE0EEENS1_30default_config_static_selectorELNS0_4arch9wavefront6targetE1EEEvSR_,comdat
	.protected	_ZN7rocprim17ROCPRIM_400000_NS6detail17trampoline_kernelINS0_14default_configENS1_29binary_search_config_selectorIiN6thrust23THRUST_200600_302600_NS6detail10any_assignEEEZNS1_14transform_implILb0ES3_S9_NS7_15normal_iteratorINS6_10device_ptrIiEEEENS6_16discard_iteratorINS6_11use_defaultEEEZNS1_13binary_searchIS3_S9_SE_SE_SH_NS1_16binary_search_opENS7_16wrapped_functionINS0_4lessIvEEbEEEE10hipError_tPvRmT1_T2_T3_mmT4_T5_P12ihipStream_tbEUlRKiE_EESO_SS_ST_mSU_SX_bEUlT_E_NS1_11comp_targetILNS1_3genE2ELNS1_11target_archE906ELNS1_3gpuE6ELNS1_3repE0EEENS1_30default_config_static_selectorELNS0_4arch9wavefront6targetE1EEEvSR_ ; -- Begin function _ZN7rocprim17ROCPRIM_400000_NS6detail17trampoline_kernelINS0_14default_configENS1_29binary_search_config_selectorIiN6thrust23THRUST_200600_302600_NS6detail10any_assignEEEZNS1_14transform_implILb0ES3_S9_NS7_15normal_iteratorINS6_10device_ptrIiEEEENS6_16discard_iteratorINS6_11use_defaultEEEZNS1_13binary_searchIS3_S9_SE_SE_SH_NS1_16binary_search_opENS7_16wrapped_functionINS0_4lessIvEEbEEEE10hipError_tPvRmT1_T2_T3_mmT4_T5_P12ihipStream_tbEUlRKiE_EESO_SS_ST_mSU_SX_bEUlT_E_NS1_11comp_targetILNS1_3genE2ELNS1_11target_archE906ELNS1_3gpuE6ELNS1_3repE0EEENS1_30default_config_static_selectorELNS0_4arch9wavefront6targetE1EEEvSR_
	.globl	_ZN7rocprim17ROCPRIM_400000_NS6detail17trampoline_kernelINS0_14default_configENS1_29binary_search_config_selectorIiN6thrust23THRUST_200600_302600_NS6detail10any_assignEEEZNS1_14transform_implILb0ES3_S9_NS7_15normal_iteratorINS6_10device_ptrIiEEEENS6_16discard_iteratorINS6_11use_defaultEEEZNS1_13binary_searchIS3_S9_SE_SE_SH_NS1_16binary_search_opENS7_16wrapped_functionINS0_4lessIvEEbEEEE10hipError_tPvRmT1_T2_T3_mmT4_T5_P12ihipStream_tbEUlRKiE_EESO_SS_ST_mSU_SX_bEUlT_E_NS1_11comp_targetILNS1_3genE2ELNS1_11target_archE906ELNS1_3gpuE6ELNS1_3repE0EEENS1_30default_config_static_selectorELNS0_4arch9wavefront6targetE1EEEvSR_
	.p2align	8
	.type	_ZN7rocprim17ROCPRIM_400000_NS6detail17trampoline_kernelINS0_14default_configENS1_29binary_search_config_selectorIiN6thrust23THRUST_200600_302600_NS6detail10any_assignEEEZNS1_14transform_implILb0ES3_S9_NS7_15normal_iteratorINS6_10device_ptrIiEEEENS6_16discard_iteratorINS6_11use_defaultEEEZNS1_13binary_searchIS3_S9_SE_SE_SH_NS1_16binary_search_opENS7_16wrapped_functionINS0_4lessIvEEbEEEE10hipError_tPvRmT1_T2_T3_mmT4_T5_P12ihipStream_tbEUlRKiE_EESO_SS_ST_mSU_SX_bEUlT_E_NS1_11comp_targetILNS1_3genE2ELNS1_11target_archE906ELNS1_3gpuE6ELNS1_3repE0EEENS1_30default_config_static_selectorELNS0_4arch9wavefront6targetE1EEEvSR_,@function
_ZN7rocprim17ROCPRIM_400000_NS6detail17trampoline_kernelINS0_14default_configENS1_29binary_search_config_selectorIiN6thrust23THRUST_200600_302600_NS6detail10any_assignEEEZNS1_14transform_implILb0ES3_S9_NS7_15normal_iteratorINS6_10device_ptrIiEEEENS6_16discard_iteratorINS6_11use_defaultEEEZNS1_13binary_searchIS3_S9_SE_SE_SH_NS1_16binary_search_opENS7_16wrapped_functionINS0_4lessIvEEbEEEE10hipError_tPvRmT1_T2_T3_mmT4_T5_P12ihipStream_tbEUlRKiE_EESO_SS_ST_mSU_SX_bEUlT_E_NS1_11comp_targetILNS1_3genE2ELNS1_11target_archE906ELNS1_3gpuE6ELNS1_3repE0EEENS1_30default_config_static_selectorELNS0_4arch9wavefront6targetE1EEEvSR_: ; @_ZN7rocprim17ROCPRIM_400000_NS6detail17trampoline_kernelINS0_14default_configENS1_29binary_search_config_selectorIiN6thrust23THRUST_200600_302600_NS6detail10any_assignEEEZNS1_14transform_implILb0ES3_S9_NS7_15normal_iteratorINS6_10device_ptrIiEEEENS6_16discard_iteratorINS6_11use_defaultEEEZNS1_13binary_searchIS3_S9_SE_SE_SH_NS1_16binary_search_opENS7_16wrapped_functionINS0_4lessIvEEbEEEE10hipError_tPvRmT1_T2_T3_mmT4_T5_P12ihipStream_tbEUlRKiE_EESO_SS_ST_mSU_SX_bEUlT_E_NS1_11comp_targetILNS1_3genE2ELNS1_11target_archE906ELNS1_3gpuE6ELNS1_3repE0EEENS1_30default_config_static_selectorELNS0_4arch9wavefront6targetE1EEEvSR_
; %bb.0:
	.section	.rodata,"a",@progbits
	.p2align	6, 0x0
	.amdhsa_kernel _ZN7rocprim17ROCPRIM_400000_NS6detail17trampoline_kernelINS0_14default_configENS1_29binary_search_config_selectorIiN6thrust23THRUST_200600_302600_NS6detail10any_assignEEEZNS1_14transform_implILb0ES3_S9_NS7_15normal_iteratorINS6_10device_ptrIiEEEENS6_16discard_iteratorINS6_11use_defaultEEEZNS1_13binary_searchIS3_S9_SE_SE_SH_NS1_16binary_search_opENS7_16wrapped_functionINS0_4lessIvEEbEEEE10hipError_tPvRmT1_T2_T3_mmT4_T5_P12ihipStream_tbEUlRKiE_EESO_SS_ST_mSU_SX_bEUlT_E_NS1_11comp_targetILNS1_3genE2ELNS1_11target_archE906ELNS1_3gpuE6ELNS1_3repE0EEENS1_30default_config_static_selectorELNS0_4arch9wavefront6targetE1EEEvSR_
		.amdhsa_group_segment_fixed_size 0
		.amdhsa_private_segment_fixed_size 0
		.amdhsa_kernarg_size 64
		.amdhsa_user_sgpr_count 6
		.amdhsa_user_sgpr_private_segment_buffer 1
		.amdhsa_user_sgpr_dispatch_ptr 0
		.amdhsa_user_sgpr_queue_ptr 0
		.amdhsa_user_sgpr_kernarg_segment_ptr 1
		.amdhsa_user_sgpr_dispatch_id 0
		.amdhsa_user_sgpr_flat_scratch_init 0
		.amdhsa_user_sgpr_kernarg_preload_length 0
		.amdhsa_user_sgpr_kernarg_preload_offset 0
		.amdhsa_user_sgpr_private_segment_size 0
		.amdhsa_uses_dynamic_stack 0
		.amdhsa_system_sgpr_private_segment_wavefront_offset 0
		.amdhsa_system_sgpr_workgroup_id_x 1
		.amdhsa_system_sgpr_workgroup_id_y 0
		.amdhsa_system_sgpr_workgroup_id_z 0
		.amdhsa_system_sgpr_workgroup_info 0
		.amdhsa_system_vgpr_workitem_id 0
		.amdhsa_next_free_vgpr 1
		.amdhsa_next_free_sgpr 0
		.amdhsa_accum_offset 4
		.amdhsa_reserve_vcc 0
		.amdhsa_reserve_flat_scratch 0
		.amdhsa_float_round_mode_32 0
		.amdhsa_float_round_mode_16_64 0
		.amdhsa_float_denorm_mode_32 3
		.amdhsa_float_denorm_mode_16_64 3
		.amdhsa_dx10_clamp 1
		.amdhsa_ieee_mode 1
		.amdhsa_fp16_overflow 0
		.amdhsa_tg_split 0
		.amdhsa_exception_fp_ieee_invalid_op 0
		.amdhsa_exception_fp_denorm_src 0
		.amdhsa_exception_fp_ieee_div_zero 0
		.amdhsa_exception_fp_ieee_overflow 0
		.amdhsa_exception_fp_ieee_underflow 0
		.amdhsa_exception_fp_ieee_inexact 0
		.amdhsa_exception_int_div_zero 0
	.end_amdhsa_kernel
	.section	.text._ZN7rocprim17ROCPRIM_400000_NS6detail17trampoline_kernelINS0_14default_configENS1_29binary_search_config_selectorIiN6thrust23THRUST_200600_302600_NS6detail10any_assignEEEZNS1_14transform_implILb0ES3_S9_NS7_15normal_iteratorINS6_10device_ptrIiEEEENS6_16discard_iteratorINS6_11use_defaultEEEZNS1_13binary_searchIS3_S9_SE_SE_SH_NS1_16binary_search_opENS7_16wrapped_functionINS0_4lessIvEEbEEEE10hipError_tPvRmT1_T2_T3_mmT4_T5_P12ihipStream_tbEUlRKiE_EESO_SS_ST_mSU_SX_bEUlT_E_NS1_11comp_targetILNS1_3genE2ELNS1_11target_archE906ELNS1_3gpuE6ELNS1_3repE0EEENS1_30default_config_static_selectorELNS0_4arch9wavefront6targetE1EEEvSR_,"axG",@progbits,_ZN7rocprim17ROCPRIM_400000_NS6detail17trampoline_kernelINS0_14default_configENS1_29binary_search_config_selectorIiN6thrust23THRUST_200600_302600_NS6detail10any_assignEEEZNS1_14transform_implILb0ES3_S9_NS7_15normal_iteratorINS6_10device_ptrIiEEEENS6_16discard_iteratorINS6_11use_defaultEEEZNS1_13binary_searchIS3_S9_SE_SE_SH_NS1_16binary_search_opENS7_16wrapped_functionINS0_4lessIvEEbEEEE10hipError_tPvRmT1_T2_T3_mmT4_T5_P12ihipStream_tbEUlRKiE_EESO_SS_ST_mSU_SX_bEUlT_E_NS1_11comp_targetILNS1_3genE2ELNS1_11target_archE906ELNS1_3gpuE6ELNS1_3repE0EEENS1_30default_config_static_selectorELNS0_4arch9wavefront6targetE1EEEvSR_,comdat
.Lfunc_end613:
	.size	_ZN7rocprim17ROCPRIM_400000_NS6detail17trampoline_kernelINS0_14default_configENS1_29binary_search_config_selectorIiN6thrust23THRUST_200600_302600_NS6detail10any_assignEEEZNS1_14transform_implILb0ES3_S9_NS7_15normal_iteratorINS6_10device_ptrIiEEEENS6_16discard_iteratorINS6_11use_defaultEEEZNS1_13binary_searchIS3_S9_SE_SE_SH_NS1_16binary_search_opENS7_16wrapped_functionINS0_4lessIvEEbEEEE10hipError_tPvRmT1_T2_T3_mmT4_T5_P12ihipStream_tbEUlRKiE_EESO_SS_ST_mSU_SX_bEUlT_E_NS1_11comp_targetILNS1_3genE2ELNS1_11target_archE906ELNS1_3gpuE6ELNS1_3repE0EEENS1_30default_config_static_selectorELNS0_4arch9wavefront6targetE1EEEvSR_, .Lfunc_end613-_ZN7rocprim17ROCPRIM_400000_NS6detail17trampoline_kernelINS0_14default_configENS1_29binary_search_config_selectorIiN6thrust23THRUST_200600_302600_NS6detail10any_assignEEEZNS1_14transform_implILb0ES3_S9_NS7_15normal_iteratorINS6_10device_ptrIiEEEENS6_16discard_iteratorINS6_11use_defaultEEEZNS1_13binary_searchIS3_S9_SE_SE_SH_NS1_16binary_search_opENS7_16wrapped_functionINS0_4lessIvEEbEEEE10hipError_tPvRmT1_T2_T3_mmT4_T5_P12ihipStream_tbEUlRKiE_EESO_SS_ST_mSU_SX_bEUlT_E_NS1_11comp_targetILNS1_3genE2ELNS1_11target_archE906ELNS1_3gpuE6ELNS1_3repE0EEENS1_30default_config_static_selectorELNS0_4arch9wavefront6targetE1EEEvSR_
                                        ; -- End function
	.section	.AMDGPU.csdata,"",@progbits
; Kernel info:
; codeLenInByte = 0
; NumSgprs: 4
; NumVgprs: 0
; NumAgprs: 0
; TotalNumVgprs: 0
; ScratchSize: 0
; MemoryBound: 0
; FloatMode: 240
; IeeeMode: 1
; LDSByteSize: 0 bytes/workgroup (compile time only)
; SGPRBlocks: 0
; VGPRBlocks: 0
; NumSGPRsForWavesPerEU: 4
; NumVGPRsForWavesPerEU: 1
; AccumOffset: 4
; Occupancy: 8
; WaveLimiterHint : 0
; COMPUTE_PGM_RSRC2:SCRATCH_EN: 0
; COMPUTE_PGM_RSRC2:USER_SGPR: 6
; COMPUTE_PGM_RSRC2:TRAP_HANDLER: 0
; COMPUTE_PGM_RSRC2:TGID_X_EN: 1
; COMPUTE_PGM_RSRC2:TGID_Y_EN: 0
; COMPUTE_PGM_RSRC2:TGID_Z_EN: 0
; COMPUTE_PGM_RSRC2:TIDIG_COMP_CNT: 0
; COMPUTE_PGM_RSRC3_GFX90A:ACCUM_OFFSET: 0
; COMPUTE_PGM_RSRC3_GFX90A:TG_SPLIT: 0
	.section	.text._ZN7rocprim17ROCPRIM_400000_NS6detail17trampoline_kernelINS0_14default_configENS1_29binary_search_config_selectorIiN6thrust23THRUST_200600_302600_NS6detail10any_assignEEEZNS1_14transform_implILb0ES3_S9_NS7_15normal_iteratorINS6_10device_ptrIiEEEENS6_16discard_iteratorINS6_11use_defaultEEEZNS1_13binary_searchIS3_S9_SE_SE_SH_NS1_16binary_search_opENS7_16wrapped_functionINS0_4lessIvEEbEEEE10hipError_tPvRmT1_T2_T3_mmT4_T5_P12ihipStream_tbEUlRKiE_EESO_SS_ST_mSU_SX_bEUlT_E_NS1_11comp_targetILNS1_3genE10ELNS1_11target_archE1201ELNS1_3gpuE5ELNS1_3repE0EEENS1_30default_config_static_selectorELNS0_4arch9wavefront6targetE1EEEvSR_,"axG",@progbits,_ZN7rocprim17ROCPRIM_400000_NS6detail17trampoline_kernelINS0_14default_configENS1_29binary_search_config_selectorIiN6thrust23THRUST_200600_302600_NS6detail10any_assignEEEZNS1_14transform_implILb0ES3_S9_NS7_15normal_iteratorINS6_10device_ptrIiEEEENS6_16discard_iteratorINS6_11use_defaultEEEZNS1_13binary_searchIS3_S9_SE_SE_SH_NS1_16binary_search_opENS7_16wrapped_functionINS0_4lessIvEEbEEEE10hipError_tPvRmT1_T2_T3_mmT4_T5_P12ihipStream_tbEUlRKiE_EESO_SS_ST_mSU_SX_bEUlT_E_NS1_11comp_targetILNS1_3genE10ELNS1_11target_archE1201ELNS1_3gpuE5ELNS1_3repE0EEENS1_30default_config_static_selectorELNS0_4arch9wavefront6targetE1EEEvSR_,comdat
	.protected	_ZN7rocprim17ROCPRIM_400000_NS6detail17trampoline_kernelINS0_14default_configENS1_29binary_search_config_selectorIiN6thrust23THRUST_200600_302600_NS6detail10any_assignEEEZNS1_14transform_implILb0ES3_S9_NS7_15normal_iteratorINS6_10device_ptrIiEEEENS6_16discard_iteratorINS6_11use_defaultEEEZNS1_13binary_searchIS3_S9_SE_SE_SH_NS1_16binary_search_opENS7_16wrapped_functionINS0_4lessIvEEbEEEE10hipError_tPvRmT1_T2_T3_mmT4_T5_P12ihipStream_tbEUlRKiE_EESO_SS_ST_mSU_SX_bEUlT_E_NS1_11comp_targetILNS1_3genE10ELNS1_11target_archE1201ELNS1_3gpuE5ELNS1_3repE0EEENS1_30default_config_static_selectorELNS0_4arch9wavefront6targetE1EEEvSR_ ; -- Begin function _ZN7rocprim17ROCPRIM_400000_NS6detail17trampoline_kernelINS0_14default_configENS1_29binary_search_config_selectorIiN6thrust23THRUST_200600_302600_NS6detail10any_assignEEEZNS1_14transform_implILb0ES3_S9_NS7_15normal_iteratorINS6_10device_ptrIiEEEENS6_16discard_iteratorINS6_11use_defaultEEEZNS1_13binary_searchIS3_S9_SE_SE_SH_NS1_16binary_search_opENS7_16wrapped_functionINS0_4lessIvEEbEEEE10hipError_tPvRmT1_T2_T3_mmT4_T5_P12ihipStream_tbEUlRKiE_EESO_SS_ST_mSU_SX_bEUlT_E_NS1_11comp_targetILNS1_3genE10ELNS1_11target_archE1201ELNS1_3gpuE5ELNS1_3repE0EEENS1_30default_config_static_selectorELNS0_4arch9wavefront6targetE1EEEvSR_
	.globl	_ZN7rocprim17ROCPRIM_400000_NS6detail17trampoline_kernelINS0_14default_configENS1_29binary_search_config_selectorIiN6thrust23THRUST_200600_302600_NS6detail10any_assignEEEZNS1_14transform_implILb0ES3_S9_NS7_15normal_iteratorINS6_10device_ptrIiEEEENS6_16discard_iteratorINS6_11use_defaultEEEZNS1_13binary_searchIS3_S9_SE_SE_SH_NS1_16binary_search_opENS7_16wrapped_functionINS0_4lessIvEEbEEEE10hipError_tPvRmT1_T2_T3_mmT4_T5_P12ihipStream_tbEUlRKiE_EESO_SS_ST_mSU_SX_bEUlT_E_NS1_11comp_targetILNS1_3genE10ELNS1_11target_archE1201ELNS1_3gpuE5ELNS1_3repE0EEENS1_30default_config_static_selectorELNS0_4arch9wavefront6targetE1EEEvSR_
	.p2align	8
	.type	_ZN7rocprim17ROCPRIM_400000_NS6detail17trampoline_kernelINS0_14default_configENS1_29binary_search_config_selectorIiN6thrust23THRUST_200600_302600_NS6detail10any_assignEEEZNS1_14transform_implILb0ES3_S9_NS7_15normal_iteratorINS6_10device_ptrIiEEEENS6_16discard_iteratorINS6_11use_defaultEEEZNS1_13binary_searchIS3_S9_SE_SE_SH_NS1_16binary_search_opENS7_16wrapped_functionINS0_4lessIvEEbEEEE10hipError_tPvRmT1_T2_T3_mmT4_T5_P12ihipStream_tbEUlRKiE_EESO_SS_ST_mSU_SX_bEUlT_E_NS1_11comp_targetILNS1_3genE10ELNS1_11target_archE1201ELNS1_3gpuE5ELNS1_3repE0EEENS1_30default_config_static_selectorELNS0_4arch9wavefront6targetE1EEEvSR_,@function
_ZN7rocprim17ROCPRIM_400000_NS6detail17trampoline_kernelINS0_14default_configENS1_29binary_search_config_selectorIiN6thrust23THRUST_200600_302600_NS6detail10any_assignEEEZNS1_14transform_implILb0ES3_S9_NS7_15normal_iteratorINS6_10device_ptrIiEEEENS6_16discard_iteratorINS6_11use_defaultEEEZNS1_13binary_searchIS3_S9_SE_SE_SH_NS1_16binary_search_opENS7_16wrapped_functionINS0_4lessIvEEbEEEE10hipError_tPvRmT1_T2_T3_mmT4_T5_P12ihipStream_tbEUlRKiE_EESO_SS_ST_mSU_SX_bEUlT_E_NS1_11comp_targetILNS1_3genE10ELNS1_11target_archE1201ELNS1_3gpuE5ELNS1_3repE0EEENS1_30default_config_static_selectorELNS0_4arch9wavefront6targetE1EEEvSR_: ; @_ZN7rocprim17ROCPRIM_400000_NS6detail17trampoline_kernelINS0_14default_configENS1_29binary_search_config_selectorIiN6thrust23THRUST_200600_302600_NS6detail10any_assignEEEZNS1_14transform_implILb0ES3_S9_NS7_15normal_iteratorINS6_10device_ptrIiEEEENS6_16discard_iteratorINS6_11use_defaultEEEZNS1_13binary_searchIS3_S9_SE_SE_SH_NS1_16binary_search_opENS7_16wrapped_functionINS0_4lessIvEEbEEEE10hipError_tPvRmT1_T2_T3_mmT4_T5_P12ihipStream_tbEUlRKiE_EESO_SS_ST_mSU_SX_bEUlT_E_NS1_11comp_targetILNS1_3genE10ELNS1_11target_archE1201ELNS1_3gpuE5ELNS1_3repE0EEENS1_30default_config_static_selectorELNS0_4arch9wavefront6targetE1EEEvSR_
; %bb.0:
	.section	.rodata,"a",@progbits
	.p2align	6, 0x0
	.amdhsa_kernel _ZN7rocprim17ROCPRIM_400000_NS6detail17trampoline_kernelINS0_14default_configENS1_29binary_search_config_selectorIiN6thrust23THRUST_200600_302600_NS6detail10any_assignEEEZNS1_14transform_implILb0ES3_S9_NS7_15normal_iteratorINS6_10device_ptrIiEEEENS6_16discard_iteratorINS6_11use_defaultEEEZNS1_13binary_searchIS3_S9_SE_SE_SH_NS1_16binary_search_opENS7_16wrapped_functionINS0_4lessIvEEbEEEE10hipError_tPvRmT1_T2_T3_mmT4_T5_P12ihipStream_tbEUlRKiE_EESO_SS_ST_mSU_SX_bEUlT_E_NS1_11comp_targetILNS1_3genE10ELNS1_11target_archE1201ELNS1_3gpuE5ELNS1_3repE0EEENS1_30default_config_static_selectorELNS0_4arch9wavefront6targetE1EEEvSR_
		.amdhsa_group_segment_fixed_size 0
		.amdhsa_private_segment_fixed_size 0
		.amdhsa_kernarg_size 64
		.amdhsa_user_sgpr_count 6
		.amdhsa_user_sgpr_private_segment_buffer 1
		.amdhsa_user_sgpr_dispatch_ptr 0
		.amdhsa_user_sgpr_queue_ptr 0
		.amdhsa_user_sgpr_kernarg_segment_ptr 1
		.amdhsa_user_sgpr_dispatch_id 0
		.amdhsa_user_sgpr_flat_scratch_init 0
		.amdhsa_user_sgpr_kernarg_preload_length 0
		.amdhsa_user_sgpr_kernarg_preload_offset 0
		.amdhsa_user_sgpr_private_segment_size 0
		.amdhsa_uses_dynamic_stack 0
		.amdhsa_system_sgpr_private_segment_wavefront_offset 0
		.amdhsa_system_sgpr_workgroup_id_x 1
		.amdhsa_system_sgpr_workgroup_id_y 0
		.amdhsa_system_sgpr_workgroup_id_z 0
		.amdhsa_system_sgpr_workgroup_info 0
		.amdhsa_system_vgpr_workitem_id 0
		.amdhsa_next_free_vgpr 1
		.amdhsa_next_free_sgpr 0
		.amdhsa_accum_offset 4
		.amdhsa_reserve_vcc 0
		.amdhsa_reserve_flat_scratch 0
		.amdhsa_float_round_mode_32 0
		.amdhsa_float_round_mode_16_64 0
		.amdhsa_float_denorm_mode_32 3
		.amdhsa_float_denorm_mode_16_64 3
		.amdhsa_dx10_clamp 1
		.amdhsa_ieee_mode 1
		.amdhsa_fp16_overflow 0
		.amdhsa_tg_split 0
		.amdhsa_exception_fp_ieee_invalid_op 0
		.amdhsa_exception_fp_denorm_src 0
		.amdhsa_exception_fp_ieee_div_zero 0
		.amdhsa_exception_fp_ieee_overflow 0
		.amdhsa_exception_fp_ieee_underflow 0
		.amdhsa_exception_fp_ieee_inexact 0
		.amdhsa_exception_int_div_zero 0
	.end_amdhsa_kernel
	.section	.text._ZN7rocprim17ROCPRIM_400000_NS6detail17trampoline_kernelINS0_14default_configENS1_29binary_search_config_selectorIiN6thrust23THRUST_200600_302600_NS6detail10any_assignEEEZNS1_14transform_implILb0ES3_S9_NS7_15normal_iteratorINS6_10device_ptrIiEEEENS6_16discard_iteratorINS6_11use_defaultEEEZNS1_13binary_searchIS3_S9_SE_SE_SH_NS1_16binary_search_opENS7_16wrapped_functionINS0_4lessIvEEbEEEE10hipError_tPvRmT1_T2_T3_mmT4_T5_P12ihipStream_tbEUlRKiE_EESO_SS_ST_mSU_SX_bEUlT_E_NS1_11comp_targetILNS1_3genE10ELNS1_11target_archE1201ELNS1_3gpuE5ELNS1_3repE0EEENS1_30default_config_static_selectorELNS0_4arch9wavefront6targetE1EEEvSR_,"axG",@progbits,_ZN7rocprim17ROCPRIM_400000_NS6detail17trampoline_kernelINS0_14default_configENS1_29binary_search_config_selectorIiN6thrust23THRUST_200600_302600_NS6detail10any_assignEEEZNS1_14transform_implILb0ES3_S9_NS7_15normal_iteratorINS6_10device_ptrIiEEEENS6_16discard_iteratorINS6_11use_defaultEEEZNS1_13binary_searchIS3_S9_SE_SE_SH_NS1_16binary_search_opENS7_16wrapped_functionINS0_4lessIvEEbEEEE10hipError_tPvRmT1_T2_T3_mmT4_T5_P12ihipStream_tbEUlRKiE_EESO_SS_ST_mSU_SX_bEUlT_E_NS1_11comp_targetILNS1_3genE10ELNS1_11target_archE1201ELNS1_3gpuE5ELNS1_3repE0EEENS1_30default_config_static_selectorELNS0_4arch9wavefront6targetE1EEEvSR_,comdat
.Lfunc_end614:
	.size	_ZN7rocprim17ROCPRIM_400000_NS6detail17trampoline_kernelINS0_14default_configENS1_29binary_search_config_selectorIiN6thrust23THRUST_200600_302600_NS6detail10any_assignEEEZNS1_14transform_implILb0ES3_S9_NS7_15normal_iteratorINS6_10device_ptrIiEEEENS6_16discard_iteratorINS6_11use_defaultEEEZNS1_13binary_searchIS3_S9_SE_SE_SH_NS1_16binary_search_opENS7_16wrapped_functionINS0_4lessIvEEbEEEE10hipError_tPvRmT1_T2_T3_mmT4_T5_P12ihipStream_tbEUlRKiE_EESO_SS_ST_mSU_SX_bEUlT_E_NS1_11comp_targetILNS1_3genE10ELNS1_11target_archE1201ELNS1_3gpuE5ELNS1_3repE0EEENS1_30default_config_static_selectorELNS0_4arch9wavefront6targetE1EEEvSR_, .Lfunc_end614-_ZN7rocprim17ROCPRIM_400000_NS6detail17trampoline_kernelINS0_14default_configENS1_29binary_search_config_selectorIiN6thrust23THRUST_200600_302600_NS6detail10any_assignEEEZNS1_14transform_implILb0ES3_S9_NS7_15normal_iteratorINS6_10device_ptrIiEEEENS6_16discard_iteratorINS6_11use_defaultEEEZNS1_13binary_searchIS3_S9_SE_SE_SH_NS1_16binary_search_opENS7_16wrapped_functionINS0_4lessIvEEbEEEE10hipError_tPvRmT1_T2_T3_mmT4_T5_P12ihipStream_tbEUlRKiE_EESO_SS_ST_mSU_SX_bEUlT_E_NS1_11comp_targetILNS1_3genE10ELNS1_11target_archE1201ELNS1_3gpuE5ELNS1_3repE0EEENS1_30default_config_static_selectorELNS0_4arch9wavefront6targetE1EEEvSR_
                                        ; -- End function
	.section	.AMDGPU.csdata,"",@progbits
; Kernel info:
; codeLenInByte = 0
; NumSgprs: 4
; NumVgprs: 0
; NumAgprs: 0
; TotalNumVgprs: 0
; ScratchSize: 0
; MemoryBound: 0
; FloatMode: 240
; IeeeMode: 1
; LDSByteSize: 0 bytes/workgroup (compile time only)
; SGPRBlocks: 0
; VGPRBlocks: 0
; NumSGPRsForWavesPerEU: 4
; NumVGPRsForWavesPerEU: 1
; AccumOffset: 4
; Occupancy: 8
; WaveLimiterHint : 0
; COMPUTE_PGM_RSRC2:SCRATCH_EN: 0
; COMPUTE_PGM_RSRC2:USER_SGPR: 6
; COMPUTE_PGM_RSRC2:TRAP_HANDLER: 0
; COMPUTE_PGM_RSRC2:TGID_X_EN: 1
; COMPUTE_PGM_RSRC2:TGID_Y_EN: 0
; COMPUTE_PGM_RSRC2:TGID_Z_EN: 0
; COMPUTE_PGM_RSRC2:TIDIG_COMP_CNT: 0
; COMPUTE_PGM_RSRC3_GFX90A:ACCUM_OFFSET: 0
; COMPUTE_PGM_RSRC3_GFX90A:TG_SPLIT: 0
	.section	.text._ZN7rocprim17ROCPRIM_400000_NS6detail17trampoline_kernelINS0_14default_configENS1_29binary_search_config_selectorIiN6thrust23THRUST_200600_302600_NS6detail10any_assignEEEZNS1_14transform_implILb0ES3_S9_NS7_15normal_iteratorINS6_10device_ptrIiEEEENS6_16discard_iteratorINS6_11use_defaultEEEZNS1_13binary_searchIS3_S9_SE_SE_SH_NS1_16binary_search_opENS7_16wrapped_functionINS0_4lessIvEEbEEEE10hipError_tPvRmT1_T2_T3_mmT4_T5_P12ihipStream_tbEUlRKiE_EESO_SS_ST_mSU_SX_bEUlT_E_NS1_11comp_targetILNS1_3genE10ELNS1_11target_archE1200ELNS1_3gpuE4ELNS1_3repE0EEENS1_30default_config_static_selectorELNS0_4arch9wavefront6targetE1EEEvSR_,"axG",@progbits,_ZN7rocprim17ROCPRIM_400000_NS6detail17trampoline_kernelINS0_14default_configENS1_29binary_search_config_selectorIiN6thrust23THRUST_200600_302600_NS6detail10any_assignEEEZNS1_14transform_implILb0ES3_S9_NS7_15normal_iteratorINS6_10device_ptrIiEEEENS6_16discard_iteratorINS6_11use_defaultEEEZNS1_13binary_searchIS3_S9_SE_SE_SH_NS1_16binary_search_opENS7_16wrapped_functionINS0_4lessIvEEbEEEE10hipError_tPvRmT1_T2_T3_mmT4_T5_P12ihipStream_tbEUlRKiE_EESO_SS_ST_mSU_SX_bEUlT_E_NS1_11comp_targetILNS1_3genE10ELNS1_11target_archE1200ELNS1_3gpuE4ELNS1_3repE0EEENS1_30default_config_static_selectorELNS0_4arch9wavefront6targetE1EEEvSR_,comdat
	.protected	_ZN7rocprim17ROCPRIM_400000_NS6detail17trampoline_kernelINS0_14default_configENS1_29binary_search_config_selectorIiN6thrust23THRUST_200600_302600_NS6detail10any_assignEEEZNS1_14transform_implILb0ES3_S9_NS7_15normal_iteratorINS6_10device_ptrIiEEEENS6_16discard_iteratorINS6_11use_defaultEEEZNS1_13binary_searchIS3_S9_SE_SE_SH_NS1_16binary_search_opENS7_16wrapped_functionINS0_4lessIvEEbEEEE10hipError_tPvRmT1_T2_T3_mmT4_T5_P12ihipStream_tbEUlRKiE_EESO_SS_ST_mSU_SX_bEUlT_E_NS1_11comp_targetILNS1_3genE10ELNS1_11target_archE1200ELNS1_3gpuE4ELNS1_3repE0EEENS1_30default_config_static_selectorELNS0_4arch9wavefront6targetE1EEEvSR_ ; -- Begin function _ZN7rocprim17ROCPRIM_400000_NS6detail17trampoline_kernelINS0_14default_configENS1_29binary_search_config_selectorIiN6thrust23THRUST_200600_302600_NS6detail10any_assignEEEZNS1_14transform_implILb0ES3_S9_NS7_15normal_iteratorINS6_10device_ptrIiEEEENS6_16discard_iteratorINS6_11use_defaultEEEZNS1_13binary_searchIS3_S9_SE_SE_SH_NS1_16binary_search_opENS7_16wrapped_functionINS0_4lessIvEEbEEEE10hipError_tPvRmT1_T2_T3_mmT4_T5_P12ihipStream_tbEUlRKiE_EESO_SS_ST_mSU_SX_bEUlT_E_NS1_11comp_targetILNS1_3genE10ELNS1_11target_archE1200ELNS1_3gpuE4ELNS1_3repE0EEENS1_30default_config_static_selectorELNS0_4arch9wavefront6targetE1EEEvSR_
	.globl	_ZN7rocprim17ROCPRIM_400000_NS6detail17trampoline_kernelINS0_14default_configENS1_29binary_search_config_selectorIiN6thrust23THRUST_200600_302600_NS6detail10any_assignEEEZNS1_14transform_implILb0ES3_S9_NS7_15normal_iteratorINS6_10device_ptrIiEEEENS6_16discard_iteratorINS6_11use_defaultEEEZNS1_13binary_searchIS3_S9_SE_SE_SH_NS1_16binary_search_opENS7_16wrapped_functionINS0_4lessIvEEbEEEE10hipError_tPvRmT1_T2_T3_mmT4_T5_P12ihipStream_tbEUlRKiE_EESO_SS_ST_mSU_SX_bEUlT_E_NS1_11comp_targetILNS1_3genE10ELNS1_11target_archE1200ELNS1_3gpuE4ELNS1_3repE0EEENS1_30default_config_static_selectorELNS0_4arch9wavefront6targetE1EEEvSR_
	.p2align	8
	.type	_ZN7rocprim17ROCPRIM_400000_NS6detail17trampoline_kernelINS0_14default_configENS1_29binary_search_config_selectorIiN6thrust23THRUST_200600_302600_NS6detail10any_assignEEEZNS1_14transform_implILb0ES3_S9_NS7_15normal_iteratorINS6_10device_ptrIiEEEENS6_16discard_iteratorINS6_11use_defaultEEEZNS1_13binary_searchIS3_S9_SE_SE_SH_NS1_16binary_search_opENS7_16wrapped_functionINS0_4lessIvEEbEEEE10hipError_tPvRmT1_T2_T3_mmT4_T5_P12ihipStream_tbEUlRKiE_EESO_SS_ST_mSU_SX_bEUlT_E_NS1_11comp_targetILNS1_3genE10ELNS1_11target_archE1200ELNS1_3gpuE4ELNS1_3repE0EEENS1_30default_config_static_selectorELNS0_4arch9wavefront6targetE1EEEvSR_,@function
_ZN7rocprim17ROCPRIM_400000_NS6detail17trampoline_kernelINS0_14default_configENS1_29binary_search_config_selectorIiN6thrust23THRUST_200600_302600_NS6detail10any_assignEEEZNS1_14transform_implILb0ES3_S9_NS7_15normal_iteratorINS6_10device_ptrIiEEEENS6_16discard_iteratorINS6_11use_defaultEEEZNS1_13binary_searchIS3_S9_SE_SE_SH_NS1_16binary_search_opENS7_16wrapped_functionINS0_4lessIvEEbEEEE10hipError_tPvRmT1_T2_T3_mmT4_T5_P12ihipStream_tbEUlRKiE_EESO_SS_ST_mSU_SX_bEUlT_E_NS1_11comp_targetILNS1_3genE10ELNS1_11target_archE1200ELNS1_3gpuE4ELNS1_3repE0EEENS1_30default_config_static_selectorELNS0_4arch9wavefront6targetE1EEEvSR_: ; @_ZN7rocprim17ROCPRIM_400000_NS6detail17trampoline_kernelINS0_14default_configENS1_29binary_search_config_selectorIiN6thrust23THRUST_200600_302600_NS6detail10any_assignEEEZNS1_14transform_implILb0ES3_S9_NS7_15normal_iteratorINS6_10device_ptrIiEEEENS6_16discard_iteratorINS6_11use_defaultEEEZNS1_13binary_searchIS3_S9_SE_SE_SH_NS1_16binary_search_opENS7_16wrapped_functionINS0_4lessIvEEbEEEE10hipError_tPvRmT1_T2_T3_mmT4_T5_P12ihipStream_tbEUlRKiE_EESO_SS_ST_mSU_SX_bEUlT_E_NS1_11comp_targetILNS1_3genE10ELNS1_11target_archE1200ELNS1_3gpuE4ELNS1_3repE0EEENS1_30default_config_static_selectorELNS0_4arch9wavefront6targetE1EEEvSR_
; %bb.0:
	.section	.rodata,"a",@progbits
	.p2align	6, 0x0
	.amdhsa_kernel _ZN7rocprim17ROCPRIM_400000_NS6detail17trampoline_kernelINS0_14default_configENS1_29binary_search_config_selectorIiN6thrust23THRUST_200600_302600_NS6detail10any_assignEEEZNS1_14transform_implILb0ES3_S9_NS7_15normal_iteratorINS6_10device_ptrIiEEEENS6_16discard_iteratorINS6_11use_defaultEEEZNS1_13binary_searchIS3_S9_SE_SE_SH_NS1_16binary_search_opENS7_16wrapped_functionINS0_4lessIvEEbEEEE10hipError_tPvRmT1_T2_T3_mmT4_T5_P12ihipStream_tbEUlRKiE_EESO_SS_ST_mSU_SX_bEUlT_E_NS1_11comp_targetILNS1_3genE10ELNS1_11target_archE1200ELNS1_3gpuE4ELNS1_3repE0EEENS1_30default_config_static_selectorELNS0_4arch9wavefront6targetE1EEEvSR_
		.amdhsa_group_segment_fixed_size 0
		.amdhsa_private_segment_fixed_size 0
		.amdhsa_kernarg_size 64
		.amdhsa_user_sgpr_count 6
		.amdhsa_user_sgpr_private_segment_buffer 1
		.amdhsa_user_sgpr_dispatch_ptr 0
		.amdhsa_user_sgpr_queue_ptr 0
		.amdhsa_user_sgpr_kernarg_segment_ptr 1
		.amdhsa_user_sgpr_dispatch_id 0
		.amdhsa_user_sgpr_flat_scratch_init 0
		.amdhsa_user_sgpr_kernarg_preload_length 0
		.amdhsa_user_sgpr_kernarg_preload_offset 0
		.amdhsa_user_sgpr_private_segment_size 0
		.amdhsa_uses_dynamic_stack 0
		.amdhsa_system_sgpr_private_segment_wavefront_offset 0
		.amdhsa_system_sgpr_workgroup_id_x 1
		.amdhsa_system_sgpr_workgroup_id_y 0
		.amdhsa_system_sgpr_workgroup_id_z 0
		.amdhsa_system_sgpr_workgroup_info 0
		.amdhsa_system_vgpr_workitem_id 0
		.amdhsa_next_free_vgpr 1
		.amdhsa_next_free_sgpr 0
		.amdhsa_accum_offset 4
		.amdhsa_reserve_vcc 0
		.amdhsa_reserve_flat_scratch 0
		.amdhsa_float_round_mode_32 0
		.amdhsa_float_round_mode_16_64 0
		.amdhsa_float_denorm_mode_32 3
		.amdhsa_float_denorm_mode_16_64 3
		.amdhsa_dx10_clamp 1
		.amdhsa_ieee_mode 1
		.amdhsa_fp16_overflow 0
		.amdhsa_tg_split 0
		.amdhsa_exception_fp_ieee_invalid_op 0
		.amdhsa_exception_fp_denorm_src 0
		.amdhsa_exception_fp_ieee_div_zero 0
		.amdhsa_exception_fp_ieee_overflow 0
		.amdhsa_exception_fp_ieee_underflow 0
		.amdhsa_exception_fp_ieee_inexact 0
		.amdhsa_exception_int_div_zero 0
	.end_amdhsa_kernel
	.section	.text._ZN7rocprim17ROCPRIM_400000_NS6detail17trampoline_kernelINS0_14default_configENS1_29binary_search_config_selectorIiN6thrust23THRUST_200600_302600_NS6detail10any_assignEEEZNS1_14transform_implILb0ES3_S9_NS7_15normal_iteratorINS6_10device_ptrIiEEEENS6_16discard_iteratorINS6_11use_defaultEEEZNS1_13binary_searchIS3_S9_SE_SE_SH_NS1_16binary_search_opENS7_16wrapped_functionINS0_4lessIvEEbEEEE10hipError_tPvRmT1_T2_T3_mmT4_T5_P12ihipStream_tbEUlRKiE_EESO_SS_ST_mSU_SX_bEUlT_E_NS1_11comp_targetILNS1_3genE10ELNS1_11target_archE1200ELNS1_3gpuE4ELNS1_3repE0EEENS1_30default_config_static_selectorELNS0_4arch9wavefront6targetE1EEEvSR_,"axG",@progbits,_ZN7rocprim17ROCPRIM_400000_NS6detail17trampoline_kernelINS0_14default_configENS1_29binary_search_config_selectorIiN6thrust23THRUST_200600_302600_NS6detail10any_assignEEEZNS1_14transform_implILb0ES3_S9_NS7_15normal_iteratorINS6_10device_ptrIiEEEENS6_16discard_iteratorINS6_11use_defaultEEEZNS1_13binary_searchIS3_S9_SE_SE_SH_NS1_16binary_search_opENS7_16wrapped_functionINS0_4lessIvEEbEEEE10hipError_tPvRmT1_T2_T3_mmT4_T5_P12ihipStream_tbEUlRKiE_EESO_SS_ST_mSU_SX_bEUlT_E_NS1_11comp_targetILNS1_3genE10ELNS1_11target_archE1200ELNS1_3gpuE4ELNS1_3repE0EEENS1_30default_config_static_selectorELNS0_4arch9wavefront6targetE1EEEvSR_,comdat
.Lfunc_end615:
	.size	_ZN7rocprim17ROCPRIM_400000_NS6detail17trampoline_kernelINS0_14default_configENS1_29binary_search_config_selectorIiN6thrust23THRUST_200600_302600_NS6detail10any_assignEEEZNS1_14transform_implILb0ES3_S9_NS7_15normal_iteratorINS6_10device_ptrIiEEEENS6_16discard_iteratorINS6_11use_defaultEEEZNS1_13binary_searchIS3_S9_SE_SE_SH_NS1_16binary_search_opENS7_16wrapped_functionINS0_4lessIvEEbEEEE10hipError_tPvRmT1_T2_T3_mmT4_T5_P12ihipStream_tbEUlRKiE_EESO_SS_ST_mSU_SX_bEUlT_E_NS1_11comp_targetILNS1_3genE10ELNS1_11target_archE1200ELNS1_3gpuE4ELNS1_3repE0EEENS1_30default_config_static_selectorELNS0_4arch9wavefront6targetE1EEEvSR_, .Lfunc_end615-_ZN7rocprim17ROCPRIM_400000_NS6detail17trampoline_kernelINS0_14default_configENS1_29binary_search_config_selectorIiN6thrust23THRUST_200600_302600_NS6detail10any_assignEEEZNS1_14transform_implILb0ES3_S9_NS7_15normal_iteratorINS6_10device_ptrIiEEEENS6_16discard_iteratorINS6_11use_defaultEEEZNS1_13binary_searchIS3_S9_SE_SE_SH_NS1_16binary_search_opENS7_16wrapped_functionINS0_4lessIvEEbEEEE10hipError_tPvRmT1_T2_T3_mmT4_T5_P12ihipStream_tbEUlRKiE_EESO_SS_ST_mSU_SX_bEUlT_E_NS1_11comp_targetILNS1_3genE10ELNS1_11target_archE1200ELNS1_3gpuE4ELNS1_3repE0EEENS1_30default_config_static_selectorELNS0_4arch9wavefront6targetE1EEEvSR_
                                        ; -- End function
	.section	.AMDGPU.csdata,"",@progbits
; Kernel info:
; codeLenInByte = 0
; NumSgprs: 4
; NumVgprs: 0
; NumAgprs: 0
; TotalNumVgprs: 0
; ScratchSize: 0
; MemoryBound: 0
; FloatMode: 240
; IeeeMode: 1
; LDSByteSize: 0 bytes/workgroup (compile time only)
; SGPRBlocks: 0
; VGPRBlocks: 0
; NumSGPRsForWavesPerEU: 4
; NumVGPRsForWavesPerEU: 1
; AccumOffset: 4
; Occupancy: 8
; WaveLimiterHint : 0
; COMPUTE_PGM_RSRC2:SCRATCH_EN: 0
; COMPUTE_PGM_RSRC2:USER_SGPR: 6
; COMPUTE_PGM_RSRC2:TRAP_HANDLER: 0
; COMPUTE_PGM_RSRC2:TGID_X_EN: 1
; COMPUTE_PGM_RSRC2:TGID_Y_EN: 0
; COMPUTE_PGM_RSRC2:TGID_Z_EN: 0
; COMPUTE_PGM_RSRC2:TIDIG_COMP_CNT: 0
; COMPUTE_PGM_RSRC3_GFX90A:ACCUM_OFFSET: 0
; COMPUTE_PGM_RSRC3_GFX90A:TG_SPLIT: 0
	.section	.text._ZN7rocprim17ROCPRIM_400000_NS6detail17trampoline_kernelINS0_14default_configENS1_29binary_search_config_selectorIiN6thrust23THRUST_200600_302600_NS6detail10any_assignEEEZNS1_14transform_implILb0ES3_S9_NS7_15normal_iteratorINS6_10device_ptrIiEEEENS6_16discard_iteratorINS6_11use_defaultEEEZNS1_13binary_searchIS3_S9_SE_SE_SH_NS1_16binary_search_opENS7_16wrapped_functionINS0_4lessIvEEbEEEE10hipError_tPvRmT1_T2_T3_mmT4_T5_P12ihipStream_tbEUlRKiE_EESO_SS_ST_mSU_SX_bEUlT_E_NS1_11comp_targetILNS1_3genE9ELNS1_11target_archE1100ELNS1_3gpuE3ELNS1_3repE0EEENS1_30default_config_static_selectorELNS0_4arch9wavefront6targetE1EEEvSR_,"axG",@progbits,_ZN7rocprim17ROCPRIM_400000_NS6detail17trampoline_kernelINS0_14default_configENS1_29binary_search_config_selectorIiN6thrust23THRUST_200600_302600_NS6detail10any_assignEEEZNS1_14transform_implILb0ES3_S9_NS7_15normal_iteratorINS6_10device_ptrIiEEEENS6_16discard_iteratorINS6_11use_defaultEEEZNS1_13binary_searchIS3_S9_SE_SE_SH_NS1_16binary_search_opENS7_16wrapped_functionINS0_4lessIvEEbEEEE10hipError_tPvRmT1_T2_T3_mmT4_T5_P12ihipStream_tbEUlRKiE_EESO_SS_ST_mSU_SX_bEUlT_E_NS1_11comp_targetILNS1_3genE9ELNS1_11target_archE1100ELNS1_3gpuE3ELNS1_3repE0EEENS1_30default_config_static_selectorELNS0_4arch9wavefront6targetE1EEEvSR_,comdat
	.protected	_ZN7rocprim17ROCPRIM_400000_NS6detail17trampoline_kernelINS0_14default_configENS1_29binary_search_config_selectorIiN6thrust23THRUST_200600_302600_NS6detail10any_assignEEEZNS1_14transform_implILb0ES3_S9_NS7_15normal_iteratorINS6_10device_ptrIiEEEENS6_16discard_iteratorINS6_11use_defaultEEEZNS1_13binary_searchIS3_S9_SE_SE_SH_NS1_16binary_search_opENS7_16wrapped_functionINS0_4lessIvEEbEEEE10hipError_tPvRmT1_T2_T3_mmT4_T5_P12ihipStream_tbEUlRKiE_EESO_SS_ST_mSU_SX_bEUlT_E_NS1_11comp_targetILNS1_3genE9ELNS1_11target_archE1100ELNS1_3gpuE3ELNS1_3repE0EEENS1_30default_config_static_selectorELNS0_4arch9wavefront6targetE1EEEvSR_ ; -- Begin function _ZN7rocprim17ROCPRIM_400000_NS6detail17trampoline_kernelINS0_14default_configENS1_29binary_search_config_selectorIiN6thrust23THRUST_200600_302600_NS6detail10any_assignEEEZNS1_14transform_implILb0ES3_S9_NS7_15normal_iteratorINS6_10device_ptrIiEEEENS6_16discard_iteratorINS6_11use_defaultEEEZNS1_13binary_searchIS3_S9_SE_SE_SH_NS1_16binary_search_opENS7_16wrapped_functionINS0_4lessIvEEbEEEE10hipError_tPvRmT1_T2_T3_mmT4_T5_P12ihipStream_tbEUlRKiE_EESO_SS_ST_mSU_SX_bEUlT_E_NS1_11comp_targetILNS1_3genE9ELNS1_11target_archE1100ELNS1_3gpuE3ELNS1_3repE0EEENS1_30default_config_static_selectorELNS0_4arch9wavefront6targetE1EEEvSR_
	.globl	_ZN7rocprim17ROCPRIM_400000_NS6detail17trampoline_kernelINS0_14default_configENS1_29binary_search_config_selectorIiN6thrust23THRUST_200600_302600_NS6detail10any_assignEEEZNS1_14transform_implILb0ES3_S9_NS7_15normal_iteratorINS6_10device_ptrIiEEEENS6_16discard_iteratorINS6_11use_defaultEEEZNS1_13binary_searchIS3_S9_SE_SE_SH_NS1_16binary_search_opENS7_16wrapped_functionINS0_4lessIvEEbEEEE10hipError_tPvRmT1_T2_T3_mmT4_T5_P12ihipStream_tbEUlRKiE_EESO_SS_ST_mSU_SX_bEUlT_E_NS1_11comp_targetILNS1_3genE9ELNS1_11target_archE1100ELNS1_3gpuE3ELNS1_3repE0EEENS1_30default_config_static_selectorELNS0_4arch9wavefront6targetE1EEEvSR_
	.p2align	8
	.type	_ZN7rocprim17ROCPRIM_400000_NS6detail17trampoline_kernelINS0_14default_configENS1_29binary_search_config_selectorIiN6thrust23THRUST_200600_302600_NS6detail10any_assignEEEZNS1_14transform_implILb0ES3_S9_NS7_15normal_iteratorINS6_10device_ptrIiEEEENS6_16discard_iteratorINS6_11use_defaultEEEZNS1_13binary_searchIS3_S9_SE_SE_SH_NS1_16binary_search_opENS7_16wrapped_functionINS0_4lessIvEEbEEEE10hipError_tPvRmT1_T2_T3_mmT4_T5_P12ihipStream_tbEUlRKiE_EESO_SS_ST_mSU_SX_bEUlT_E_NS1_11comp_targetILNS1_3genE9ELNS1_11target_archE1100ELNS1_3gpuE3ELNS1_3repE0EEENS1_30default_config_static_selectorELNS0_4arch9wavefront6targetE1EEEvSR_,@function
_ZN7rocprim17ROCPRIM_400000_NS6detail17trampoline_kernelINS0_14default_configENS1_29binary_search_config_selectorIiN6thrust23THRUST_200600_302600_NS6detail10any_assignEEEZNS1_14transform_implILb0ES3_S9_NS7_15normal_iteratorINS6_10device_ptrIiEEEENS6_16discard_iteratorINS6_11use_defaultEEEZNS1_13binary_searchIS3_S9_SE_SE_SH_NS1_16binary_search_opENS7_16wrapped_functionINS0_4lessIvEEbEEEE10hipError_tPvRmT1_T2_T3_mmT4_T5_P12ihipStream_tbEUlRKiE_EESO_SS_ST_mSU_SX_bEUlT_E_NS1_11comp_targetILNS1_3genE9ELNS1_11target_archE1100ELNS1_3gpuE3ELNS1_3repE0EEENS1_30default_config_static_selectorELNS0_4arch9wavefront6targetE1EEEvSR_: ; @_ZN7rocprim17ROCPRIM_400000_NS6detail17trampoline_kernelINS0_14default_configENS1_29binary_search_config_selectorIiN6thrust23THRUST_200600_302600_NS6detail10any_assignEEEZNS1_14transform_implILb0ES3_S9_NS7_15normal_iteratorINS6_10device_ptrIiEEEENS6_16discard_iteratorINS6_11use_defaultEEEZNS1_13binary_searchIS3_S9_SE_SE_SH_NS1_16binary_search_opENS7_16wrapped_functionINS0_4lessIvEEbEEEE10hipError_tPvRmT1_T2_T3_mmT4_T5_P12ihipStream_tbEUlRKiE_EESO_SS_ST_mSU_SX_bEUlT_E_NS1_11comp_targetILNS1_3genE9ELNS1_11target_archE1100ELNS1_3gpuE3ELNS1_3repE0EEENS1_30default_config_static_selectorELNS0_4arch9wavefront6targetE1EEEvSR_
; %bb.0:
	.section	.rodata,"a",@progbits
	.p2align	6, 0x0
	.amdhsa_kernel _ZN7rocprim17ROCPRIM_400000_NS6detail17trampoline_kernelINS0_14default_configENS1_29binary_search_config_selectorIiN6thrust23THRUST_200600_302600_NS6detail10any_assignEEEZNS1_14transform_implILb0ES3_S9_NS7_15normal_iteratorINS6_10device_ptrIiEEEENS6_16discard_iteratorINS6_11use_defaultEEEZNS1_13binary_searchIS3_S9_SE_SE_SH_NS1_16binary_search_opENS7_16wrapped_functionINS0_4lessIvEEbEEEE10hipError_tPvRmT1_T2_T3_mmT4_T5_P12ihipStream_tbEUlRKiE_EESO_SS_ST_mSU_SX_bEUlT_E_NS1_11comp_targetILNS1_3genE9ELNS1_11target_archE1100ELNS1_3gpuE3ELNS1_3repE0EEENS1_30default_config_static_selectorELNS0_4arch9wavefront6targetE1EEEvSR_
		.amdhsa_group_segment_fixed_size 0
		.amdhsa_private_segment_fixed_size 0
		.amdhsa_kernarg_size 64
		.amdhsa_user_sgpr_count 6
		.amdhsa_user_sgpr_private_segment_buffer 1
		.amdhsa_user_sgpr_dispatch_ptr 0
		.amdhsa_user_sgpr_queue_ptr 0
		.amdhsa_user_sgpr_kernarg_segment_ptr 1
		.amdhsa_user_sgpr_dispatch_id 0
		.amdhsa_user_sgpr_flat_scratch_init 0
		.amdhsa_user_sgpr_kernarg_preload_length 0
		.amdhsa_user_sgpr_kernarg_preload_offset 0
		.amdhsa_user_sgpr_private_segment_size 0
		.amdhsa_uses_dynamic_stack 0
		.amdhsa_system_sgpr_private_segment_wavefront_offset 0
		.amdhsa_system_sgpr_workgroup_id_x 1
		.amdhsa_system_sgpr_workgroup_id_y 0
		.amdhsa_system_sgpr_workgroup_id_z 0
		.amdhsa_system_sgpr_workgroup_info 0
		.amdhsa_system_vgpr_workitem_id 0
		.amdhsa_next_free_vgpr 1
		.amdhsa_next_free_sgpr 0
		.amdhsa_accum_offset 4
		.amdhsa_reserve_vcc 0
		.amdhsa_reserve_flat_scratch 0
		.amdhsa_float_round_mode_32 0
		.amdhsa_float_round_mode_16_64 0
		.amdhsa_float_denorm_mode_32 3
		.amdhsa_float_denorm_mode_16_64 3
		.amdhsa_dx10_clamp 1
		.amdhsa_ieee_mode 1
		.amdhsa_fp16_overflow 0
		.amdhsa_tg_split 0
		.amdhsa_exception_fp_ieee_invalid_op 0
		.amdhsa_exception_fp_denorm_src 0
		.amdhsa_exception_fp_ieee_div_zero 0
		.amdhsa_exception_fp_ieee_overflow 0
		.amdhsa_exception_fp_ieee_underflow 0
		.amdhsa_exception_fp_ieee_inexact 0
		.amdhsa_exception_int_div_zero 0
	.end_amdhsa_kernel
	.section	.text._ZN7rocprim17ROCPRIM_400000_NS6detail17trampoline_kernelINS0_14default_configENS1_29binary_search_config_selectorIiN6thrust23THRUST_200600_302600_NS6detail10any_assignEEEZNS1_14transform_implILb0ES3_S9_NS7_15normal_iteratorINS6_10device_ptrIiEEEENS6_16discard_iteratorINS6_11use_defaultEEEZNS1_13binary_searchIS3_S9_SE_SE_SH_NS1_16binary_search_opENS7_16wrapped_functionINS0_4lessIvEEbEEEE10hipError_tPvRmT1_T2_T3_mmT4_T5_P12ihipStream_tbEUlRKiE_EESO_SS_ST_mSU_SX_bEUlT_E_NS1_11comp_targetILNS1_3genE9ELNS1_11target_archE1100ELNS1_3gpuE3ELNS1_3repE0EEENS1_30default_config_static_selectorELNS0_4arch9wavefront6targetE1EEEvSR_,"axG",@progbits,_ZN7rocprim17ROCPRIM_400000_NS6detail17trampoline_kernelINS0_14default_configENS1_29binary_search_config_selectorIiN6thrust23THRUST_200600_302600_NS6detail10any_assignEEEZNS1_14transform_implILb0ES3_S9_NS7_15normal_iteratorINS6_10device_ptrIiEEEENS6_16discard_iteratorINS6_11use_defaultEEEZNS1_13binary_searchIS3_S9_SE_SE_SH_NS1_16binary_search_opENS7_16wrapped_functionINS0_4lessIvEEbEEEE10hipError_tPvRmT1_T2_T3_mmT4_T5_P12ihipStream_tbEUlRKiE_EESO_SS_ST_mSU_SX_bEUlT_E_NS1_11comp_targetILNS1_3genE9ELNS1_11target_archE1100ELNS1_3gpuE3ELNS1_3repE0EEENS1_30default_config_static_selectorELNS0_4arch9wavefront6targetE1EEEvSR_,comdat
.Lfunc_end616:
	.size	_ZN7rocprim17ROCPRIM_400000_NS6detail17trampoline_kernelINS0_14default_configENS1_29binary_search_config_selectorIiN6thrust23THRUST_200600_302600_NS6detail10any_assignEEEZNS1_14transform_implILb0ES3_S9_NS7_15normal_iteratorINS6_10device_ptrIiEEEENS6_16discard_iteratorINS6_11use_defaultEEEZNS1_13binary_searchIS3_S9_SE_SE_SH_NS1_16binary_search_opENS7_16wrapped_functionINS0_4lessIvEEbEEEE10hipError_tPvRmT1_T2_T3_mmT4_T5_P12ihipStream_tbEUlRKiE_EESO_SS_ST_mSU_SX_bEUlT_E_NS1_11comp_targetILNS1_3genE9ELNS1_11target_archE1100ELNS1_3gpuE3ELNS1_3repE0EEENS1_30default_config_static_selectorELNS0_4arch9wavefront6targetE1EEEvSR_, .Lfunc_end616-_ZN7rocprim17ROCPRIM_400000_NS6detail17trampoline_kernelINS0_14default_configENS1_29binary_search_config_selectorIiN6thrust23THRUST_200600_302600_NS6detail10any_assignEEEZNS1_14transform_implILb0ES3_S9_NS7_15normal_iteratorINS6_10device_ptrIiEEEENS6_16discard_iteratorINS6_11use_defaultEEEZNS1_13binary_searchIS3_S9_SE_SE_SH_NS1_16binary_search_opENS7_16wrapped_functionINS0_4lessIvEEbEEEE10hipError_tPvRmT1_T2_T3_mmT4_T5_P12ihipStream_tbEUlRKiE_EESO_SS_ST_mSU_SX_bEUlT_E_NS1_11comp_targetILNS1_3genE9ELNS1_11target_archE1100ELNS1_3gpuE3ELNS1_3repE0EEENS1_30default_config_static_selectorELNS0_4arch9wavefront6targetE1EEEvSR_
                                        ; -- End function
	.section	.AMDGPU.csdata,"",@progbits
; Kernel info:
; codeLenInByte = 0
; NumSgprs: 4
; NumVgprs: 0
; NumAgprs: 0
; TotalNumVgprs: 0
; ScratchSize: 0
; MemoryBound: 0
; FloatMode: 240
; IeeeMode: 1
; LDSByteSize: 0 bytes/workgroup (compile time only)
; SGPRBlocks: 0
; VGPRBlocks: 0
; NumSGPRsForWavesPerEU: 4
; NumVGPRsForWavesPerEU: 1
; AccumOffset: 4
; Occupancy: 8
; WaveLimiterHint : 0
; COMPUTE_PGM_RSRC2:SCRATCH_EN: 0
; COMPUTE_PGM_RSRC2:USER_SGPR: 6
; COMPUTE_PGM_RSRC2:TRAP_HANDLER: 0
; COMPUTE_PGM_RSRC2:TGID_X_EN: 1
; COMPUTE_PGM_RSRC2:TGID_Y_EN: 0
; COMPUTE_PGM_RSRC2:TGID_Z_EN: 0
; COMPUTE_PGM_RSRC2:TIDIG_COMP_CNT: 0
; COMPUTE_PGM_RSRC3_GFX90A:ACCUM_OFFSET: 0
; COMPUTE_PGM_RSRC3_GFX90A:TG_SPLIT: 0
	.section	.text._ZN7rocprim17ROCPRIM_400000_NS6detail17trampoline_kernelINS0_14default_configENS1_29binary_search_config_selectorIiN6thrust23THRUST_200600_302600_NS6detail10any_assignEEEZNS1_14transform_implILb0ES3_S9_NS7_15normal_iteratorINS6_10device_ptrIiEEEENS6_16discard_iteratorINS6_11use_defaultEEEZNS1_13binary_searchIS3_S9_SE_SE_SH_NS1_16binary_search_opENS7_16wrapped_functionINS0_4lessIvEEbEEEE10hipError_tPvRmT1_T2_T3_mmT4_T5_P12ihipStream_tbEUlRKiE_EESO_SS_ST_mSU_SX_bEUlT_E_NS1_11comp_targetILNS1_3genE8ELNS1_11target_archE1030ELNS1_3gpuE2ELNS1_3repE0EEENS1_30default_config_static_selectorELNS0_4arch9wavefront6targetE1EEEvSR_,"axG",@progbits,_ZN7rocprim17ROCPRIM_400000_NS6detail17trampoline_kernelINS0_14default_configENS1_29binary_search_config_selectorIiN6thrust23THRUST_200600_302600_NS6detail10any_assignEEEZNS1_14transform_implILb0ES3_S9_NS7_15normal_iteratorINS6_10device_ptrIiEEEENS6_16discard_iteratorINS6_11use_defaultEEEZNS1_13binary_searchIS3_S9_SE_SE_SH_NS1_16binary_search_opENS7_16wrapped_functionINS0_4lessIvEEbEEEE10hipError_tPvRmT1_T2_T3_mmT4_T5_P12ihipStream_tbEUlRKiE_EESO_SS_ST_mSU_SX_bEUlT_E_NS1_11comp_targetILNS1_3genE8ELNS1_11target_archE1030ELNS1_3gpuE2ELNS1_3repE0EEENS1_30default_config_static_selectorELNS0_4arch9wavefront6targetE1EEEvSR_,comdat
	.protected	_ZN7rocprim17ROCPRIM_400000_NS6detail17trampoline_kernelINS0_14default_configENS1_29binary_search_config_selectorIiN6thrust23THRUST_200600_302600_NS6detail10any_assignEEEZNS1_14transform_implILb0ES3_S9_NS7_15normal_iteratorINS6_10device_ptrIiEEEENS6_16discard_iteratorINS6_11use_defaultEEEZNS1_13binary_searchIS3_S9_SE_SE_SH_NS1_16binary_search_opENS7_16wrapped_functionINS0_4lessIvEEbEEEE10hipError_tPvRmT1_T2_T3_mmT4_T5_P12ihipStream_tbEUlRKiE_EESO_SS_ST_mSU_SX_bEUlT_E_NS1_11comp_targetILNS1_3genE8ELNS1_11target_archE1030ELNS1_3gpuE2ELNS1_3repE0EEENS1_30default_config_static_selectorELNS0_4arch9wavefront6targetE1EEEvSR_ ; -- Begin function _ZN7rocprim17ROCPRIM_400000_NS6detail17trampoline_kernelINS0_14default_configENS1_29binary_search_config_selectorIiN6thrust23THRUST_200600_302600_NS6detail10any_assignEEEZNS1_14transform_implILb0ES3_S9_NS7_15normal_iteratorINS6_10device_ptrIiEEEENS6_16discard_iteratorINS6_11use_defaultEEEZNS1_13binary_searchIS3_S9_SE_SE_SH_NS1_16binary_search_opENS7_16wrapped_functionINS0_4lessIvEEbEEEE10hipError_tPvRmT1_T2_T3_mmT4_T5_P12ihipStream_tbEUlRKiE_EESO_SS_ST_mSU_SX_bEUlT_E_NS1_11comp_targetILNS1_3genE8ELNS1_11target_archE1030ELNS1_3gpuE2ELNS1_3repE0EEENS1_30default_config_static_selectorELNS0_4arch9wavefront6targetE1EEEvSR_
	.globl	_ZN7rocprim17ROCPRIM_400000_NS6detail17trampoline_kernelINS0_14default_configENS1_29binary_search_config_selectorIiN6thrust23THRUST_200600_302600_NS6detail10any_assignEEEZNS1_14transform_implILb0ES3_S9_NS7_15normal_iteratorINS6_10device_ptrIiEEEENS6_16discard_iteratorINS6_11use_defaultEEEZNS1_13binary_searchIS3_S9_SE_SE_SH_NS1_16binary_search_opENS7_16wrapped_functionINS0_4lessIvEEbEEEE10hipError_tPvRmT1_T2_T3_mmT4_T5_P12ihipStream_tbEUlRKiE_EESO_SS_ST_mSU_SX_bEUlT_E_NS1_11comp_targetILNS1_3genE8ELNS1_11target_archE1030ELNS1_3gpuE2ELNS1_3repE0EEENS1_30default_config_static_selectorELNS0_4arch9wavefront6targetE1EEEvSR_
	.p2align	8
	.type	_ZN7rocprim17ROCPRIM_400000_NS6detail17trampoline_kernelINS0_14default_configENS1_29binary_search_config_selectorIiN6thrust23THRUST_200600_302600_NS6detail10any_assignEEEZNS1_14transform_implILb0ES3_S9_NS7_15normal_iteratorINS6_10device_ptrIiEEEENS6_16discard_iteratorINS6_11use_defaultEEEZNS1_13binary_searchIS3_S9_SE_SE_SH_NS1_16binary_search_opENS7_16wrapped_functionINS0_4lessIvEEbEEEE10hipError_tPvRmT1_T2_T3_mmT4_T5_P12ihipStream_tbEUlRKiE_EESO_SS_ST_mSU_SX_bEUlT_E_NS1_11comp_targetILNS1_3genE8ELNS1_11target_archE1030ELNS1_3gpuE2ELNS1_3repE0EEENS1_30default_config_static_selectorELNS0_4arch9wavefront6targetE1EEEvSR_,@function
_ZN7rocprim17ROCPRIM_400000_NS6detail17trampoline_kernelINS0_14default_configENS1_29binary_search_config_selectorIiN6thrust23THRUST_200600_302600_NS6detail10any_assignEEEZNS1_14transform_implILb0ES3_S9_NS7_15normal_iteratorINS6_10device_ptrIiEEEENS6_16discard_iteratorINS6_11use_defaultEEEZNS1_13binary_searchIS3_S9_SE_SE_SH_NS1_16binary_search_opENS7_16wrapped_functionINS0_4lessIvEEbEEEE10hipError_tPvRmT1_T2_T3_mmT4_T5_P12ihipStream_tbEUlRKiE_EESO_SS_ST_mSU_SX_bEUlT_E_NS1_11comp_targetILNS1_3genE8ELNS1_11target_archE1030ELNS1_3gpuE2ELNS1_3repE0EEENS1_30default_config_static_selectorELNS0_4arch9wavefront6targetE1EEEvSR_: ; @_ZN7rocprim17ROCPRIM_400000_NS6detail17trampoline_kernelINS0_14default_configENS1_29binary_search_config_selectorIiN6thrust23THRUST_200600_302600_NS6detail10any_assignEEEZNS1_14transform_implILb0ES3_S9_NS7_15normal_iteratorINS6_10device_ptrIiEEEENS6_16discard_iteratorINS6_11use_defaultEEEZNS1_13binary_searchIS3_S9_SE_SE_SH_NS1_16binary_search_opENS7_16wrapped_functionINS0_4lessIvEEbEEEE10hipError_tPvRmT1_T2_T3_mmT4_T5_P12ihipStream_tbEUlRKiE_EESO_SS_ST_mSU_SX_bEUlT_E_NS1_11comp_targetILNS1_3genE8ELNS1_11target_archE1030ELNS1_3gpuE2ELNS1_3repE0EEENS1_30default_config_static_selectorELNS0_4arch9wavefront6targetE1EEEvSR_
; %bb.0:
	.section	.rodata,"a",@progbits
	.p2align	6, 0x0
	.amdhsa_kernel _ZN7rocprim17ROCPRIM_400000_NS6detail17trampoline_kernelINS0_14default_configENS1_29binary_search_config_selectorIiN6thrust23THRUST_200600_302600_NS6detail10any_assignEEEZNS1_14transform_implILb0ES3_S9_NS7_15normal_iteratorINS6_10device_ptrIiEEEENS6_16discard_iteratorINS6_11use_defaultEEEZNS1_13binary_searchIS3_S9_SE_SE_SH_NS1_16binary_search_opENS7_16wrapped_functionINS0_4lessIvEEbEEEE10hipError_tPvRmT1_T2_T3_mmT4_T5_P12ihipStream_tbEUlRKiE_EESO_SS_ST_mSU_SX_bEUlT_E_NS1_11comp_targetILNS1_3genE8ELNS1_11target_archE1030ELNS1_3gpuE2ELNS1_3repE0EEENS1_30default_config_static_selectorELNS0_4arch9wavefront6targetE1EEEvSR_
		.amdhsa_group_segment_fixed_size 0
		.amdhsa_private_segment_fixed_size 0
		.amdhsa_kernarg_size 64
		.amdhsa_user_sgpr_count 6
		.amdhsa_user_sgpr_private_segment_buffer 1
		.amdhsa_user_sgpr_dispatch_ptr 0
		.amdhsa_user_sgpr_queue_ptr 0
		.amdhsa_user_sgpr_kernarg_segment_ptr 1
		.amdhsa_user_sgpr_dispatch_id 0
		.amdhsa_user_sgpr_flat_scratch_init 0
		.amdhsa_user_sgpr_kernarg_preload_length 0
		.amdhsa_user_sgpr_kernarg_preload_offset 0
		.amdhsa_user_sgpr_private_segment_size 0
		.amdhsa_uses_dynamic_stack 0
		.amdhsa_system_sgpr_private_segment_wavefront_offset 0
		.amdhsa_system_sgpr_workgroup_id_x 1
		.amdhsa_system_sgpr_workgroup_id_y 0
		.amdhsa_system_sgpr_workgroup_id_z 0
		.amdhsa_system_sgpr_workgroup_info 0
		.amdhsa_system_vgpr_workitem_id 0
		.amdhsa_next_free_vgpr 1
		.amdhsa_next_free_sgpr 0
		.amdhsa_accum_offset 4
		.amdhsa_reserve_vcc 0
		.amdhsa_reserve_flat_scratch 0
		.amdhsa_float_round_mode_32 0
		.amdhsa_float_round_mode_16_64 0
		.amdhsa_float_denorm_mode_32 3
		.amdhsa_float_denorm_mode_16_64 3
		.amdhsa_dx10_clamp 1
		.amdhsa_ieee_mode 1
		.amdhsa_fp16_overflow 0
		.amdhsa_tg_split 0
		.amdhsa_exception_fp_ieee_invalid_op 0
		.amdhsa_exception_fp_denorm_src 0
		.amdhsa_exception_fp_ieee_div_zero 0
		.amdhsa_exception_fp_ieee_overflow 0
		.amdhsa_exception_fp_ieee_underflow 0
		.amdhsa_exception_fp_ieee_inexact 0
		.amdhsa_exception_int_div_zero 0
	.end_amdhsa_kernel
	.section	.text._ZN7rocprim17ROCPRIM_400000_NS6detail17trampoline_kernelINS0_14default_configENS1_29binary_search_config_selectorIiN6thrust23THRUST_200600_302600_NS6detail10any_assignEEEZNS1_14transform_implILb0ES3_S9_NS7_15normal_iteratorINS6_10device_ptrIiEEEENS6_16discard_iteratorINS6_11use_defaultEEEZNS1_13binary_searchIS3_S9_SE_SE_SH_NS1_16binary_search_opENS7_16wrapped_functionINS0_4lessIvEEbEEEE10hipError_tPvRmT1_T2_T3_mmT4_T5_P12ihipStream_tbEUlRKiE_EESO_SS_ST_mSU_SX_bEUlT_E_NS1_11comp_targetILNS1_3genE8ELNS1_11target_archE1030ELNS1_3gpuE2ELNS1_3repE0EEENS1_30default_config_static_selectorELNS0_4arch9wavefront6targetE1EEEvSR_,"axG",@progbits,_ZN7rocprim17ROCPRIM_400000_NS6detail17trampoline_kernelINS0_14default_configENS1_29binary_search_config_selectorIiN6thrust23THRUST_200600_302600_NS6detail10any_assignEEEZNS1_14transform_implILb0ES3_S9_NS7_15normal_iteratorINS6_10device_ptrIiEEEENS6_16discard_iteratorINS6_11use_defaultEEEZNS1_13binary_searchIS3_S9_SE_SE_SH_NS1_16binary_search_opENS7_16wrapped_functionINS0_4lessIvEEbEEEE10hipError_tPvRmT1_T2_T3_mmT4_T5_P12ihipStream_tbEUlRKiE_EESO_SS_ST_mSU_SX_bEUlT_E_NS1_11comp_targetILNS1_3genE8ELNS1_11target_archE1030ELNS1_3gpuE2ELNS1_3repE0EEENS1_30default_config_static_selectorELNS0_4arch9wavefront6targetE1EEEvSR_,comdat
.Lfunc_end617:
	.size	_ZN7rocprim17ROCPRIM_400000_NS6detail17trampoline_kernelINS0_14default_configENS1_29binary_search_config_selectorIiN6thrust23THRUST_200600_302600_NS6detail10any_assignEEEZNS1_14transform_implILb0ES3_S9_NS7_15normal_iteratorINS6_10device_ptrIiEEEENS6_16discard_iteratorINS6_11use_defaultEEEZNS1_13binary_searchIS3_S9_SE_SE_SH_NS1_16binary_search_opENS7_16wrapped_functionINS0_4lessIvEEbEEEE10hipError_tPvRmT1_T2_T3_mmT4_T5_P12ihipStream_tbEUlRKiE_EESO_SS_ST_mSU_SX_bEUlT_E_NS1_11comp_targetILNS1_3genE8ELNS1_11target_archE1030ELNS1_3gpuE2ELNS1_3repE0EEENS1_30default_config_static_selectorELNS0_4arch9wavefront6targetE1EEEvSR_, .Lfunc_end617-_ZN7rocprim17ROCPRIM_400000_NS6detail17trampoline_kernelINS0_14default_configENS1_29binary_search_config_selectorIiN6thrust23THRUST_200600_302600_NS6detail10any_assignEEEZNS1_14transform_implILb0ES3_S9_NS7_15normal_iteratorINS6_10device_ptrIiEEEENS6_16discard_iteratorINS6_11use_defaultEEEZNS1_13binary_searchIS3_S9_SE_SE_SH_NS1_16binary_search_opENS7_16wrapped_functionINS0_4lessIvEEbEEEE10hipError_tPvRmT1_T2_T3_mmT4_T5_P12ihipStream_tbEUlRKiE_EESO_SS_ST_mSU_SX_bEUlT_E_NS1_11comp_targetILNS1_3genE8ELNS1_11target_archE1030ELNS1_3gpuE2ELNS1_3repE0EEENS1_30default_config_static_selectorELNS0_4arch9wavefront6targetE1EEEvSR_
                                        ; -- End function
	.section	.AMDGPU.csdata,"",@progbits
; Kernel info:
; codeLenInByte = 0
; NumSgprs: 4
; NumVgprs: 0
; NumAgprs: 0
; TotalNumVgprs: 0
; ScratchSize: 0
; MemoryBound: 0
; FloatMode: 240
; IeeeMode: 1
; LDSByteSize: 0 bytes/workgroup (compile time only)
; SGPRBlocks: 0
; VGPRBlocks: 0
; NumSGPRsForWavesPerEU: 4
; NumVGPRsForWavesPerEU: 1
; AccumOffset: 4
; Occupancy: 8
; WaveLimiterHint : 0
; COMPUTE_PGM_RSRC2:SCRATCH_EN: 0
; COMPUTE_PGM_RSRC2:USER_SGPR: 6
; COMPUTE_PGM_RSRC2:TRAP_HANDLER: 0
; COMPUTE_PGM_RSRC2:TGID_X_EN: 1
; COMPUTE_PGM_RSRC2:TGID_Y_EN: 0
; COMPUTE_PGM_RSRC2:TGID_Z_EN: 0
; COMPUTE_PGM_RSRC2:TIDIG_COMP_CNT: 0
; COMPUTE_PGM_RSRC3_GFX90A:ACCUM_OFFSET: 0
; COMPUTE_PGM_RSRC3_GFX90A:TG_SPLIT: 0
	.section	.text._ZN7rocprim17ROCPRIM_400000_NS6detail17trampoline_kernelINS0_14default_configENS1_29binary_search_config_selectorIsN6thrust23THRUST_200600_302600_NS6detail10any_assignEEEZNS1_14transform_implILb0ES3_S9_NS7_15normal_iteratorINS6_10device_ptrIsEEEENS6_16discard_iteratorINS6_11use_defaultEEEZNS1_13binary_searchIS3_S9_SE_SE_SH_NS1_16binary_search_opENS7_16wrapped_functionINS0_4lessIvEEbEEEE10hipError_tPvRmT1_T2_T3_mmT4_T5_P12ihipStream_tbEUlRKsE_EESO_SS_ST_mSU_SX_bEUlT_E_NS1_11comp_targetILNS1_3genE0ELNS1_11target_archE4294967295ELNS1_3gpuE0ELNS1_3repE0EEENS1_30default_config_static_selectorELNS0_4arch9wavefront6targetE1EEEvSR_,"axG",@progbits,_ZN7rocprim17ROCPRIM_400000_NS6detail17trampoline_kernelINS0_14default_configENS1_29binary_search_config_selectorIsN6thrust23THRUST_200600_302600_NS6detail10any_assignEEEZNS1_14transform_implILb0ES3_S9_NS7_15normal_iteratorINS6_10device_ptrIsEEEENS6_16discard_iteratorINS6_11use_defaultEEEZNS1_13binary_searchIS3_S9_SE_SE_SH_NS1_16binary_search_opENS7_16wrapped_functionINS0_4lessIvEEbEEEE10hipError_tPvRmT1_T2_T3_mmT4_T5_P12ihipStream_tbEUlRKsE_EESO_SS_ST_mSU_SX_bEUlT_E_NS1_11comp_targetILNS1_3genE0ELNS1_11target_archE4294967295ELNS1_3gpuE0ELNS1_3repE0EEENS1_30default_config_static_selectorELNS0_4arch9wavefront6targetE1EEEvSR_,comdat
	.protected	_ZN7rocprim17ROCPRIM_400000_NS6detail17trampoline_kernelINS0_14default_configENS1_29binary_search_config_selectorIsN6thrust23THRUST_200600_302600_NS6detail10any_assignEEEZNS1_14transform_implILb0ES3_S9_NS7_15normal_iteratorINS6_10device_ptrIsEEEENS6_16discard_iteratorINS6_11use_defaultEEEZNS1_13binary_searchIS3_S9_SE_SE_SH_NS1_16binary_search_opENS7_16wrapped_functionINS0_4lessIvEEbEEEE10hipError_tPvRmT1_T2_T3_mmT4_T5_P12ihipStream_tbEUlRKsE_EESO_SS_ST_mSU_SX_bEUlT_E_NS1_11comp_targetILNS1_3genE0ELNS1_11target_archE4294967295ELNS1_3gpuE0ELNS1_3repE0EEENS1_30default_config_static_selectorELNS0_4arch9wavefront6targetE1EEEvSR_ ; -- Begin function _ZN7rocprim17ROCPRIM_400000_NS6detail17trampoline_kernelINS0_14default_configENS1_29binary_search_config_selectorIsN6thrust23THRUST_200600_302600_NS6detail10any_assignEEEZNS1_14transform_implILb0ES3_S9_NS7_15normal_iteratorINS6_10device_ptrIsEEEENS6_16discard_iteratorINS6_11use_defaultEEEZNS1_13binary_searchIS3_S9_SE_SE_SH_NS1_16binary_search_opENS7_16wrapped_functionINS0_4lessIvEEbEEEE10hipError_tPvRmT1_T2_T3_mmT4_T5_P12ihipStream_tbEUlRKsE_EESO_SS_ST_mSU_SX_bEUlT_E_NS1_11comp_targetILNS1_3genE0ELNS1_11target_archE4294967295ELNS1_3gpuE0ELNS1_3repE0EEENS1_30default_config_static_selectorELNS0_4arch9wavefront6targetE1EEEvSR_
	.globl	_ZN7rocprim17ROCPRIM_400000_NS6detail17trampoline_kernelINS0_14default_configENS1_29binary_search_config_selectorIsN6thrust23THRUST_200600_302600_NS6detail10any_assignEEEZNS1_14transform_implILb0ES3_S9_NS7_15normal_iteratorINS6_10device_ptrIsEEEENS6_16discard_iteratorINS6_11use_defaultEEEZNS1_13binary_searchIS3_S9_SE_SE_SH_NS1_16binary_search_opENS7_16wrapped_functionINS0_4lessIvEEbEEEE10hipError_tPvRmT1_T2_T3_mmT4_T5_P12ihipStream_tbEUlRKsE_EESO_SS_ST_mSU_SX_bEUlT_E_NS1_11comp_targetILNS1_3genE0ELNS1_11target_archE4294967295ELNS1_3gpuE0ELNS1_3repE0EEENS1_30default_config_static_selectorELNS0_4arch9wavefront6targetE1EEEvSR_
	.p2align	8
	.type	_ZN7rocprim17ROCPRIM_400000_NS6detail17trampoline_kernelINS0_14default_configENS1_29binary_search_config_selectorIsN6thrust23THRUST_200600_302600_NS6detail10any_assignEEEZNS1_14transform_implILb0ES3_S9_NS7_15normal_iteratorINS6_10device_ptrIsEEEENS6_16discard_iteratorINS6_11use_defaultEEEZNS1_13binary_searchIS3_S9_SE_SE_SH_NS1_16binary_search_opENS7_16wrapped_functionINS0_4lessIvEEbEEEE10hipError_tPvRmT1_T2_T3_mmT4_T5_P12ihipStream_tbEUlRKsE_EESO_SS_ST_mSU_SX_bEUlT_E_NS1_11comp_targetILNS1_3genE0ELNS1_11target_archE4294967295ELNS1_3gpuE0ELNS1_3repE0EEENS1_30default_config_static_selectorELNS0_4arch9wavefront6targetE1EEEvSR_,@function
_ZN7rocprim17ROCPRIM_400000_NS6detail17trampoline_kernelINS0_14default_configENS1_29binary_search_config_selectorIsN6thrust23THRUST_200600_302600_NS6detail10any_assignEEEZNS1_14transform_implILb0ES3_S9_NS7_15normal_iteratorINS6_10device_ptrIsEEEENS6_16discard_iteratorINS6_11use_defaultEEEZNS1_13binary_searchIS3_S9_SE_SE_SH_NS1_16binary_search_opENS7_16wrapped_functionINS0_4lessIvEEbEEEE10hipError_tPvRmT1_T2_T3_mmT4_T5_P12ihipStream_tbEUlRKsE_EESO_SS_ST_mSU_SX_bEUlT_E_NS1_11comp_targetILNS1_3genE0ELNS1_11target_archE4294967295ELNS1_3gpuE0ELNS1_3repE0EEENS1_30default_config_static_selectorELNS0_4arch9wavefront6targetE1EEEvSR_: ; @_ZN7rocprim17ROCPRIM_400000_NS6detail17trampoline_kernelINS0_14default_configENS1_29binary_search_config_selectorIsN6thrust23THRUST_200600_302600_NS6detail10any_assignEEEZNS1_14transform_implILb0ES3_S9_NS7_15normal_iteratorINS6_10device_ptrIsEEEENS6_16discard_iteratorINS6_11use_defaultEEEZNS1_13binary_searchIS3_S9_SE_SE_SH_NS1_16binary_search_opENS7_16wrapped_functionINS0_4lessIvEEbEEEE10hipError_tPvRmT1_T2_T3_mmT4_T5_P12ihipStream_tbEUlRKsE_EESO_SS_ST_mSU_SX_bEUlT_E_NS1_11comp_targetILNS1_3genE0ELNS1_11target_archE4294967295ELNS1_3gpuE0ELNS1_3repE0EEENS1_30default_config_static_selectorELNS0_4arch9wavefront6targetE1EEEvSR_
; %bb.0:
	.section	.rodata,"a",@progbits
	.p2align	6, 0x0
	.amdhsa_kernel _ZN7rocprim17ROCPRIM_400000_NS6detail17trampoline_kernelINS0_14default_configENS1_29binary_search_config_selectorIsN6thrust23THRUST_200600_302600_NS6detail10any_assignEEEZNS1_14transform_implILb0ES3_S9_NS7_15normal_iteratorINS6_10device_ptrIsEEEENS6_16discard_iteratorINS6_11use_defaultEEEZNS1_13binary_searchIS3_S9_SE_SE_SH_NS1_16binary_search_opENS7_16wrapped_functionINS0_4lessIvEEbEEEE10hipError_tPvRmT1_T2_T3_mmT4_T5_P12ihipStream_tbEUlRKsE_EESO_SS_ST_mSU_SX_bEUlT_E_NS1_11comp_targetILNS1_3genE0ELNS1_11target_archE4294967295ELNS1_3gpuE0ELNS1_3repE0EEENS1_30default_config_static_selectorELNS0_4arch9wavefront6targetE1EEEvSR_
		.amdhsa_group_segment_fixed_size 0
		.amdhsa_private_segment_fixed_size 0
		.amdhsa_kernarg_size 64
		.amdhsa_user_sgpr_count 6
		.amdhsa_user_sgpr_private_segment_buffer 1
		.amdhsa_user_sgpr_dispatch_ptr 0
		.amdhsa_user_sgpr_queue_ptr 0
		.amdhsa_user_sgpr_kernarg_segment_ptr 1
		.amdhsa_user_sgpr_dispatch_id 0
		.amdhsa_user_sgpr_flat_scratch_init 0
		.amdhsa_user_sgpr_kernarg_preload_length 0
		.amdhsa_user_sgpr_kernarg_preload_offset 0
		.amdhsa_user_sgpr_private_segment_size 0
		.amdhsa_uses_dynamic_stack 0
		.amdhsa_system_sgpr_private_segment_wavefront_offset 0
		.amdhsa_system_sgpr_workgroup_id_x 1
		.amdhsa_system_sgpr_workgroup_id_y 0
		.amdhsa_system_sgpr_workgroup_id_z 0
		.amdhsa_system_sgpr_workgroup_info 0
		.amdhsa_system_vgpr_workitem_id 0
		.amdhsa_next_free_vgpr 1
		.amdhsa_next_free_sgpr 0
		.amdhsa_accum_offset 4
		.amdhsa_reserve_vcc 0
		.amdhsa_reserve_flat_scratch 0
		.amdhsa_float_round_mode_32 0
		.amdhsa_float_round_mode_16_64 0
		.amdhsa_float_denorm_mode_32 3
		.amdhsa_float_denorm_mode_16_64 3
		.amdhsa_dx10_clamp 1
		.amdhsa_ieee_mode 1
		.amdhsa_fp16_overflow 0
		.amdhsa_tg_split 0
		.amdhsa_exception_fp_ieee_invalid_op 0
		.amdhsa_exception_fp_denorm_src 0
		.amdhsa_exception_fp_ieee_div_zero 0
		.amdhsa_exception_fp_ieee_overflow 0
		.amdhsa_exception_fp_ieee_underflow 0
		.amdhsa_exception_fp_ieee_inexact 0
		.amdhsa_exception_int_div_zero 0
	.end_amdhsa_kernel
	.section	.text._ZN7rocprim17ROCPRIM_400000_NS6detail17trampoline_kernelINS0_14default_configENS1_29binary_search_config_selectorIsN6thrust23THRUST_200600_302600_NS6detail10any_assignEEEZNS1_14transform_implILb0ES3_S9_NS7_15normal_iteratorINS6_10device_ptrIsEEEENS6_16discard_iteratorINS6_11use_defaultEEEZNS1_13binary_searchIS3_S9_SE_SE_SH_NS1_16binary_search_opENS7_16wrapped_functionINS0_4lessIvEEbEEEE10hipError_tPvRmT1_T2_T3_mmT4_T5_P12ihipStream_tbEUlRKsE_EESO_SS_ST_mSU_SX_bEUlT_E_NS1_11comp_targetILNS1_3genE0ELNS1_11target_archE4294967295ELNS1_3gpuE0ELNS1_3repE0EEENS1_30default_config_static_selectorELNS0_4arch9wavefront6targetE1EEEvSR_,"axG",@progbits,_ZN7rocprim17ROCPRIM_400000_NS6detail17trampoline_kernelINS0_14default_configENS1_29binary_search_config_selectorIsN6thrust23THRUST_200600_302600_NS6detail10any_assignEEEZNS1_14transform_implILb0ES3_S9_NS7_15normal_iteratorINS6_10device_ptrIsEEEENS6_16discard_iteratorINS6_11use_defaultEEEZNS1_13binary_searchIS3_S9_SE_SE_SH_NS1_16binary_search_opENS7_16wrapped_functionINS0_4lessIvEEbEEEE10hipError_tPvRmT1_T2_T3_mmT4_T5_P12ihipStream_tbEUlRKsE_EESO_SS_ST_mSU_SX_bEUlT_E_NS1_11comp_targetILNS1_3genE0ELNS1_11target_archE4294967295ELNS1_3gpuE0ELNS1_3repE0EEENS1_30default_config_static_selectorELNS0_4arch9wavefront6targetE1EEEvSR_,comdat
.Lfunc_end618:
	.size	_ZN7rocprim17ROCPRIM_400000_NS6detail17trampoline_kernelINS0_14default_configENS1_29binary_search_config_selectorIsN6thrust23THRUST_200600_302600_NS6detail10any_assignEEEZNS1_14transform_implILb0ES3_S9_NS7_15normal_iteratorINS6_10device_ptrIsEEEENS6_16discard_iteratorINS6_11use_defaultEEEZNS1_13binary_searchIS3_S9_SE_SE_SH_NS1_16binary_search_opENS7_16wrapped_functionINS0_4lessIvEEbEEEE10hipError_tPvRmT1_T2_T3_mmT4_T5_P12ihipStream_tbEUlRKsE_EESO_SS_ST_mSU_SX_bEUlT_E_NS1_11comp_targetILNS1_3genE0ELNS1_11target_archE4294967295ELNS1_3gpuE0ELNS1_3repE0EEENS1_30default_config_static_selectorELNS0_4arch9wavefront6targetE1EEEvSR_, .Lfunc_end618-_ZN7rocprim17ROCPRIM_400000_NS6detail17trampoline_kernelINS0_14default_configENS1_29binary_search_config_selectorIsN6thrust23THRUST_200600_302600_NS6detail10any_assignEEEZNS1_14transform_implILb0ES3_S9_NS7_15normal_iteratorINS6_10device_ptrIsEEEENS6_16discard_iteratorINS6_11use_defaultEEEZNS1_13binary_searchIS3_S9_SE_SE_SH_NS1_16binary_search_opENS7_16wrapped_functionINS0_4lessIvEEbEEEE10hipError_tPvRmT1_T2_T3_mmT4_T5_P12ihipStream_tbEUlRKsE_EESO_SS_ST_mSU_SX_bEUlT_E_NS1_11comp_targetILNS1_3genE0ELNS1_11target_archE4294967295ELNS1_3gpuE0ELNS1_3repE0EEENS1_30default_config_static_selectorELNS0_4arch9wavefront6targetE1EEEvSR_
                                        ; -- End function
	.section	.AMDGPU.csdata,"",@progbits
; Kernel info:
; codeLenInByte = 0
; NumSgprs: 4
; NumVgprs: 0
; NumAgprs: 0
; TotalNumVgprs: 0
; ScratchSize: 0
; MemoryBound: 0
; FloatMode: 240
; IeeeMode: 1
; LDSByteSize: 0 bytes/workgroup (compile time only)
; SGPRBlocks: 0
; VGPRBlocks: 0
; NumSGPRsForWavesPerEU: 4
; NumVGPRsForWavesPerEU: 1
; AccumOffset: 4
; Occupancy: 8
; WaveLimiterHint : 0
; COMPUTE_PGM_RSRC2:SCRATCH_EN: 0
; COMPUTE_PGM_RSRC2:USER_SGPR: 6
; COMPUTE_PGM_RSRC2:TRAP_HANDLER: 0
; COMPUTE_PGM_RSRC2:TGID_X_EN: 1
; COMPUTE_PGM_RSRC2:TGID_Y_EN: 0
; COMPUTE_PGM_RSRC2:TGID_Z_EN: 0
; COMPUTE_PGM_RSRC2:TIDIG_COMP_CNT: 0
; COMPUTE_PGM_RSRC3_GFX90A:ACCUM_OFFSET: 0
; COMPUTE_PGM_RSRC3_GFX90A:TG_SPLIT: 0
	.section	.text._ZN7rocprim17ROCPRIM_400000_NS6detail17trampoline_kernelINS0_14default_configENS1_29binary_search_config_selectorIsN6thrust23THRUST_200600_302600_NS6detail10any_assignEEEZNS1_14transform_implILb0ES3_S9_NS7_15normal_iteratorINS6_10device_ptrIsEEEENS6_16discard_iteratorINS6_11use_defaultEEEZNS1_13binary_searchIS3_S9_SE_SE_SH_NS1_16binary_search_opENS7_16wrapped_functionINS0_4lessIvEEbEEEE10hipError_tPvRmT1_T2_T3_mmT4_T5_P12ihipStream_tbEUlRKsE_EESO_SS_ST_mSU_SX_bEUlT_E_NS1_11comp_targetILNS1_3genE5ELNS1_11target_archE942ELNS1_3gpuE9ELNS1_3repE0EEENS1_30default_config_static_selectorELNS0_4arch9wavefront6targetE1EEEvSR_,"axG",@progbits,_ZN7rocprim17ROCPRIM_400000_NS6detail17trampoline_kernelINS0_14default_configENS1_29binary_search_config_selectorIsN6thrust23THRUST_200600_302600_NS6detail10any_assignEEEZNS1_14transform_implILb0ES3_S9_NS7_15normal_iteratorINS6_10device_ptrIsEEEENS6_16discard_iteratorINS6_11use_defaultEEEZNS1_13binary_searchIS3_S9_SE_SE_SH_NS1_16binary_search_opENS7_16wrapped_functionINS0_4lessIvEEbEEEE10hipError_tPvRmT1_T2_T3_mmT4_T5_P12ihipStream_tbEUlRKsE_EESO_SS_ST_mSU_SX_bEUlT_E_NS1_11comp_targetILNS1_3genE5ELNS1_11target_archE942ELNS1_3gpuE9ELNS1_3repE0EEENS1_30default_config_static_selectorELNS0_4arch9wavefront6targetE1EEEvSR_,comdat
	.protected	_ZN7rocprim17ROCPRIM_400000_NS6detail17trampoline_kernelINS0_14default_configENS1_29binary_search_config_selectorIsN6thrust23THRUST_200600_302600_NS6detail10any_assignEEEZNS1_14transform_implILb0ES3_S9_NS7_15normal_iteratorINS6_10device_ptrIsEEEENS6_16discard_iteratorINS6_11use_defaultEEEZNS1_13binary_searchIS3_S9_SE_SE_SH_NS1_16binary_search_opENS7_16wrapped_functionINS0_4lessIvEEbEEEE10hipError_tPvRmT1_T2_T3_mmT4_T5_P12ihipStream_tbEUlRKsE_EESO_SS_ST_mSU_SX_bEUlT_E_NS1_11comp_targetILNS1_3genE5ELNS1_11target_archE942ELNS1_3gpuE9ELNS1_3repE0EEENS1_30default_config_static_selectorELNS0_4arch9wavefront6targetE1EEEvSR_ ; -- Begin function _ZN7rocprim17ROCPRIM_400000_NS6detail17trampoline_kernelINS0_14default_configENS1_29binary_search_config_selectorIsN6thrust23THRUST_200600_302600_NS6detail10any_assignEEEZNS1_14transform_implILb0ES3_S9_NS7_15normal_iteratorINS6_10device_ptrIsEEEENS6_16discard_iteratorINS6_11use_defaultEEEZNS1_13binary_searchIS3_S9_SE_SE_SH_NS1_16binary_search_opENS7_16wrapped_functionINS0_4lessIvEEbEEEE10hipError_tPvRmT1_T2_T3_mmT4_T5_P12ihipStream_tbEUlRKsE_EESO_SS_ST_mSU_SX_bEUlT_E_NS1_11comp_targetILNS1_3genE5ELNS1_11target_archE942ELNS1_3gpuE9ELNS1_3repE0EEENS1_30default_config_static_selectorELNS0_4arch9wavefront6targetE1EEEvSR_
	.globl	_ZN7rocprim17ROCPRIM_400000_NS6detail17trampoline_kernelINS0_14default_configENS1_29binary_search_config_selectorIsN6thrust23THRUST_200600_302600_NS6detail10any_assignEEEZNS1_14transform_implILb0ES3_S9_NS7_15normal_iteratorINS6_10device_ptrIsEEEENS6_16discard_iteratorINS6_11use_defaultEEEZNS1_13binary_searchIS3_S9_SE_SE_SH_NS1_16binary_search_opENS7_16wrapped_functionINS0_4lessIvEEbEEEE10hipError_tPvRmT1_T2_T3_mmT4_T5_P12ihipStream_tbEUlRKsE_EESO_SS_ST_mSU_SX_bEUlT_E_NS1_11comp_targetILNS1_3genE5ELNS1_11target_archE942ELNS1_3gpuE9ELNS1_3repE0EEENS1_30default_config_static_selectorELNS0_4arch9wavefront6targetE1EEEvSR_
	.p2align	8
	.type	_ZN7rocprim17ROCPRIM_400000_NS6detail17trampoline_kernelINS0_14default_configENS1_29binary_search_config_selectorIsN6thrust23THRUST_200600_302600_NS6detail10any_assignEEEZNS1_14transform_implILb0ES3_S9_NS7_15normal_iteratorINS6_10device_ptrIsEEEENS6_16discard_iteratorINS6_11use_defaultEEEZNS1_13binary_searchIS3_S9_SE_SE_SH_NS1_16binary_search_opENS7_16wrapped_functionINS0_4lessIvEEbEEEE10hipError_tPvRmT1_T2_T3_mmT4_T5_P12ihipStream_tbEUlRKsE_EESO_SS_ST_mSU_SX_bEUlT_E_NS1_11comp_targetILNS1_3genE5ELNS1_11target_archE942ELNS1_3gpuE9ELNS1_3repE0EEENS1_30default_config_static_selectorELNS0_4arch9wavefront6targetE1EEEvSR_,@function
_ZN7rocprim17ROCPRIM_400000_NS6detail17trampoline_kernelINS0_14default_configENS1_29binary_search_config_selectorIsN6thrust23THRUST_200600_302600_NS6detail10any_assignEEEZNS1_14transform_implILb0ES3_S9_NS7_15normal_iteratorINS6_10device_ptrIsEEEENS6_16discard_iteratorINS6_11use_defaultEEEZNS1_13binary_searchIS3_S9_SE_SE_SH_NS1_16binary_search_opENS7_16wrapped_functionINS0_4lessIvEEbEEEE10hipError_tPvRmT1_T2_T3_mmT4_T5_P12ihipStream_tbEUlRKsE_EESO_SS_ST_mSU_SX_bEUlT_E_NS1_11comp_targetILNS1_3genE5ELNS1_11target_archE942ELNS1_3gpuE9ELNS1_3repE0EEENS1_30default_config_static_selectorELNS0_4arch9wavefront6targetE1EEEvSR_: ; @_ZN7rocprim17ROCPRIM_400000_NS6detail17trampoline_kernelINS0_14default_configENS1_29binary_search_config_selectorIsN6thrust23THRUST_200600_302600_NS6detail10any_assignEEEZNS1_14transform_implILb0ES3_S9_NS7_15normal_iteratorINS6_10device_ptrIsEEEENS6_16discard_iteratorINS6_11use_defaultEEEZNS1_13binary_searchIS3_S9_SE_SE_SH_NS1_16binary_search_opENS7_16wrapped_functionINS0_4lessIvEEbEEEE10hipError_tPvRmT1_T2_T3_mmT4_T5_P12ihipStream_tbEUlRKsE_EESO_SS_ST_mSU_SX_bEUlT_E_NS1_11comp_targetILNS1_3genE5ELNS1_11target_archE942ELNS1_3gpuE9ELNS1_3repE0EEENS1_30default_config_static_selectorELNS0_4arch9wavefront6targetE1EEEvSR_
; %bb.0:
	.section	.rodata,"a",@progbits
	.p2align	6, 0x0
	.amdhsa_kernel _ZN7rocprim17ROCPRIM_400000_NS6detail17trampoline_kernelINS0_14default_configENS1_29binary_search_config_selectorIsN6thrust23THRUST_200600_302600_NS6detail10any_assignEEEZNS1_14transform_implILb0ES3_S9_NS7_15normal_iteratorINS6_10device_ptrIsEEEENS6_16discard_iteratorINS6_11use_defaultEEEZNS1_13binary_searchIS3_S9_SE_SE_SH_NS1_16binary_search_opENS7_16wrapped_functionINS0_4lessIvEEbEEEE10hipError_tPvRmT1_T2_T3_mmT4_T5_P12ihipStream_tbEUlRKsE_EESO_SS_ST_mSU_SX_bEUlT_E_NS1_11comp_targetILNS1_3genE5ELNS1_11target_archE942ELNS1_3gpuE9ELNS1_3repE0EEENS1_30default_config_static_selectorELNS0_4arch9wavefront6targetE1EEEvSR_
		.amdhsa_group_segment_fixed_size 0
		.amdhsa_private_segment_fixed_size 0
		.amdhsa_kernarg_size 64
		.amdhsa_user_sgpr_count 6
		.amdhsa_user_sgpr_private_segment_buffer 1
		.amdhsa_user_sgpr_dispatch_ptr 0
		.amdhsa_user_sgpr_queue_ptr 0
		.amdhsa_user_sgpr_kernarg_segment_ptr 1
		.amdhsa_user_sgpr_dispatch_id 0
		.amdhsa_user_sgpr_flat_scratch_init 0
		.amdhsa_user_sgpr_kernarg_preload_length 0
		.amdhsa_user_sgpr_kernarg_preload_offset 0
		.amdhsa_user_sgpr_private_segment_size 0
		.amdhsa_uses_dynamic_stack 0
		.amdhsa_system_sgpr_private_segment_wavefront_offset 0
		.amdhsa_system_sgpr_workgroup_id_x 1
		.amdhsa_system_sgpr_workgroup_id_y 0
		.amdhsa_system_sgpr_workgroup_id_z 0
		.amdhsa_system_sgpr_workgroup_info 0
		.amdhsa_system_vgpr_workitem_id 0
		.amdhsa_next_free_vgpr 1
		.amdhsa_next_free_sgpr 0
		.amdhsa_accum_offset 4
		.amdhsa_reserve_vcc 0
		.amdhsa_reserve_flat_scratch 0
		.amdhsa_float_round_mode_32 0
		.amdhsa_float_round_mode_16_64 0
		.amdhsa_float_denorm_mode_32 3
		.amdhsa_float_denorm_mode_16_64 3
		.amdhsa_dx10_clamp 1
		.amdhsa_ieee_mode 1
		.amdhsa_fp16_overflow 0
		.amdhsa_tg_split 0
		.amdhsa_exception_fp_ieee_invalid_op 0
		.amdhsa_exception_fp_denorm_src 0
		.amdhsa_exception_fp_ieee_div_zero 0
		.amdhsa_exception_fp_ieee_overflow 0
		.amdhsa_exception_fp_ieee_underflow 0
		.amdhsa_exception_fp_ieee_inexact 0
		.amdhsa_exception_int_div_zero 0
	.end_amdhsa_kernel
	.section	.text._ZN7rocprim17ROCPRIM_400000_NS6detail17trampoline_kernelINS0_14default_configENS1_29binary_search_config_selectorIsN6thrust23THRUST_200600_302600_NS6detail10any_assignEEEZNS1_14transform_implILb0ES3_S9_NS7_15normal_iteratorINS6_10device_ptrIsEEEENS6_16discard_iteratorINS6_11use_defaultEEEZNS1_13binary_searchIS3_S9_SE_SE_SH_NS1_16binary_search_opENS7_16wrapped_functionINS0_4lessIvEEbEEEE10hipError_tPvRmT1_T2_T3_mmT4_T5_P12ihipStream_tbEUlRKsE_EESO_SS_ST_mSU_SX_bEUlT_E_NS1_11comp_targetILNS1_3genE5ELNS1_11target_archE942ELNS1_3gpuE9ELNS1_3repE0EEENS1_30default_config_static_selectorELNS0_4arch9wavefront6targetE1EEEvSR_,"axG",@progbits,_ZN7rocprim17ROCPRIM_400000_NS6detail17trampoline_kernelINS0_14default_configENS1_29binary_search_config_selectorIsN6thrust23THRUST_200600_302600_NS6detail10any_assignEEEZNS1_14transform_implILb0ES3_S9_NS7_15normal_iteratorINS6_10device_ptrIsEEEENS6_16discard_iteratorINS6_11use_defaultEEEZNS1_13binary_searchIS3_S9_SE_SE_SH_NS1_16binary_search_opENS7_16wrapped_functionINS0_4lessIvEEbEEEE10hipError_tPvRmT1_T2_T3_mmT4_T5_P12ihipStream_tbEUlRKsE_EESO_SS_ST_mSU_SX_bEUlT_E_NS1_11comp_targetILNS1_3genE5ELNS1_11target_archE942ELNS1_3gpuE9ELNS1_3repE0EEENS1_30default_config_static_selectorELNS0_4arch9wavefront6targetE1EEEvSR_,comdat
.Lfunc_end619:
	.size	_ZN7rocprim17ROCPRIM_400000_NS6detail17trampoline_kernelINS0_14default_configENS1_29binary_search_config_selectorIsN6thrust23THRUST_200600_302600_NS6detail10any_assignEEEZNS1_14transform_implILb0ES3_S9_NS7_15normal_iteratorINS6_10device_ptrIsEEEENS6_16discard_iteratorINS6_11use_defaultEEEZNS1_13binary_searchIS3_S9_SE_SE_SH_NS1_16binary_search_opENS7_16wrapped_functionINS0_4lessIvEEbEEEE10hipError_tPvRmT1_T2_T3_mmT4_T5_P12ihipStream_tbEUlRKsE_EESO_SS_ST_mSU_SX_bEUlT_E_NS1_11comp_targetILNS1_3genE5ELNS1_11target_archE942ELNS1_3gpuE9ELNS1_3repE0EEENS1_30default_config_static_selectorELNS0_4arch9wavefront6targetE1EEEvSR_, .Lfunc_end619-_ZN7rocprim17ROCPRIM_400000_NS6detail17trampoline_kernelINS0_14default_configENS1_29binary_search_config_selectorIsN6thrust23THRUST_200600_302600_NS6detail10any_assignEEEZNS1_14transform_implILb0ES3_S9_NS7_15normal_iteratorINS6_10device_ptrIsEEEENS6_16discard_iteratorINS6_11use_defaultEEEZNS1_13binary_searchIS3_S9_SE_SE_SH_NS1_16binary_search_opENS7_16wrapped_functionINS0_4lessIvEEbEEEE10hipError_tPvRmT1_T2_T3_mmT4_T5_P12ihipStream_tbEUlRKsE_EESO_SS_ST_mSU_SX_bEUlT_E_NS1_11comp_targetILNS1_3genE5ELNS1_11target_archE942ELNS1_3gpuE9ELNS1_3repE0EEENS1_30default_config_static_selectorELNS0_4arch9wavefront6targetE1EEEvSR_
                                        ; -- End function
	.section	.AMDGPU.csdata,"",@progbits
; Kernel info:
; codeLenInByte = 0
; NumSgprs: 4
; NumVgprs: 0
; NumAgprs: 0
; TotalNumVgprs: 0
; ScratchSize: 0
; MemoryBound: 0
; FloatMode: 240
; IeeeMode: 1
; LDSByteSize: 0 bytes/workgroup (compile time only)
; SGPRBlocks: 0
; VGPRBlocks: 0
; NumSGPRsForWavesPerEU: 4
; NumVGPRsForWavesPerEU: 1
; AccumOffset: 4
; Occupancy: 8
; WaveLimiterHint : 0
; COMPUTE_PGM_RSRC2:SCRATCH_EN: 0
; COMPUTE_PGM_RSRC2:USER_SGPR: 6
; COMPUTE_PGM_RSRC2:TRAP_HANDLER: 0
; COMPUTE_PGM_RSRC2:TGID_X_EN: 1
; COMPUTE_PGM_RSRC2:TGID_Y_EN: 0
; COMPUTE_PGM_RSRC2:TGID_Z_EN: 0
; COMPUTE_PGM_RSRC2:TIDIG_COMP_CNT: 0
; COMPUTE_PGM_RSRC3_GFX90A:ACCUM_OFFSET: 0
; COMPUTE_PGM_RSRC3_GFX90A:TG_SPLIT: 0
	.section	.text._ZN7rocprim17ROCPRIM_400000_NS6detail17trampoline_kernelINS0_14default_configENS1_29binary_search_config_selectorIsN6thrust23THRUST_200600_302600_NS6detail10any_assignEEEZNS1_14transform_implILb0ES3_S9_NS7_15normal_iteratorINS6_10device_ptrIsEEEENS6_16discard_iteratorINS6_11use_defaultEEEZNS1_13binary_searchIS3_S9_SE_SE_SH_NS1_16binary_search_opENS7_16wrapped_functionINS0_4lessIvEEbEEEE10hipError_tPvRmT1_T2_T3_mmT4_T5_P12ihipStream_tbEUlRKsE_EESO_SS_ST_mSU_SX_bEUlT_E_NS1_11comp_targetILNS1_3genE4ELNS1_11target_archE910ELNS1_3gpuE8ELNS1_3repE0EEENS1_30default_config_static_selectorELNS0_4arch9wavefront6targetE1EEEvSR_,"axG",@progbits,_ZN7rocprim17ROCPRIM_400000_NS6detail17trampoline_kernelINS0_14default_configENS1_29binary_search_config_selectorIsN6thrust23THRUST_200600_302600_NS6detail10any_assignEEEZNS1_14transform_implILb0ES3_S9_NS7_15normal_iteratorINS6_10device_ptrIsEEEENS6_16discard_iteratorINS6_11use_defaultEEEZNS1_13binary_searchIS3_S9_SE_SE_SH_NS1_16binary_search_opENS7_16wrapped_functionINS0_4lessIvEEbEEEE10hipError_tPvRmT1_T2_T3_mmT4_T5_P12ihipStream_tbEUlRKsE_EESO_SS_ST_mSU_SX_bEUlT_E_NS1_11comp_targetILNS1_3genE4ELNS1_11target_archE910ELNS1_3gpuE8ELNS1_3repE0EEENS1_30default_config_static_selectorELNS0_4arch9wavefront6targetE1EEEvSR_,comdat
	.protected	_ZN7rocprim17ROCPRIM_400000_NS6detail17trampoline_kernelINS0_14default_configENS1_29binary_search_config_selectorIsN6thrust23THRUST_200600_302600_NS6detail10any_assignEEEZNS1_14transform_implILb0ES3_S9_NS7_15normal_iteratorINS6_10device_ptrIsEEEENS6_16discard_iteratorINS6_11use_defaultEEEZNS1_13binary_searchIS3_S9_SE_SE_SH_NS1_16binary_search_opENS7_16wrapped_functionINS0_4lessIvEEbEEEE10hipError_tPvRmT1_T2_T3_mmT4_T5_P12ihipStream_tbEUlRKsE_EESO_SS_ST_mSU_SX_bEUlT_E_NS1_11comp_targetILNS1_3genE4ELNS1_11target_archE910ELNS1_3gpuE8ELNS1_3repE0EEENS1_30default_config_static_selectorELNS0_4arch9wavefront6targetE1EEEvSR_ ; -- Begin function _ZN7rocprim17ROCPRIM_400000_NS6detail17trampoline_kernelINS0_14default_configENS1_29binary_search_config_selectorIsN6thrust23THRUST_200600_302600_NS6detail10any_assignEEEZNS1_14transform_implILb0ES3_S9_NS7_15normal_iteratorINS6_10device_ptrIsEEEENS6_16discard_iteratorINS6_11use_defaultEEEZNS1_13binary_searchIS3_S9_SE_SE_SH_NS1_16binary_search_opENS7_16wrapped_functionINS0_4lessIvEEbEEEE10hipError_tPvRmT1_T2_T3_mmT4_T5_P12ihipStream_tbEUlRKsE_EESO_SS_ST_mSU_SX_bEUlT_E_NS1_11comp_targetILNS1_3genE4ELNS1_11target_archE910ELNS1_3gpuE8ELNS1_3repE0EEENS1_30default_config_static_selectorELNS0_4arch9wavefront6targetE1EEEvSR_
	.globl	_ZN7rocprim17ROCPRIM_400000_NS6detail17trampoline_kernelINS0_14default_configENS1_29binary_search_config_selectorIsN6thrust23THRUST_200600_302600_NS6detail10any_assignEEEZNS1_14transform_implILb0ES3_S9_NS7_15normal_iteratorINS6_10device_ptrIsEEEENS6_16discard_iteratorINS6_11use_defaultEEEZNS1_13binary_searchIS3_S9_SE_SE_SH_NS1_16binary_search_opENS7_16wrapped_functionINS0_4lessIvEEbEEEE10hipError_tPvRmT1_T2_T3_mmT4_T5_P12ihipStream_tbEUlRKsE_EESO_SS_ST_mSU_SX_bEUlT_E_NS1_11comp_targetILNS1_3genE4ELNS1_11target_archE910ELNS1_3gpuE8ELNS1_3repE0EEENS1_30default_config_static_selectorELNS0_4arch9wavefront6targetE1EEEvSR_
	.p2align	8
	.type	_ZN7rocprim17ROCPRIM_400000_NS6detail17trampoline_kernelINS0_14default_configENS1_29binary_search_config_selectorIsN6thrust23THRUST_200600_302600_NS6detail10any_assignEEEZNS1_14transform_implILb0ES3_S9_NS7_15normal_iteratorINS6_10device_ptrIsEEEENS6_16discard_iteratorINS6_11use_defaultEEEZNS1_13binary_searchIS3_S9_SE_SE_SH_NS1_16binary_search_opENS7_16wrapped_functionINS0_4lessIvEEbEEEE10hipError_tPvRmT1_T2_T3_mmT4_T5_P12ihipStream_tbEUlRKsE_EESO_SS_ST_mSU_SX_bEUlT_E_NS1_11comp_targetILNS1_3genE4ELNS1_11target_archE910ELNS1_3gpuE8ELNS1_3repE0EEENS1_30default_config_static_selectorELNS0_4arch9wavefront6targetE1EEEvSR_,@function
_ZN7rocprim17ROCPRIM_400000_NS6detail17trampoline_kernelINS0_14default_configENS1_29binary_search_config_selectorIsN6thrust23THRUST_200600_302600_NS6detail10any_assignEEEZNS1_14transform_implILb0ES3_S9_NS7_15normal_iteratorINS6_10device_ptrIsEEEENS6_16discard_iteratorINS6_11use_defaultEEEZNS1_13binary_searchIS3_S9_SE_SE_SH_NS1_16binary_search_opENS7_16wrapped_functionINS0_4lessIvEEbEEEE10hipError_tPvRmT1_T2_T3_mmT4_T5_P12ihipStream_tbEUlRKsE_EESO_SS_ST_mSU_SX_bEUlT_E_NS1_11comp_targetILNS1_3genE4ELNS1_11target_archE910ELNS1_3gpuE8ELNS1_3repE0EEENS1_30default_config_static_selectorELNS0_4arch9wavefront6targetE1EEEvSR_: ; @_ZN7rocprim17ROCPRIM_400000_NS6detail17trampoline_kernelINS0_14default_configENS1_29binary_search_config_selectorIsN6thrust23THRUST_200600_302600_NS6detail10any_assignEEEZNS1_14transform_implILb0ES3_S9_NS7_15normal_iteratorINS6_10device_ptrIsEEEENS6_16discard_iteratorINS6_11use_defaultEEEZNS1_13binary_searchIS3_S9_SE_SE_SH_NS1_16binary_search_opENS7_16wrapped_functionINS0_4lessIvEEbEEEE10hipError_tPvRmT1_T2_T3_mmT4_T5_P12ihipStream_tbEUlRKsE_EESO_SS_ST_mSU_SX_bEUlT_E_NS1_11comp_targetILNS1_3genE4ELNS1_11target_archE910ELNS1_3gpuE8ELNS1_3repE0EEENS1_30default_config_static_selectorELNS0_4arch9wavefront6targetE1EEEvSR_
; %bb.0:
	s_endpgm
	.section	.rodata,"a",@progbits
	.p2align	6, 0x0
	.amdhsa_kernel _ZN7rocprim17ROCPRIM_400000_NS6detail17trampoline_kernelINS0_14default_configENS1_29binary_search_config_selectorIsN6thrust23THRUST_200600_302600_NS6detail10any_assignEEEZNS1_14transform_implILb0ES3_S9_NS7_15normal_iteratorINS6_10device_ptrIsEEEENS6_16discard_iteratorINS6_11use_defaultEEEZNS1_13binary_searchIS3_S9_SE_SE_SH_NS1_16binary_search_opENS7_16wrapped_functionINS0_4lessIvEEbEEEE10hipError_tPvRmT1_T2_T3_mmT4_T5_P12ihipStream_tbEUlRKsE_EESO_SS_ST_mSU_SX_bEUlT_E_NS1_11comp_targetILNS1_3genE4ELNS1_11target_archE910ELNS1_3gpuE8ELNS1_3repE0EEENS1_30default_config_static_selectorELNS0_4arch9wavefront6targetE1EEEvSR_
		.amdhsa_group_segment_fixed_size 0
		.amdhsa_private_segment_fixed_size 0
		.amdhsa_kernarg_size 64
		.amdhsa_user_sgpr_count 6
		.amdhsa_user_sgpr_private_segment_buffer 1
		.amdhsa_user_sgpr_dispatch_ptr 0
		.amdhsa_user_sgpr_queue_ptr 0
		.amdhsa_user_sgpr_kernarg_segment_ptr 1
		.amdhsa_user_sgpr_dispatch_id 0
		.amdhsa_user_sgpr_flat_scratch_init 0
		.amdhsa_user_sgpr_kernarg_preload_length 0
		.amdhsa_user_sgpr_kernarg_preload_offset 0
		.amdhsa_user_sgpr_private_segment_size 0
		.amdhsa_uses_dynamic_stack 0
		.amdhsa_system_sgpr_private_segment_wavefront_offset 0
		.amdhsa_system_sgpr_workgroup_id_x 1
		.amdhsa_system_sgpr_workgroup_id_y 0
		.amdhsa_system_sgpr_workgroup_id_z 0
		.amdhsa_system_sgpr_workgroup_info 0
		.amdhsa_system_vgpr_workitem_id 0
		.amdhsa_next_free_vgpr 1
		.amdhsa_next_free_sgpr 0
		.amdhsa_accum_offset 4
		.amdhsa_reserve_vcc 0
		.amdhsa_reserve_flat_scratch 0
		.amdhsa_float_round_mode_32 0
		.amdhsa_float_round_mode_16_64 0
		.amdhsa_float_denorm_mode_32 3
		.amdhsa_float_denorm_mode_16_64 3
		.amdhsa_dx10_clamp 1
		.amdhsa_ieee_mode 1
		.amdhsa_fp16_overflow 0
		.amdhsa_tg_split 0
		.amdhsa_exception_fp_ieee_invalid_op 0
		.amdhsa_exception_fp_denorm_src 0
		.amdhsa_exception_fp_ieee_div_zero 0
		.amdhsa_exception_fp_ieee_overflow 0
		.amdhsa_exception_fp_ieee_underflow 0
		.amdhsa_exception_fp_ieee_inexact 0
		.amdhsa_exception_int_div_zero 0
	.end_amdhsa_kernel
	.section	.text._ZN7rocprim17ROCPRIM_400000_NS6detail17trampoline_kernelINS0_14default_configENS1_29binary_search_config_selectorIsN6thrust23THRUST_200600_302600_NS6detail10any_assignEEEZNS1_14transform_implILb0ES3_S9_NS7_15normal_iteratorINS6_10device_ptrIsEEEENS6_16discard_iteratorINS6_11use_defaultEEEZNS1_13binary_searchIS3_S9_SE_SE_SH_NS1_16binary_search_opENS7_16wrapped_functionINS0_4lessIvEEbEEEE10hipError_tPvRmT1_T2_T3_mmT4_T5_P12ihipStream_tbEUlRKsE_EESO_SS_ST_mSU_SX_bEUlT_E_NS1_11comp_targetILNS1_3genE4ELNS1_11target_archE910ELNS1_3gpuE8ELNS1_3repE0EEENS1_30default_config_static_selectorELNS0_4arch9wavefront6targetE1EEEvSR_,"axG",@progbits,_ZN7rocprim17ROCPRIM_400000_NS6detail17trampoline_kernelINS0_14default_configENS1_29binary_search_config_selectorIsN6thrust23THRUST_200600_302600_NS6detail10any_assignEEEZNS1_14transform_implILb0ES3_S9_NS7_15normal_iteratorINS6_10device_ptrIsEEEENS6_16discard_iteratorINS6_11use_defaultEEEZNS1_13binary_searchIS3_S9_SE_SE_SH_NS1_16binary_search_opENS7_16wrapped_functionINS0_4lessIvEEbEEEE10hipError_tPvRmT1_T2_T3_mmT4_T5_P12ihipStream_tbEUlRKsE_EESO_SS_ST_mSU_SX_bEUlT_E_NS1_11comp_targetILNS1_3genE4ELNS1_11target_archE910ELNS1_3gpuE8ELNS1_3repE0EEENS1_30default_config_static_selectorELNS0_4arch9wavefront6targetE1EEEvSR_,comdat
.Lfunc_end620:
	.size	_ZN7rocprim17ROCPRIM_400000_NS6detail17trampoline_kernelINS0_14default_configENS1_29binary_search_config_selectorIsN6thrust23THRUST_200600_302600_NS6detail10any_assignEEEZNS1_14transform_implILb0ES3_S9_NS7_15normal_iteratorINS6_10device_ptrIsEEEENS6_16discard_iteratorINS6_11use_defaultEEEZNS1_13binary_searchIS3_S9_SE_SE_SH_NS1_16binary_search_opENS7_16wrapped_functionINS0_4lessIvEEbEEEE10hipError_tPvRmT1_T2_T3_mmT4_T5_P12ihipStream_tbEUlRKsE_EESO_SS_ST_mSU_SX_bEUlT_E_NS1_11comp_targetILNS1_3genE4ELNS1_11target_archE910ELNS1_3gpuE8ELNS1_3repE0EEENS1_30default_config_static_selectorELNS0_4arch9wavefront6targetE1EEEvSR_, .Lfunc_end620-_ZN7rocprim17ROCPRIM_400000_NS6detail17trampoline_kernelINS0_14default_configENS1_29binary_search_config_selectorIsN6thrust23THRUST_200600_302600_NS6detail10any_assignEEEZNS1_14transform_implILb0ES3_S9_NS7_15normal_iteratorINS6_10device_ptrIsEEEENS6_16discard_iteratorINS6_11use_defaultEEEZNS1_13binary_searchIS3_S9_SE_SE_SH_NS1_16binary_search_opENS7_16wrapped_functionINS0_4lessIvEEbEEEE10hipError_tPvRmT1_T2_T3_mmT4_T5_P12ihipStream_tbEUlRKsE_EESO_SS_ST_mSU_SX_bEUlT_E_NS1_11comp_targetILNS1_3genE4ELNS1_11target_archE910ELNS1_3gpuE8ELNS1_3repE0EEENS1_30default_config_static_selectorELNS0_4arch9wavefront6targetE1EEEvSR_
                                        ; -- End function
	.section	.AMDGPU.csdata,"",@progbits
; Kernel info:
; codeLenInByte = 4
; NumSgprs: 4
; NumVgprs: 0
; NumAgprs: 0
; TotalNumVgprs: 0
; ScratchSize: 0
; MemoryBound: 0
; FloatMode: 240
; IeeeMode: 1
; LDSByteSize: 0 bytes/workgroup (compile time only)
; SGPRBlocks: 0
; VGPRBlocks: 0
; NumSGPRsForWavesPerEU: 4
; NumVGPRsForWavesPerEU: 1
; AccumOffset: 4
; Occupancy: 8
; WaveLimiterHint : 0
; COMPUTE_PGM_RSRC2:SCRATCH_EN: 0
; COMPUTE_PGM_RSRC2:USER_SGPR: 6
; COMPUTE_PGM_RSRC2:TRAP_HANDLER: 0
; COMPUTE_PGM_RSRC2:TGID_X_EN: 1
; COMPUTE_PGM_RSRC2:TGID_Y_EN: 0
; COMPUTE_PGM_RSRC2:TGID_Z_EN: 0
; COMPUTE_PGM_RSRC2:TIDIG_COMP_CNT: 0
; COMPUTE_PGM_RSRC3_GFX90A:ACCUM_OFFSET: 0
; COMPUTE_PGM_RSRC3_GFX90A:TG_SPLIT: 0
	.section	.text._ZN7rocprim17ROCPRIM_400000_NS6detail17trampoline_kernelINS0_14default_configENS1_29binary_search_config_selectorIsN6thrust23THRUST_200600_302600_NS6detail10any_assignEEEZNS1_14transform_implILb0ES3_S9_NS7_15normal_iteratorINS6_10device_ptrIsEEEENS6_16discard_iteratorINS6_11use_defaultEEEZNS1_13binary_searchIS3_S9_SE_SE_SH_NS1_16binary_search_opENS7_16wrapped_functionINS0_4lessIvEEbEEEE10hipError_tPvRmT1_T2_T3_mmT4_T5_P12ihipStream_tbEUlRKsE_EESO_SS_ST_mSU_SX_bEUlT_E_NS1_11comp_targetILNS1_3genE3ELNS1_11target_archE908ELNS1_3gpuE7ELNS1_3repE0EEENS1_30default_config_static_selectorELNS0_4arch9wavefront6targetE1EEEvSR_,"axG",@progbits,_ZN7rocprim17ROCPRIM_400000_NS6detail17trampoline_kernelINS0_14default_configENS1_29binary_search_config_selectorIsN6thrust23THRUST_200600_302600_NS6detail10any_assignEEEZNS1_14transform_implILb0ES3_S9_NS7_15normal_iteratorINS6_10device_ptrIsEEEENS6_16discard_iteratorINS6_11use_defaultEEEZNS1_13binary_searchIS3_S9_SE_SE_SH_NS1_16binary_search_opENS7_16wrapped_functionINS0_4lessIvEEbEEEE10hipError_tPvRmT1_T2_T3_mmT4_T5_P12ihipStream_tbEUlRKsE_EESO_SS_ST_mSU_SX_bEUlT_E_NS1_11comp_targetILNS1_3genE3ELNS1_11target_archE908ELNS1_3gpuE7ELNS1_3repE0EEENS1_30default_config_static_selectorELNS0_4arch9wavefront6targetE1EEEvSR_,comdat
	.protected	_ZN7rocprim17ROCPRIM_400000_NS6detail17trampoline_kernelINS0_14default_configENS1_29binary_search_config_selectorIsN6thrust23THRUST_200600_302600_NS6detail10any_assignEEEZNS1_14transform_implILb0ES3_S9_NS7_15normal_iteratorINS6_10device_ptrIsEEEENS6_16discard_iteratorINS6_11use_defaultEEEZNS1_13binary_searchIS3_S9_SE_SE_SH_NS1_16binary_search_opENS7_16wrapped_functionINS0_4lessIvEEbEEEE10hipError_tPvRmT1_T2_T3_mmT4_T5_P12ihipStream_tbEUlRKsE_EESO_SS_ST_mSU_SX_bEUlT_E_NS1_11comp_targetILNS1_3genE3ELNS1_11target_archE908ELNS1_3gpuE7ELNS1_3repE0EEENS1_30default_config_static_selectorELNS0_4arch9wavefront6targetE1EEEvSR_ ; -- Begin function _ZN7rocprim17ROCPRIM_400000_NS6detail17trampoline_kernelINS0_14default_configENS1_29binary_search_config_selectorIsN6thrust23THRUST_200600_302600_NS6detail10any_assignEEEZNS1_14transform_implILb0ES3_S9_NS7_15normal_iteratorINS6_10device_ptrIsEEEENS6_16discard_iteratorINS6_11use_defaultEEEZNS1_13binary_searchIS3_S9_SE_SE_SH_NS1_16binary_search_opENS7_16wrapped_functionINS0_4lessIvEEbEEEE10hipError_tPvRmT1_T2_T3_mmT4_T5_P12ihipStream_tbEUlRKsE_EESO_SS_ST_mSU_SX_bEUlT_E_NS1_11comp_targetILNS1_3genE3ELNS1_11target_archE908ELNS1_3gpuE7ELNS1_3repE0EEENS1_30default_config_static_selectorELNS0_4arch9wavefront6targetE1EEEvSR_
	.globl	_ZN7rocprim17ROCPRIM_400000_NS6detail17trampoline_kernelINS0_14default_configENS1_29binary_search_config_selectorIsN6thrust23THRUST_200600_302600_NS6detail10any_assignEEEZNS1_14transform_implILb0ES3_S9_NS7_15normal_iteratorINS6_10device_ptrIsEEEENS6_16discard_iteratorINS6_11use_defaultEEEZNS1_13binary_searchIS3_S9_SE_SE_SH_NS1_16binary_search_opENS7_16wrapped_functionINS0_4lessIvEEbEEEE10hipError_tPvRmT1_T2_T3_mmT4_T5_P12ihipStream_tbEUlRKsE_EESO_SS_ST_mSU_SX_bEUlT_E_NS1_11comp_targetILNS1_3genE3ELNS1_11target_archE908ELNS1_3gpuE7ELNS1_3repE0EEENS1_30default_config_static_selectorELNS0_4arch9wavefront6targetE1EEEvSR_
	.p2align	8
	.type	_ZN7rocprim17ROCPRIM_400000_NS6detail17trampoline_kernelINS0_14default_configENS1_29binary_search_config_selectorIsN6thrust23THRUST_200600_302600_NS6detail10any_assignEEEZNS1_14transform_implILb0ES3_S9_NS7_15normal_iteratorINS6_10device_ptrIsEEEENS6_16discard_iteratorINS6_11use_defaultEEEZNS1_13binary_searchIS3_S9_SE_SE_SH_NS1_16binary_search_opENS7_16wrapped_functionINS0_4lessIvEEbEEEE10hipError_tPvRmT1_T2_T3_mmT4_T5_P12ihipStream_tbEUlRKsE_EESO_SS_ST_mSU_SX_bEUlT_E_NS1_11comp_targetILNS1_3genE3ELNS1_11target_archE908ELNS1_3gpuE7ELNS1_3repE0EEENS1_30default_config_static_selectorELNS0_4arch9wavefront6targetE1EEEvSR_,@function
_ZN7rocprim17ROCPRIM_400000_NS6detail17trampoline_kernelINS0_14default_configENS1_29binary_search_config_selectorIsN6thrust23THRUST_200600_302600_NS6detail10any_assignEEEZNS1_14transform_implILb0ES3_S9_NS7_15normal_iteratorINS6_10device_ptrIsEEEENS6_16discard_iteratorINS6_11use_defaultEEEZNS1_13binary_searchIS3_S9_SE_SE_SH_NS1_16binary_search_opENS7_16wrapped_functionINS0_4lessIvEEbEEEE10hipError_tPvRmT1_T2_T3_mmT4_T5_P12ihipStream_tbEUlRKsE_EESO_SS_ST_mSU_SX_bEUlT_E_NS1_11comp_targetILNS1_3genE3ELNS1_11target_archE908ELNS1_3gpuE7ELNS1_3repE0EEENS1_30default_config_static_selectorELNS0_4arch9wavefront6targetE1EEEvSR_: ; @_ZN7rocprim17ROCPRIM_400000_NS6detail17trampoline_kernelINS0_14default_configENS1_29binary_search_config_selectorIsN6thrust23THRUST_200600_302600_NS6detail10any_assignEEEZNS1_14transform_implILb0ES3_S9_NS7_15normal_iteratorINS6_10device_ptrIsEEEENS6_16discard_iteratorINS6_11use_defaultEEEZNS1_13binary_searchIS3_S9_SE_SE_SH_NS1_16binary_search_opENS7_16wrapped_functionINS0_4lessIvEEbEEEE10hipError_tPvRmT1_T2_T3_mmT4_T5_P12ihipStream_tbEUlRKsE_EESO_SS_ST_mSU_SX_bEUlT_E_NS1_11comp_targetILNS1_3genE3ELNS1_11target_archE908ELNS1_3gpuE7ELNS1_3repE0EEENS1_30default_config_static_selectorELNS0_4arch9wavefront6targetE1EEEvSR_
; %bb.0:
	.section	.rodata,"a",@progbits
	.p2align	6, 0x0
	.amdhsa_kernel _ZN7rocprim17ROCPRIM_400000_NS6detail17trampoline_kernelINS0_14default_configENS1_29binary_search_config_selectorIsN6thrust23THRUST_200600_302600_NS6detail10any_assignEEEZNS1_14transform_implILb0ES3_S9_NS7_15normal_iteratorINS6_10device_ptrIsEEEENS6_16discard_iteratorINS6_11use_defaultEEEZNS1_13binary_searchIS3_S9_SE_SE_SH_NS1_16binary_search_opENS7_16wrapped_functionINS0_4lessIvEEbEEEE10hipError_tPvRmT1_T2_T3_mmT4_T5_P12ihipStream_tbEUlRKsE_EESO_SS_ST_mSU_SX_bEUlT_E_NS1_11comp_targetILNS1_3genE3ELNS1_11target_archE908ELNS1_3gpuE7ELNS1_3repE0EEENS1_30default_config_static_selectorELNS0_4arch9wavefront6targetE1EEEvSR_
		.amdhsa_group_segment_fixed_size 0
		.amdhsa_private_segment_fixed_size 0
		.amdhsa_kernarg_size 64
		.amdhsa_user_sgpr_count 6
		.amdhsa_user_sgpr_private_segment_buffer 1
		.amdhsa_user_sgpr_dispatch_ptr 0
		.amdhsa_user_sgpr_queue_ptr 0
		.amdhsa_user_sgpr_kernarg_segment_ptr 1
		.amdhsa_user_sgpr_dispatch_id 0
		.amdhsa_user_sgpr_flat_scratch_init 0
		.amdhsa_user_sgpr_kernarg_preload_length 0
		.amdhsa_user_sgpr_kernarg_preload_offset 0
		.amdhsa_user_sgpr_private_segment_size 0
		.amdhsa_uses_dynamic_stack 0
		.amdhsa_system_sgpr_private_segment_wavefront_offset 0
		.amdhsa_system_sgpr_workgroup_id_x 1
		.amdhsa_system_sgpr_workgroup_id_y 0
		.amdhsa_system_sgpr_workgroup_id_z 0
		.amdhsa_system_sgpr_workgroup_info 0
		.amdhsa_system_vgpr_workitem_id 0
		.amdhsa_next_free_vgpr 1
		.amdhsa_next_free_sgpr 0
		.amdhsa_accum_offset 4
		.amdhsa_reserve_vcc 0
		.amdhsa_reserve_flat_scratch 0
		.amdhsa_float_round_mode_32 0
		.amdhsa_float_round_mode_16_64 0
		.amdhsa_float_denorm_mode_32 3
		.amdhsa_float_denorm_mode_16_64 3
		.amdhsa_dx10_clamp 1
		.amdhsa_ieee_mode 1
		.amdhsa_fp16_overflow 0
		.amdhsa_tg_split 0
		.amdhsa_exception_fp_ieee_invalid_op 0
		.amdhsa_exception_fp_denorm_src 0
		.amdhsa_exception_fp_ieee_div_zero 0
		.amdhsa_exception_fp_ieee_overflow 0
		.amdhsa_exception_fp_ieee_underflow 0
		.amdhsa_exception_fp_ieee_inexact 0
		.amdhsa_exception_int_div_zero 0
	.end_amdhsa_kernel
	.section	.text._ZN7rocprim17ROCPRIM_400000_NS6detail17trampoline_kernelINS0_14default_configENS1_29binary_search_config_selectorIsN6thrust23THRUST_200600_302600_NS6detail10any_assignEEEZNS1_14transform_implILb0ES3_S9_NS7_15normal_iteratorINS6_10device_ptrIsEEEENS6_16discard_iteratorINS6_11use_defaultEEEZNS1_13binary_searchIS3_S9_SE_SE_SH_NS1_16binary_search_opENS7_16wrapped_functionINS0_4lessIvEEbEEEE10hipError_tPvRmT1_T2_T3_mmT4_T5_P12ihipStream_tbEUlRKsE_EESO_SS_ST_mSU_SX_bEUlT_E_NS1_11comp_targetILNS1_3genE3ELNS1_11target_archE908ELNS1_3gpuE7ELNS1_3repE0EEENS1_30default_config_static_selectorELNS0_4arch9wavefront6targetE1EEEvSR_,"axG",@progbits,_ZN7rocprim17ROCPRIM_400000_NS6detail17trampoline_kernelINS0_14default_configENS1_29binary_search_config_selectorIsN6thrust23THRUST_200600_302600_NS6detail10any_assignEEEZNS1_14transform_implILb0ES3_S9_NS7_15normal_iteratorINS6_10device_ptrIsEEEENS6_16discard_iteratorINS6_11use_defaultEEEZNS1_13binary_searchIS3_S9_SE_SE_SH_NS1_16binary_search_opENS7_16wrapped_functionINS0_4lessIvEEbEEEE10hipError_tPvRmT1_T2_T3_mmT4_T5_P12ihipStream_tbEUlRKsE_EESO_SS_ST_mSU_SX_bEUlT_E_NS1_11comp_targetILNS1_3genE3ELNS1_11target_archE908ELNS1_3gpuE7ELNS1_3repE0EEENS1_30default_config_static_selectorELNS0_4arch9wavefront6targetE1EEEvSR_,comdat
.Lfunc_end621:
	.size	_ZN7rocprim17ROCPRIM_400000_NS6detail17trampoline_kernelINS0_14default_configENS1_29binary_search_config_selectorIsN6thrust23THRUST_200600_302600_NS6detail10any_assignEEEZNS1_14transform_implILb0ES3_S9_NS7_15normal_iteratorINS6_10device_ptrIsEEEENS6_16discard_iteratorINS6_11use_defaultEEEZNS1_13binary_searchIS3_S9_SE_SE_SH_NS1_16binary_search_opENS7_16wrapped_functionINS0_4lessIvEEbEEEE10hipError_tPvRmT1_T2_T3_mmT4_T5_P12ihipStream_tbEUlRKsE_EESO_SS_ST_mSU_SX_bEUlT_E_NS1_11comp_targetILNS1_3genE3ELNS1_11target_archE908ELNS1_3gpuE7ELNS1_3repE0EEENS1_30default_config_static_selectorELNS0_4arch9wavefront6targetE1EEEvSR_, .Lfunc_end621-_ZN7rocprim17ROCPRIM_400000_NS6detail17trampoline_kernelINS0_14default_configENS1_29binary_search_config_selectorIsN6thrust23THRUST_200600_302600_NS6detail10any_assignEEEZNS1_14transform_implILb0ES3_S9_NS7_15normal_iteratorINS6_10device_ptrIsEEEENS6_16discard_iteratorINS6_11use_defaultEEEZNS1_13binary_searchIS3_S9_SE_SE_SH_NS1_16binary_search_opENS7_16wrapped_functionINS0_4lessIvEEbEEEE10hipError_tPvRmT1_T2_T3_mmT4_T5_P12ihipStream_tbEUlRKsE_EESO_SS_ST_mSU_SX_bEUlT_E_NS1_11comp_targetILNS1_3genE3ELNS1_11target_archE908ELNS1_3gpuE7ELNS1_3repE0EEENS1_30default_config_static_selectorELNS0_4arch9wavefront6targetE1EEEvSR_
                                        ; -- End function
	.section	.AMDGPU.csdata,"",@progbits
; Kernel info:
; codeLenInByte = 0
; NumSgprs: 4
; NumVgprs: 0
; NumAgprs: 0
; TotalNumVgprs: 0
; ScratchSize: 0
; MemoryBound: 0
; FloatMode: 240
; IeeeMode: 1
; LDSByteSize: 0 bytes/workgroup (compile time only)
; SGPRBlocks: 0
; VGPRBlocks: 0
; NumSGPRsForWavesPerEU: 4
; NumVGPRsForWavesPerEU: 1
; AccumOffset: 4
; Occupancy: 8
; WaveLimiterHint : 0
; COMPUTE_PGM_RSRC2:SCRATCH_EN: 0
; COMPUTE_PGM_RSRC2:USER_SGPR: 6
; COMPUTE_PGM_RSRC2:TRAP_HANDLER: 0
; COMPUTE_PGM_RSRC2:TGID_X_EN: 1
; COMPUTE_PGM_RSRC2:TGID_Y_EN: 0
; COMPUTE_PGM_RSRC2:TGID_Z_EN: 0
; COMPUTE_PGM_RSRC2:TIDIG_COMP_CNT: 0
; COMPUTE_PGM_RSRC3_GFX90A:ACCUM_OFFSET: 0
; COMPUTE_PGM_RSRC3_GFX90A:TG_SPLIT: 0
	.section	.text._ZN7rocprim17ROCPRIM_400000_NS6detail17trampoline_kernelINS0_14default_configENS1_29binary_search_config_selectorIsN6thrust23THRUST_200600_302600_NS6detail10any_assignEEEZNS1_14transform_implILb0ES3_S9_NS7_15normal_iteratorINS6_10device_ptrIsEEEENS6_16discard_iteratorINS6_11use_defaultEEEZNS1_13binary_searchIS3_S9_SE_SE_SH_NS1_16binary_search_opENS7_16wrapped_functionINS0_4lessIvEEbEEEE10hipError_tPvRmT1_T2_T3_mmT4_T5_P12ihipStream_tbEUlRKsE_EESO_SS_ST_mSU_SX_bEUlT_E_NS1_11comp_targetILNS1_3genE2ELNS1_11target_archE906ELNS1_3gpuE6ELNS1_3repE0EEENS1_30default_config_static_selectorELNS0_4arch9wavefront6targetE1EEEvSR_,"axG",@progbits,_ZN7rocprim17ROCPRIM_400000_NS6detail17trampoline_kernelINS0_14default_configENS1_29binary_search_config_selectorIsN6thrust23THRUST_200600_302600_NS6detail10any_assignEEEZNS1_14transform_implILb0ES3_S9_NS7_15normal_iteratorINS6_10device_ptrIsEEEENS6_16discard_iteratorINS6_11use_defaultEEEZNS1_13binary_searchIS3_S9_SE_SE_SH_NS1_16binary_search_opENS7_16wrapped_functionINS0_4lessIvEEbEEEE10hipError_tPvRmT1_T2_T3_mmT4_T5_P12ihipStream_tbEUlRKsE_EESO_SS_ST_mSU_SX_bEUlT_E_NS1_11comp_targetILNS1_3genE2ELNS1_11target_archE906ELNS1_3gpuE6ELNS1_3repE0EEENS1_30default_config_static_selectorELNS0_4arch9wavefront6targetE1EEEvSR_,comdat
	.protected	_ZN7rocprim17ROCPRIM_400000_NS6detail17trampoline_kernelINS0_14default_configENS1_29binary_search_config_selectorIsN6thrust23THRUST_200600_302600_NS6detail10any_assignEEEZNS1_14transform_implILb0ES3_S9_NS7_15normal_iteratorINS6_10device_ptrIsEEEENS6_16discard_iteratorINS6_11use_defaultEEEZNS1_13binary_searchIS3_S9_SE_SE_SH_NS1_16binary_search_opENS7_16wrapped_functionINS0_4lessIvEEbEEEE10hipError_tPvRmT1_T2_T3_mmT4_T5_P12ihipStream_tbEUlRKsE_EESO_SS_ST_mSU_SX_bEUlT_E_NS1_11comp_targetILNS1_3genE2ELNS1_11target_archE906ELNS1_3gpuE6ELNS1_3repE0EEENS1_30default_config_static_selectorELNS0_4arch9wavefront6targetE1EEEvSR_ ; -- Begin function _ZN7rocprim17ROCPRIM_400000_NS6detail17trampoline_kernelINS0_14default_configENS1_29binary_search_config_selectorIsN6thrust23THRUST_200600_302600_NS6detail10any_assignEEEZNS1_14transform_implILb0ES3_S9_NS7_15normal_iteratorINS6_10device_ptrIsEEEENS6_16discard_iteratorINS6_11use_defaultEEEZNS1_13binary_searchIS3_S9_SE_SE_SH_NS1_16binary_search_opENS7_16wrapped_functionINS0_4lessIvEEbEEEE10hipError_tPvRmT1_T2_T3_mmT4_T5_P12ihipStream_tbEUlRKsE_EESO_SS_ST_mSU_SX_bEUlT_E_NS1_11comp_targetILNS1_3genE2ELNS1_11target_archE906ELNS1_3gpuE6ELNS1_3repE0EEENS1_30default_config_static_selectorELNS0_4arch9wavefront6targetE1EEEvSR_
	.globl	_ZN7rocprim17ROCPRIM_400000_NS6detail17trampoline_kernelINS0_14default_configENS1_29binary_search_config_selectorIsN6thrust23THRUST_200600_302600_NS6detail10any_assignEEEZNS1_14transform_implILb0ES3_S9_NS7_15normal_iteratorINS6_10device_ptrIsEEEENS6_16discard_iteratorINS6_11use_defaultEEEZNS1_13binary_searchIS3_S9_SE_SE_SH_NS1_16binary_search_opENS7_16wrapped_functionINS0_4lessIvEEbEEEE10hipError_tPvRmT1_T2_T3_mmT4_T5_P12ihipStream_tbEUlRKsE_EESO_SS_ST_mSU_SX_bEUlT_E_NS1_11comp_targetILNS1_3genE2ELNS1_11target_archE906ELNS1_3gpuE6ELNS1_3repE0EEENS1_30default_config_static_selectorELNS0_4arch9wavefront6targetE1EEEvSR_
	.p2align	8
	.type	_ZN7rocprim17ROCPRIM_400000_NS6detail17trampoline_kernelINS0_14default_configENS1_29binary_search_config_selectorIsN6thrust23THRUST_200600_302600_NS6detail10any_assignEEEZNS1_14transform_implILb0ES3_S9_NS7_15normal_iteratorINS6_10device_ptrIsEEEENS6_16discard_iteratorINS6_11use_defaultEEEZNS1_13binary_searchIS3_S9_SE_SE_SH_NS1_16binary_search_opENS7_16wrapped_functionINS0_4lessIvEEbEEEE10hipError_tPvRmT1_T2_T3_mmT4_T5_P12ihipStream_tbEUlRKsE_EESO_SS_ST_mSU_SX_bEUlT_E_NS1_11comp_targetILNS1_3genE2ELNS1_11target_archE906ELNS1_3gpuE6ELNS1_3repE0EEENS1_30default_config_static_selectorELNS0_4arch9wavefront6targetE1EEEvSR_,@function
_ZN7rocprim17ROCPRIM_400000_NS6detail17trampoline_kernelINS0_14default_configENS1_29binary_search_config_selectorIsN6thrust23THRUST_200600_302600_NS6detail10any_assignEEEZNS1_14transform_implILb0ES3_S9_NS7_15normal_iteratorINS6_10device_ptrIsEEEENS6_16discard_iteratorINS6_11use_defaultEEEZNS1_13binary_searchIS3_S9_SE_SE_SH_NS1_16binary_search_opENS7_16wrapped_functionINS0_4lessIvEEbEEEE10hipError_tPvRmT1_T2_T3_mmT4_T5_P12ihipStream_tbEUlRKsE_EESO_SS_ST_mSU_SX_bEUlT_E_NS1_11comp_targetILNS1_3genE2ELNS1_11target_archE906ELNS1_3gpuE6ELNS1_3repE0EEENS1_30default_config_static_selectorELNS0_4arch9wavefront6targetE1EEEvSR_: ; @_ZN7rocprim17ROCPRIM_400000_NS6detail17trampoline_kernelINS0_14default_configENS1_29binary_search_config_selectorIsN6thrust23THRUST_200600_302600_NS6detail10any_assignEEEZNS1_14transform_implILb0ES3_S9_NS7_15normal_iteratorINS6_10device_ptrIsEEEENS6_16discard_iteratorINS6_11use_defaultEEEZNS1_13binary_searchIS3_S9_SE_SE_SH_NS1_16binary_search_opENS7_16wrapped_functionINS0_4lessIvEEbEEEE10hipError_tPvRmT1_T2_T3_mmT4_T5_P12ihipStream_tbEUlRKsE_EESO_SS_ST_mSU_SX_bEUlT_E_NS1_11comp_targetILNS1_3genE2ELNS1_11target_archE906ELNS1_3gpuE6ELNS1_3repE0EEENS1_30default_config_static_selectorELNS0_4arch9wavefront6targetE1EEEvSR_
; %bb.0:
	.section	.rodata,"a",@progbits
	.p2align	6, 0x0
	.amdhsa_kernel _ZN7rocprim17ROCPRIM_400000_NS6detail17trampoline_kernelINS0_14default_configENS1_29binary_search_config_selectorIsN6thrust23THRUST_200600_302600_NS6detail10any_assignEEEZNS1_14transform_implILb0ES3_S9_NS7_15normal_iteratorINS6_10device_ptrIsEEEENS6_16discard_iteratorINS6_11use_defaultEEEZNS1_13binary_searchIS3_S9_SE_SE_SH_NS1_16binary_search_opENS7_16wrapped_functionINS0_4lessIvEEbEEEE10hipError_tPvRmT1_T2_T3_mmT4_T5_P12ihipStream_tbEUlRKsE_EESO_SS_ST_mSU_SX_bEUlT_E_NS1_11comp_targetILNS1_3genE2ELNS1_11target_archE906ELNS1_3gpuE6ELNS1_3repE0EEENS1_30default_config_static_selectorELNS0_4arch9wavefront6targetE1EEEvSR_
		.amdhsa_group_segment_fixed_size 0
		.amdhsa_private_segment_fixed_size 0
		.amdhsa_kernarg_size 64
		.amdhsa_user_sgpr_count 6
		.amdhsa_user_sgpr_private_segment_buffer 1
		.amdhsa_user_sgpr_dispatch_ptr 0
		.amdhsa_user_sgpr_queue_ptr 0
		.amdhsa_user_sgpr_kernarg_segment_ptr 1
		.amdhsa_user_sgpr_dispatch_id 0
		.amdhsa_user_sgpr_flat_scratch_init 0
		.amdhsa_user_sgpr_kernarg_preload_length 0
		.amdhsa_user_sgpr_kernarg_preload_offset 0
		.amdhsa_user_sgpr_private_segment_size 0
		.amdhsa_uses_dynamic_stack 0
		.amdhsa_system_sgpr_private_segment_wavefront_offset 0
		.amdhsa_system_sgpr_workgroup_id_x 1
		.amdhsa_system_sgpr_workgroup_id_y 0
		.amdhsa_system_sgpr_workgroup_id_z 0
		.amdhsa_system_sgpr_workgroup_info 0
		.amdhsa_system_vgpr_workitem_id 0
		.amdhsa_next_free_vgpr 1
		.amdhsa_next_free_sgpr 0
		.amdhsa_accum_offset 4
		.amdhsa_reserve_vcc 0
		.amdhsa_reserve_flat_scratch 0
		.amdhsa_float_round_mode_32 0
		.amdhsa_float_round_mode_16_64 0
		.amdhsa_float_denorm_mode_32 3
		.amdhsa_float_denorm_mode_16_64 3
		.amdhsa_dx10_clamp 1
		.amdhsa_ieee_mode 1
		.amdhsa_fp16_overflow 0
		.amdhsa_tg_split 0
		.amdhsa_exception_fp_ieee_invalid_op 0
		.amdhsa_exception_fp_denorm_src 0
		.amdhsa_exception_fp_ieee_div_zero 0
		.amdhsa_exception_fp_ieee_overflow 0
		.amdhsa_exception_fp_ieee_underflow 0
		.amdhsa_exception_fp_ieee_inexact 0
		.amdhsa_exception_int_div_zero 0
	.end_amdhsa_kernel
	.section	.text._ZN7rocprim17ROCPRIM_400000_NS6detail17trampoline_kernelINS0_14default_configENS1_29binary_search_config_selectorIsN6thrust23THRUST_200600_302600_NS6detail10any_assignEEEZNS1_14transform_implILb0ES3_S9_NS7_15normal_iteratorINS6_10device_ptrIsEEEENS6_16discard_iteratorINS6_11use_defaultEEEZNS1_13binary_searchIS3_S9_SE_SE_SH_NS1_16binary_search_opENS7_16wrapped_functionINS0_4lessIvEEbEEEE10hipError_tPvRmT1_T2_T3_mmT4_T5_P12ihipStream_tbEUlRKsE_EESO_SS_ST_mSU_SX_bEUlT_E_NS1_11comp_targetILNS1_3genE2ELNS1_11target_archE906ELNS1_3gpuE6ELNS1_3repE0EEENS1_30default_config_static_selectorELNS0_4arch9wavefront6targetE1EEEvSR_,"axG",@progbits,_ZN7rocprim17ROCPRIM_400000_NS6detail17trampoline_kernelINS0_14default_configENS1_29binary_search_config_selectorIsN6thrust23THRUST_200600_302600_NS6detail10any_assignEEEZNS1_14transform_implILb0ES3_S9_NS7_15normal_iteratorINS6_10device_ptrIsEEEENS6_16discard_iteratorINS6_11use_defaultEEEZNS1_13binary_searchIS3_S9_SE_SE_SH_NS1_16binary_search_opENS7_16wrapped_functionINS0_4lessIvEEbEEEE10hipError_tPvRmT1_T2_T3_mmT4_T5_P12ihipStream_tbEUlRKsE_EESO_SS_ST_mSU_SX_bEUlT_E_NS1_11comp_targetILNS1_3genE2ELNS1_11target_archE906ELNS1_3gpuE6ELNS1_3repE0EEENS1_30default_config_static_selectorELNS0_4arch9wavefront6targetE1EEEvSR_,comdat
.Lfunc_end622:
	.size	_ZN7rocprim17ROCPRIM_400000_NS6detail17trampoline_kernelINS0_14default_configENS1_29binary_search_config_selectorIsN6thrust23THRUST_200600_302600_NS6detail10any_assignEEEZNS1_14transform_implILb0ES3_S9_NS7_15normal_iteratorINS6_10device_ptrIsEEEENS6_16discard_iteratorINS6_11use_defaultEEEZNS1_13binary_searchIS3_S9_SE_SE_SH_NS1_16binary_search_opENS7_16wrapped_functionINS0_4lessIvEEbEEEE10hipError_tPvRmT1_T2_T3_mmT4_T5_P12ihipStream_tbEUlRKsE_EESO_SS_ST_mSU_SX_bEUlT_E_NS1_11comp_targetILNS1_3genE2ELNS1_11target_archE906ELNS1_3gpuE6ELNS1_3repE0EEENS1_30default_config_static_selectorELNS0_4arch9wavefront6targetE1EEEvSR_, .Lfunc_end622-_ZN7rocprim17ROCPRIM_400000_NS6detail17trampoline_kernelINS0_14default_configENS1_29binary_search_config_selectorIsN6thrust23THRUST_200600_302600_NS6detail10any_assignEEEZNS1_14transform_implILb0ES3_S9_NS7_15normal_iteratorINS6_10device_ptrIsEEEENS6_16discard_iteratorINS6_11use_defaultEEEZNS1_13binary_searchIS3_S9_SE_SE_SH_NS1_16binary_search_opENS7_16wrapped_functionINS0_4lessIvEEbEEEE10hipError_tPvRmT1_T2_T3_mmT4_T5_P12ihipStream_tbEUlRKsE_EESO_SS_ST_mSU_SX_bEUlT_E_NS1_11comp_targetILNS1_3genE2ELNS1_11target_archE906ELNS1_3gpuE6ELNS1_3repE0EEENS1_30default_config_static_selectorELNS0_4arch9wavefront6targetE1EEEvSR_
                                        ; -- End function
	.section	.AMDGPU.csdata,"",@progbits
; Kernel info:
; codeLenInByte = 0
; NumSgprs: 4
; NumVgprs: 0
; NumAgprs: 0
; TotalNumVgprs: 0
; ScratchSize: 0
; MemoryBound: 0
; FloatMode: 240
; IeeeMode: 1
; LDSByteSize: 0 bytes/workgroup (compile time only)
; SGPRBlocks: 0
; VGPRBlocks: 0
; NumSGPRsForWavesPerEU: 4
; NumVGPRsForWavesPerEU: 1
; AccumOffset: 4
; Occupancy: 8
; WaveLimiterHint : 0
; COMPUTE_PGM_RSRC2:SCRATCH_EN: 0
; COMPUTE_PGM_RSRC2:USER_SGPR: 6
; COMPUTE_PGM_RSRC2:TRAP_HANDLER: 0
; COMPUTE_PGM_RSRC2:TGID_X_EN: 1
; COMPUTE_PGM_RSRC2:TGID_Y_EN: 0
; COMPUTE_PGM_RSRC2:TGID_Z_EN: 0
; COMPUTE_PGM_RSRC2:TIDIG_COMP_CNT: 0
; COMPUTE_PGM_RSRC3_GFX90A:ACCUM_OFFSET: 0
; COMPUTE_PGM_RSRC3_GFX90A:TG_SPLIT: 0
	.section	.text._ZN7rocprim17ROCPRIM_400000_NS6detail17trampoline_kernelINS0_14default_configENS1_29binary_search_config_selectorIsN6thrust23THRUST_200600_302600_NS6detail10any_assignEEEZNS1_14transform_implILb0ES3_S9_NS7_15normal_iteratorINS6_10device_ptrIsEEEENS6_16discard_iteratorINS6_11use_defaultEEEZNS1_13binary_searchIS3_S9_SE_SE_SH_NS1_16binary_search_opENS7_16wrapped_functionINS0_4lessIvEEbEEEE10hipError_tPvRmT1_T2_T3_mmT4_T5_P12ihipStream_tbEUlRKsE_EESO_SS_ST_mSU_SX_bEUlT_E_NS1_11comp_targetILNS1_3genE10ELNS1_11target_archE1201ELNS1_3gpuE5ELNS1_3repE0EEENS1_30default_config_static_selectorELNS0_4arch9wavefront6targetE1EEEvSR_,"axG",@progbits,_ZN7rocprim17ROCPRIM_400000_NS6detail17trampoline_kernelINS0_14default_configENS1_29binary_search_config_selectorIsN6thrust23THRUST_200600_302600_NS6detail10any_assignEEEZNS1_14transform_implILb0ES3_S9_NS7_15normal_iteratorINS6_10device_ptrIsEEEENS6_16discard_iteratorINS6_11use_defaultEEEZNS1_13binary_searchIS3_S9_SE_SE_SH_NS1_16binary_search_opENS7_16wrapped_functionINS0_4lessIvEEbEEEE10hipError_tPvRmT1_T2_T3_mmT4_T5_P12ihipStream_tbEUlRKsE_EESO_SS_ST_mSU_SX_bEUlT_E_NS1_11comp_targetILNS1_3genE10ELNS1_11target_archE1201ELNS1_3gpuE5ELNS1_3repE0EEENS1_30default_config_static_selectorELNS0_4arch9wavefront6targetE1EEEvSR_,comdat
	.protected	_ZN7rocprim17ROCPRIM_400000_NS6detail17trampoline_kernelINS0_14default_configENS1_29binary_search_config_selectorIsN6thrust23THRUST_200600_302600_NS6detail10any_assignEEEZNS1_14transform_implILb0ES3_S9_NS7_15normal_iteratorINS6_10device_ptrIsEEEENS6_16discard_iteratorINS6_11use_defaultEEEZNS1_13binary_searchIS3_S9_SE_SE_SH_NS1_16binary_search_opENS7_16wrapped_functionINS0_4lessIvEEbEEEE10hipError_tPvRmT1_T2_T3_mmT4_T5_P12ihipStream_tbEUlRKsE_EESO_SS_ST_mSU_SX_bEUlT_E_NS1_11comp_targetILNS1_3genE10ELNS1_11target_archE1201ELNS1_3gpuE5ELNS1_3repE0EEENS1_30default_config_static_selectorELNS0_4arch9wavefront6targetE1EEEvSR_ ; -- Begin function _ZN7rocprim17ROCPRIM_400000_NS6detail17trampoline_kernelINS0_14default_configENS1_29binary_search_config_selectorIsN6thrust23THRUST_200600_302600_NS6detail10any_assignEEEZNS1_14transform_implILb0ES3_S9_NS7_15normal_iteratorINS6_10device_ptrIsEEEENS6_16discard_iteratorINS6_11use_defaultEEEZNS1_13binary_searchIS3_S9_SE_SE_SH_NS1_16binary_search_opENS7_16wrapped_functionINS0_4lessIvEEbEEEE10hipError_tPvRmT1_T2_T3_mmT4_T5_P12ihipStream_tbEUlRKsE_EESO_SS_ST_mSU_SX_bEUlT_E_NS1_11comp_targetILNS1_3genE10ELNS1_11target_archE1201ELNS1_3gpuE5ELNS1_3repE0EEENS1_30default_config_static_selectorELNS0_4arch9wavefront6targetE1EEEvSR_
	.globl	_ZN7rocprim17ROCPRIM_400000_NS6detail17trampoline_kernelINS0_14default_configENS1_29binary_search_config_selectorIsN6thrust23THRUST_200600_302600_NS6detail10any_assignEEEZNS1_14transform_implILb0ES3_S9_NS7_15normal_iteratorINS6_10device_ptrIsEEEENS6_16discard_iteratorINS6_11use_defaultEEEZNS1_13binary_searchIS3_S9_SE_SE_SH_NS1_16binary_search_opENS7_16wrapped_functionINS0_4lessIvEEbEEEE10hipError_tPvRmT1_T2_T3_mmT4_T5_P12ihipStream_tbEUlRKsE_EESO_SS_ST_mSU_SX_bEUlT_E_NS1_11comp_targetILNS1_3genE10ELNS1_11target_archE1201ELNS1_3gpuE5ELNS1_3repE0EEENS1_30default_config_static_selectorELNS0_4arch9wavefront6targetE1EEEvSR_
	.p2align	8
	.type	_ZN7rocprim17ROCPRIM_400000_NS6detail17trampoline_kernelINS0_14default_configENS1_29binary_search_config_selectorIsN6thrust23THRUST_200600_302600_NS6detail10any_assignEEEZNS1_14transform_implILb0ES3_S9_NS7_15normal_iteratorINS6_10device_ptrIsEEEENS6_16discard_iteratorINS6_11use_defaultEEEZNS1_13binary_searchIS3_S9_SE_SE_SH_NS1_16binary_search_opENS7_16wrapped_functionINS0_4lessIvEEbEEEE10hipError_tPvRmT1_T2_T3_mmT4_T5_P12ihipStream_tbEUlRKsE_EESO_SS_ST_mSU_SX_bEUlT_E_NS1_11comp_targetILNS1_3genE10ELNS1_11target_archE1201ELNS1_3gpuE5ELNS1_3repE0EEENS1_30default_config_static_selectorELNS0_4arch9wavefront6targetE1EEEvSR_,@function
_ZN7rocprim17ROCPRIM_400000_NS6detail17trampoline_kernelINS0_14default_configENS1_29binary_search_config_selectorIsN6thrust23THRUST_200600_302600_NS6detail10any_assignEEEZNS1_14transform_implILb0ES3_S9_NS7_15normal_iteratorINS6_10device_ptrIsEEEENS6_16discard_iteratorINS6_11use_defaultEEEZNS1_13binary_searchIS3_S9_SE_SE_SH_NS1_16binary_search_opENS7_16wrapped_functionINS0_4lessIvEEbEEEE10hipError_tPvRmT1_T2_T3_mmT4_T5_P12ihipStream_tbEUlRKsE_EESO_SS_ST_mSU_SX_bEUlT_E_NS1_11comp_targetILNS1_3genE10ELNS1_11target_archE1201ELNS1_3gpuE5ELNS1_3repE0EEENS1_30default_config_static_selectorELNS0_4arch9wavefront6targetE1EEEvSR_: ; @_ZN7rocprim17ROCPRIM_400000_NS6detail17trampoline_kernelINS0_14default_configENS1_29binary_search_config_selectorIsN6thrust23THRUST_200600_302600_NS6detail10any_assignEEEZNS1_14transform_implILb0ES3_S9_NS7_15normal_iteratorINS6_10device_ptrIsEEEENS6_16discard_iteratorINS6_11use_defaultEEEZNS1_13binary_searchIS3_S9_SE_SE_SH_NS1_16binary_search_opENS7_16wrapped_functionINS0_4lessIvEEbEEEE10hipError_tPvRmT1_T2_T3_mmT4_T5_P12ihipStream_tbEUlRKsE_EESO_SS_ST_mSU_SX_bEUlT_E_NS1_11comp_targetILNS1_3genE10ELNS1_11target_archE1201ELNS1_3gpuE5ELNS1_3repE0EEENS1_30default_config_static_selectorELNS0_4arch9wavefront6targetE1EEEvSR_
; %bb.0:
	.section	.rodata,"a",@progbits
	.p2align	6, 0x0
	.amdhsa_kernel _ZN7rocprim17ROCPRIM_400000_NS6detail17trampoline_kernelINS0_14default_configENS1_29binary_search_config_selectorIsN6thrust23THRUST_200600_302600_NS6detail10any_assignEEEZNS1_14transform_implILb0ES3_S9_NS7_15normal_iteratorINS6_10device_ptrIsEEEENS6_16discard_iteratorINS6_11use_defaultEEEZNS1_13binary_searchIS3_S9_SE_SE_SH_NS1_16binary_search_opENS7_16wrapped_functionINS0_4lessIvEEbEEEE10hipError_tPvRmT1_T2_T3_mmT4_T5_P12ihipStream_tbEUlRKsE_EESO_SS_ST_mSU_SX_bEUlT_E_NS1_11comp_targetILNS1_3genE10ELNS1_11target_archE1201ELNS1_3gpuE5ELNS1_3repE0EEENS1_30default_config_static_selectorELNS0_4arch9wavefront6targetE1EEEvSR_
		.amdhsa_group_segment_fixed_size 0
		.amdhsa_private_segment_fixed_size 0
		.amdhsa_kernarg_size 64
		.amdhsa_user_sgpr_count 6
		.amdhsa_user_sgpr_private_segment_buffer 1
		.amdhsa_user_sgpr_dispatch_ptr 0
		.amdhsa_user_sgpr_queue_ptr 0
		.amdhsa_user_sgpr_kernarg_segment_ptr 1
		.amdhsa_user_sgpr_dispatch_id 0
		.amdhsa_user_sgpr_flat_scratch_init 0
		.amdhsa_user_sgpr_kernarg_preload_length 0
		.amdhsa_user_sgpr_kernarg_preload_offset 0
		.amdhsa_user_sgpr_private_segment_size 0
		.amdhsa_uses_dynamic_stack 0
		.amdhsa_system_sgpr_private_segment_wavefront_offset 0
		.amdhsa_system_sgpr_workgroup_id_x 1
		.amdhsa_system_sgpr_workgroup_id_y 0
		.amdhsa_system_sgpr_workgroup_id_z 0
		.amdhsa_system_sgpr_workgroup_info 0
		.amdhsa_system_vgpr_workitem_id 0
		.amdhsa_next_free_vgpr 1
		.amdhsa_next_free_sgpr 0
		.amdhsa_accum_offset 4
		.amdhsa_reserve_vcc 0
		.amdhsa_reserve_flat_scratch 0
		.amdhsa_float_round_mode_32 0
		.amdhsa_float_round_mode_16_64 0
		.amdhsa_float_denorm_mode_32 3
		.amdhsa_float_denorm_mode_16_64 3
		.amdhsa_dx10_clamp 1
		.amdhsa_ieee_mode 1
		.amdhsa_fp16_overflow 0
		.amdhsa_tg_split 0
		.amdhsa_exception_fp_ieee_invalid_op 0
		.amdhsa_exception_fp_denorm_src 0
		.amdhsa_exception_fp_ieee_div_zero 0
		.amdhsa_exception_fp_ieee_overflow 0
		.amdhsa_exception_fp_ieee_underflow 0
		.amdhsa_exception_fp_ieee_inexact 0
		.amdhsa_exception_int_div_zero 0
	.end_amdhsa_kernel
	.section	.text._ZN7rocprim17ROCPRIM_400000_NS6detail17trampoline_kernelINS0_14default_configENS1_29binary_search_config_selectorIsN6thrust23THRUST_200600_302600_NS6detail10any_assignEEEZNS1_14transform_implILb0ES3_S9_NS7_15normal_iteratorINS6_10device_ptrIsEEEENS6_16discard_iteratorINS6_11use_defaultEEEZNS1_13binary_searchIS3_S9_SE_SE_SH_NS1_16binary_search_opENS7_16wrapped_functionINS0_4lessIvEEbEEEE10hipError_tPvRmT1_T2_T3_mmT4_T5_P12ihipStream_tbEUlRKsE_EESO_SS_ST_mSU_SX_bEUlT_E_NS1_11comp_targetILNS1_3genE10ELNS1_11target_archE1201ELNS1_3gpuE5ELNS1_3repE0EEENS1_30default_config_static_selectorELNS0_4arch9wavefront6targetE1EEEvSR_,"axG",@progbits,_ZN7rocprim17ROCPRIM_400000_NS6detail17trampoline_kernelINS0_14default_configENS1_29binary_search_config_selectorIsN6thrust23THRUST_200600_302600_NS6detail10any_assignEEEZNS1_14transform_implILb0ES3_S9_NS7_15normal_iteratorINS6_10device_ptrIsEEEENS6_16discard_iteratorINS6_11use_defaultEEEZNS1_13binary_searchIS3_S9_SE_SE_SH_NS1_16binary_search_opENS7_16wrapped_functionINS0_4lessIvEEbEEEE10hipError_tPvRmT1_T2_T3_mmT4_T5_P12ihipStream_tbEUlRKsE_EESO_SS_ST_mSU_SX_bEUlT_E_NS1_11comp_targetILNS1_3genE10ELNS1_11target_archE1201ELNS1_3gpuE5ELNS1_3repE0EEENS1_30default_config_static_selectorELNS0_4arch9wavefront6targetE1EEEvSR_,comdat
.Lfunc_end623:
	.size	_ZN7rocprim17ROCPRIM_400000_NS6detail17trampoline_kernelINS0_14default_configENS1_29binary_search_config_selectorIsN6thrust23THRUST_200600_302600_NS6detail10any_assignEEEZNS1_14transform_implILb0ES3_S9_NS7_15normal_iteratorINS6_10device_ptrIsEEEENS6_16discard_iteratorINS6_11use_defaultEEEZNS1_13binary_searchIS3_S9_SE_SE_SH_NS1_16binary_search_opENS7_16wrapped_functionINS0_4lessIvEEbEEEE10hipError_tPvRmT1_T2_T3_mmT4_T5_P12ihipStream_tbEUlRKsE_EESO_SS_ST_mSU_SX_bEUlT_E_NS1_11comp_targetILNS1_3genE10ELNS1_11target_archE1201ELNS1_3gpuE5ELNS1_3repE0EEENS1_30default_config_static_selectorELNS0_4arch9wavefront6targetE1EEEvSR_, .Lfunc_end623-_ZN7rocprim17ROCPRIM_400000_NS6detail17trampoline_kernelINS0_14default_configENS1_29binary_search_config_selectorIsN6thrust23THRUST_200600_302600_NS6detail10any_assignEEEZNS1_14transform_implILb0ES3_S9_NS7_15normal_iteratorINS6_10device_ptrIsEEEENS6_16discard_iteratorINS6_11use_defaultEEEZNS1_13binary_searchIS3_S9_SE_SE_SH_NS1_16binary_search_opENS7_16wrapped_functionINS0_4lessIvEEbEEEE10hipError_tPvRmT1_T2_T3_mmT4_T5_P12ihipStream_tbEUlRKsE_EESO_SS_ST_mSU_SX_bEUlT_E_NS1_11comp_targetILNS1_3genE10ELNS1_11target_archE1201ELNS1_3gpuE5ELNS1_3repE0EEENS1_30default_config_static_selectorELNS0_4arch9wavefront6targetE1EEEvSR_
                                        ; -- End function
	.section	.AMDGPU.csdata,"",@progbits
; Kernel info:
; codeLenInByte = 0
; NumSgprs: 4
; NumVgprs: 0
; NumAgprs: 0
; TotalNumVgprs: 0
; ScratchSize: 0
; MemoryBound: 0
; FloatMode: 240
; IeeeMode: 1
; LDSByteSize: 0 bytes/workgroup (compile time only)
; SGPRBlocks: 0
; VGPRBlocks: 0
; NumSGPRsForWavesPerEU: 4
; NumVGPRsForWavesPerEU: 1
; AccumOffset: 4
; Occupancy: 8
; WaveLimiterHint : 0
; COMPUTE_PGM_RSRC2:SCRATCH_EN: 0
; COMPUTE_PGM_RSRC2:USER_SGPR: 6
; COMPUTE_PGM_RSRC2:TRAP_HANDLER: 0
; COMPUTE_PGM_RSRC2:TGID_X_EN: 1
; COMPUTE_PGM_RSRC2:TGID_Y_EN: 0
; COMPUTE_PGM_RSRC2:TGID_Z_EN: 0
; COMPUTE_PGM_RSRC2:TIDIG_COMP_CNT: 0
; COMPUTE_PGM_RSRC3_GFX90A:ACCUM_OFFSET: 0
; COMPUTE_PGM_RSRC3_GFX90A:TG_SPLIT: 0
	.section	.text._ZN7rocprim17ROCPRIM_400000_NS6detail17trampoline_kernelINS0_14default_configENS1_29binary_search_config_selectorIsN6thrust23THRUST_200600_302600_NS6detail10any_assignEEEZNS1_14transform_implILb0ES3_S9_NS7_15normal_iteratorINS6_10device_ptrIsEEEENS6_16discard_iteratorINS6_11use_defaultEEEZNS1_13binary_searchIS3_S9_SE_SE_SH_NS1_16binary_search_opENS7_16wrapped_functionINS0_4lessIvEEbEEEE10hipError_tPvRmT1_T2_T3_mmT4_T5_P12ihipStream_tbEUlRKsE_EESO_SS_ST_mSU_SX_bEUlT_E_NS1_11comp_targetILNS1_3genE10ELNS1_11target_archE1200ELNS1_3gpuE4ELNS1_3repE0EEENS1_30default_config_static_selectorELNS0_4arch9wavefront6targetE1EEEvSR_,"axG",@progbits,_ZN7rocprim17ROCPRIM_400000_NS6detail17trampoline_kernelINS0_14default_configENS1_29binary_search_config_selectorIsN6thrust23THRUST_200600_302600_NS6detail10any_assignEEEZNS1_14transform_implILb0ES3_S9_NS7_15normal_iteratorINS6_10device_ptrIsEEEENS6_16discard_iteratorINS6_11use_defaultEEEZNS1_13binary_searchIS3_S9_SE_SE_SH_NS1_16binary_search_opENS7_16wrapped_functionINS0_4lessIvEEbEEEE10hipError_tPvRmT1_T2_T3_mmT4_T5_P12ihipStream_tbEUlRKsE_EESO_SS_ST_mSU_SX_bEUlT_E_NS1_11comp_targetILNS1_3genE10ELNS1_11target_archE1200ELNS1_3gpuE4ELNS1_3repE0EEENS1_30default_config_static_selectorELNS0_4arch9wavefront6targetE1EEEvSR_,comdat
	.protected	_ZN7rocprim17ROCPRIM_400000_NS6detail17trampoline_kernelINS0_14default_configENS1_29binary_search_config_selectorIsN6thrust23THRUST_200600_302600_NS6detail10any_assignEEEZNS1_14transform_implILb0ES3_S9_NS7_15normal_iteratorINS6_10device_ptrIsEEEENS6_16discard_iteratorINS6_11use_defaultEEEZNS1_13binary_searchIS3_S9_SE_SE_SH_NS1_16binary_search_opENS7_16wrapped_functionINS0_4lessIvEEbEEEE10hipError_tPvRmT1_T2_T3_mmT4_T5_P12ihipStream_tbEUlRKsE_EESO_SS_ST_mSU_SX_bEUlT_E_NS1_11comp_targetILNS1_3genE10ELNS1_11target_archE1200ELNS1_3gpuE4ELNS1_3repE0EEENS1_30default_config_static_selectorELNS0_4arch9wavefront6targetE1EEEvSR_ ; -- Begin function _ZN7rocprim17ROCPRIM_400000_NS6detail17trampoline_kernelINS0_14default_configENS1_29binary_search_config_selectorIsN6thrust23THRUST_200600_302600_NS6detail10any_assignEEEZNS1_14transform_implILb0ES3_S9_NS7_15normal_iteratorINS6_10device_ptrIsEEEENS6_16discard_iteratorINS6_11use_defaultEEEZNS1_13binary_searchIS3_S9_SE_SE_SH_NS1_16binary_search_opENS7_16wrapped_functionINS0_4lessIvEEbEEEE10hipError_tPvRmT1_T2_T3_mmT4_T5_P12ihipStream_tbEUlRKsE_EESO_SS_ST_mSU_SX_bEUlT_E_NS1_11comp_targetILNS1_3genE10ELNS1_11target_archE1200ELNS1_3gpuE4ELNS1_3repE0EEENS1_30default_config_static_selectorELNS0_4arch9wavefront6targetE1EEEvSR_
	.globl	_ZN7rocprim17ROCPRIM_400000_NS6detail17trampoline_kernelINS0_14default_configENS1_29binary_search_config_selectorIsN6thrust23THRUST_200600_302600_NS6detail10any_assignEEEZNS1_14transform_implILb0ES3_S9_NS7_15normal_iteratorINS6_10device_ptrIsEEEENS6_16discard_iteratorINS6_11use_defaultEEEZNS1_13binary_searchIS3_S9_SE_SE_SH_NS1_16binary_search_opENS7_16wrapped_functionINS0_4lessIvEEbEEEE10hipError_tPvRmT1_T2_T3_mmT4_T5_P12ihipStream_tbEUlRKsE_EESO_SS_ST_mSU_SX_bEUlT_E_NS1_11comp_targetILNS1_3genE10ELNS1_11target_archE1200ELNS1_3gpuE4ELNS1_3repE0EEENS1_30default_config_static_selectorELNS0_4arch9wavefront6targetE1EEEvSR_
	.p2align	8
	.type	_ZN7rocprim17ROCPRIM_400000_NS6detail17trampoline_kernelINS0_14default_configENS1_29binary_search_config_selectorIsN6thrust23THRUST_200600_302600_NS6detail10any_assignEEEZNS1_14transform_implILb0ES3_S9_NS7_15normal_iteratorINS6_10device_ptrIsEEEENS6_16discard_iteratorINS6_11use_defaultEEEZNS1_13binary_searchIS3_S9_SE_SE_SH_NS1_16binary_search_opENS7_16wrapped_functionINS0_4lessIvEEbEEEE10hipError_tPvRmT1_T2_T3_mmT4_T5_P12ihipStream_tbEUlRKsE_EESO_SS_ST_mSU_SX_bEUlT_E_NS1_11comp_targetILNS1_3genE10ELNS1_11target_archE1200ELNS1_3gpuE4ELNS1_3repE0EEENS1_30default_config_static_selectorELNS0_4arch9wavefront6targetE1EEEvSR_,@function
_ZN7rocprim17ROCPRIM_400000_NS6detail17trampoline_kernelINS0_14default_configENS1_29binary_search_config_selectorIsN6thrust23THRUST_200600_302600_NS6detail10any_assignEEEZNS1_14transform_implILb0ES3_S9_NS7_15normal_iteratorINS6_10device_ptrIsEEEENS6_16discard_iteratorINS6_11use_defaultEEEZNS1_13binary_searchIS3_S9_SE_SE_SH_NS1_16binary_search_opENS7_16wrapped_functionINS0_4lessIvEEbEEEE10hipError_tPvRmT1_T2_T3_mmT4_T5_P12ihipStream_tbEUlRKsE_EESO_SS_ST_mSU_SX_bEUlT_E_NS1_11comp_targetILNS1_3genE10ELNS1_11target_archE1200ELNS1_3gpuE4ELNS1_3repE0EEENS1_30default_config_static_selectorELNS0_4arch9wavefront6targetE1EEEvSR_: ; @_ZN7rocprim17ROCPRIM_400000_NS6detail17trampoline_kernelINS0_14default_configENS1_29binary_search_config_selectorIsN6thrust23THRUST_200600_302600_NS6detail10any_assignEEEZNS1_14transform_implILb0ES3_S9_NS7_15normal_iteratorINS6_10device_ptrIsEEEENS6_16discard_iteratorINS6_11use_defaultEEEZNS1_13binary_searchIS3_S9_SE_SE_SH_NS1_16binary_search_opENS7_16wrapped_functionINS0_4lessIvEEbEEEE10hipError_tPvRmT1_T2_T3_mmT4_T5_P12ihipStream_tbEUlRKsE_EESO_SS_ST_mSU_SX_bEUlT_E_NS1_11comp_targetILNS1_3genE10ELNS1_11target_archE1200ELNS1_3gpuE4ELNS1_3repE0EEENS1_30default_config_static_selectorELNS0_4arch9wavefront6targetE1EEEvSR_
; %bb.0:
	.section	.rodata,"a",@progbits
	.p2align	6, 0x0
	.amdhsa_kernel _ZN7rocprim17ROCPRIM_400000_NS6detail17trampoline_kernelINS0_14default_configENS1_29binary_search_config_selectorIsN6thrust23THRUST_200600_302600_NS6detail10any_assignEEEZNS1_14transform_implILb0ES3_S9_NS7_15normal_iteratorINS6_10device_ptrIsEEEENS6_16discard_iteratorINS6_11use_defaultEEEZNS1_13binary_searchIS3_S9_SE_SE_SH_NS1_16binary_search_opENS7_16wrapped_functionINS0_4lessIvEEbEEEE10hipError_tPvRmT1_T2_T3_mmT4_T5_P12ihipStream_tbEUlRKsE_EESO_SS_ST_mSU_SX_bEUlT_E_NS1_11comp_targetILNS1_3genE10ELNS1_11target_archE1200ELNS1_3gpuE4ELNS1_3repE0EEENS1_30default_config_static_selectorELNS0_4arch9wavefront6targetE1EEEvSR_
		.amdhsa_group_segment_fixed_size 0
		.amdhsa_private_segment_fixed_size 0
		.amdhsa_kernarg_size 64
		.amdhsa_user_sgpr_count 6
		.amdhsa_user_sgpr_private_segment_buffer 1
		.amdhsa_user_sgpr_dispatch_ptr 0
		.amdhsa_user_sgpr_queue_ptr 0
		.amdhsa_user_sgpr_kernarg_segment_ptr 1
		.amdhsa_user_sgpr_dispatch_id 0
		.amdhsa_user_sgpr_flat_scratch_init 0
		.amdhsa_user_sgpr_kernarg_preload_length 0
		.amdhsa_user_sgpr_kernarg_preload_offset 0
		.amdhsa_user_sgpr_private_segment_size 0
		.amdhsa_uses_dynamic_stack 0
		.amdhsa_system_sgpr_private_segment_wavefront_offset 0
		.amdhsa_system_sgpr_workgroup_id_x 1
		.amdhsa_system_sgpr_workgroup_id_y 0
		.amdhsa_system_sgpr_workgroup_id_z 0
		.amdhsa_system_sgpr_workgroup_info 0
		.amdhsa_system_vgpr_workitem_id 0
		.amdhsa_next_free_vgpr 1
		.amdhsa_next_free_sgpr 0
		.amdhsa_accum_offset 4
		.amdhsa_reserve_vcc 0
		.amdhsa_reserve_flat_scratch 0
		.amdhsa_float_round_mode_32 0
		.amdhsa_float_round_mode_16_64 0
		.amdhsa_float_denorm_mode_32 3
		.amdhsa_float_denorm_mode_16_64 3
		.amdhsa_dx10_clamp 1
		.amdhsa_ieee_mode 1
		.amdhsa_fp16_overflow 0
		.amdhsa_tg_split 0
		.amdhsa_exception_fp_ieee_invalid_op 0
		.amdhsa_exception_fp_denorm_src 0
		.amdhsa_exception_fp_ieee_div_zero 0
		.amdhsa_exception_fp_ieee_overflow 0
		.amdhsa_exception_fp_ieee_underflow 0
		.amdhsa_exception_fp_ieee_inexact 0
		.amdhsa_exception_int_div_zero 0
	.end_amdhsa_kernel
	.section	.text._ZN7rocprim17ROCPRIM_400000_NS6detail17trampoline_kernelINS0_14default_configENS1_29binary_search_config_selectorIsN6thrust23THRUST_200600_302600_NS6detail10any_assignEEEZNS1_14transform_implILb0ES3_S9_NS7_15normal_iteratorINS6_10device_ptrIsEEEENS6_16discard_iteratorINS6_11use_defaultEEEZNS1_13binary_searchIS3_S9_SE_SE_SH_NS1_16binary_search_opENS7_16wrapped_functionINS0_4lessIvEEbEEEE10hipError_tPvRmT1_T2_T3_mmT4_T5_P12ihipStream_tbEUlRKsE_EESO_SS_ST_mSU_SX_bEUlT_E_NS1_11comp_targetILNS1_3genE10ELNS1_11target_archE1200ELNS1_3gpuE4ELNS1_3repE0EEENS1_30default_config_static_selectorELNS0_4arch9wavefront6targetE1EEEvSR_,"axG",@progbits,_ZN7rocprim17ROCPRIM_400000_NS6detail17trampoline_kernelINS0_14default_configENS1_29binary_search_config_selectorIsN6thrust23THRUST_200600_302600_NS6detail10any_assignEEEZNS1_14transform_implILb0ES3_S9_NS7_15normal_iteratorINS6_10device_ptrIsEEEENS6_16discard_iteratorINS6_11use_defaultEEEZNS1_13binary_searchIS3_S9_SE_SE_SH_NS1_16binary_search_opENS7_16wrapped_functionINS0_4lessIvEEbEEEE10hipError_tPvRmT1_T2_T3_mmT4_T5_P12ihipStream_tbEUlRKsE_EESO_SS_ST_mSU_SX_bEUlT_E_NS1_11comp_targetILNS1_3genE10ELNS1_11target_archE1200ELNS1_3gpuE4ELNS1_3repE0EEENS1_30default_config_static_selectorELNS0_4arch9wavefront6targetE1EEEvSR_,comdat
.Lfunc_end624:
	.size	_ZN7rocprim17ROCPRIM_400000_NS6detail17trampoline_kernelINS0_14default_configENS1_29binary_search_config_selectorIsN6thrust23THRUST_200600_302600_NS6detail10any_assignEEEZNS1_14transform_implILb0ES3_S9_NS7_15normal_iteratorINS6_10device_ptrIsEEEENS6_16discard_iteratorINS6_11use_defaultEEEZNS1_13binary_searchIS3_S9_SE_SE_SH_NS1_16binary_search_opENS7_16wrapped_functionINS0_4lessIvEEbEEEE10hipError_tPvRmT1_T2_T3_mmT4_T5_P12ihipStream_tbEUlRKsE_EESO_SS_ST_mSU_SX_bEUlT_E_NS1_11comp_targetILNS1_3genE10ELNS1_11target_archE1200ELNS1_3gpuE4ELNS1_3repE0EEENS1_30default_config_static_selectorELNS0_4arch9wavefront6targetE1EEEvSR_, .Lfunc_end624-_ZN7rocprim17ROCPRIM_400000_NS6detail17trampoline_kernelINS0_14default_configENS1_29binary_search_config_selectorIsN6thrust23THRUST_200600_302600_NS6detail10any_assignEEEZNS1_14transform_implILb0ES3_S9_NS7_15normal_iteratorINS6_10device_ptrIsEEEENS6_16discard_iteratorINS6_11use_defaultEEEZNS1_13binary_searchIS3_S9_SE_SE_SH_NS1_16binary_search_opENS7_16wrapped_functionINS0_4lessIvEEbEEEE10hipError_tPvRmT1_T2_T3_mmT4_T5_P12ihipStream_tbEUlRKsE_EESO_SS_ST_mSU_SX_bEUlT_E_NS1_11comp_targetILNS1_3genE10ELNS1_11target_archE1200ELNS1_3gpuE4ELNS1_3repE0EEENS1_30default_config_static_selectorELNS0_4arch9wavefront6targetE1EEEvSR_
                                        ; -- End function
	.section	.AMDGPU.csdata,"",@progbits
; Kernel info:
; codeLenInByte = 0
; NumSgprs: 4
; NumVgprs: 0
; NumAgprs: 0
; TotalNumVgprs: 0
; ScratchSize: 0
; MemoryBound: 0
; FloatMode: 240
; IeeeMode: 1
; LDSByteSize: 0 bytes/workgroup (compile time only)
; SGPRBlocks: 0
; VGPRBlocks: 0
; NumSGPRsForWavesPerEU: 4
; NumVGPRsForWavesPerEU: 1
; AccumOffset: 4
; Occupancy: 8
; WaveLimiterHint : 0
; COMPUTE_PGM_RSRC2:SCRATCH_EN: 0
; COMPUTE_PGM_RSRC2:USER_SGPR: 6
; COMPUTE_PGM_RSRC2:TRAP_HANDLER: 0
; COMPUTE_PGM_RSRC2:TGID_X_EN: 1
; COMPUTE_PGM_RSRC2:TGID_Y_EN: 0
; COMPUTE_PGM_RSRC2:TGID_Z_EN: 0
; COMPUTE_PGM_RSRC2:TIDIG_COMP_CNT: 0
; COMPUTE_PGM_RSRC3_GFX90A:ACCUM_OFFSET: 0
; COMPUTE_PGM_RSRC3_GFX90A:TG_SPLIT: 0
	.section	.text._ZN7rocprim17ROCPRIM_400000_NS6detail17trampoline_kernelINS0_14default_configENS1_29binary_search_config_selectorIsN6thrust23THRUST_200600_302600_NS6detail10any_assignEEEZNS1_14transform_implILb0ES3_S9_NS7_15normal_iteratorINS6_10device_ptrIsEEEENS6_16discard_iteratorINS6_11use_defaultEEEZNS1_13binary_searchIS3_S9_SE_SE_SH_NS1_16binary_search_opENS7_16wrapped_functionINS0_4lessIvEEbEEEE10hipError_tPvRmT1_T2_T3_mmT4_T5_P12ihipStream_tbEUlRKsE_EESO_SS_ST_mSU_SX_bEUlT_E_NS1_11comp_targetILNS1_3genE9ELNS1_11target_archE1100ELNS1_3gpuE3ELNS1_3repE0EEENS1_30default_config_static_selectorELNS0_4arch9wavefront6targetE1EEEvSR_,"axG",@progbits,_ZN7rocprim17ROCPRIM_400000_NS6detail17trampoline_kernelINS0_14default_configENS1_29binary_search_config_selectorIsN6thrust23THRUST_200600_302600_NS6detail10any_assignEEEZNS1_14transform_implILb0ES3_S9_NS7_15normal_iteratorINS6_10device_ptrIsEEEENS6_16discard_iteratorINS6_11use_defaultEEEZNS1_13binary_searchIS3_S9_SE_SE_SH_NS1_16binary_search_opENS7_16wrapped_functionINS0_4lessIvEEbEEEE10hipError_tPvRmT1_T2_T3_mmT4_T5_P12ihipStream_tbEUlRKsE_EESO_SS_ST_mSU_SX_bEUlT_E_NS1_11comp_targetILNS1_3genE9ELNS1_11target_archE1100ELNS1_3gpuE3ELNS1_3repE0EEENS1_30default_config_static_selectorELNS0_4arch9wavefront6targetE1EEEvSR_,comdat
	.protected	_ZN7rocprim17ROCPRIM_400000_NS6detail17trampoline_kernelINS0_14default_configENS1_29binary_search_config_selectorIsN6thrust23THRUST_200600_302600_NS6detail10any_assignEEEZNS1_14transform_implILb0ES3_S9_NS7_15normal_iteratorINS6_10device_ptrIsEEEENS6_16discard_iteratorINS6_11use_defaultEEEZNS1_13binary_searchIS3_S9_SE_SE_SH_NS1_16binary_search_opENS7_16wrapped_functionINS0_4lessIvEEbEEEE10hipError_tPvRmT1_T2_T3_mmT4_T5_P12ihipStream_tbEUlRKsE_EESO_SS_ST_mSU_SX_bEUlT_E_NS1_11comp_targetILNS1_3genE9ELNS1_11target_archE1100ELNS1_3gpuE3ELNS1_3repE0EEENS1_30default_config_static_selectorELNS0_4arch9wavefront6targetE1EEEvSR_ ; -- Begin function _ZN7rocprim17ROCPRIM_400000_NS6detail17trampoline_kernelINS0_14default_configENS1_29binary_search_config_selectorIsN6thrust23THRUST_200600_302600_NS6detail10any_assignEEEZNS1_14transform_implILb0ES3_S9_NS7_15normal_iteratorINS6_10device_ptrIsEEEENS6_16discard_iteratorINS6_11use_defaultEEEZNS1_13binary_searchIS3_S9_SE_SE_SH_NS1_16binary_search_opENS7_16wrapped_functionINS0_4lessIvEEbEEEE10hipError_tPvRmT1_T2_T3_mmT4_T5_P12ihipStream_tbEUlRKsE_EESO_SS_ST_mSU_SX_bEUlT_E_NS1_11comp_targetILNS1_3genE9ELNS1_11target_archE1100ELNS1_3gpuE3ELNS1_3repE0EEENS1_30default_config_static_selectorELNS0_4arch9wavefront6targetE1EEEvSR_
	.globl	_ZN7rocprim17ROCPRIM_400000_NS6detail17trampoline_kernelINS0_14default_configENS1_29binary_search_config_selectorIsN6thrust23THRUST_200600_302600_NS6detail10any_assignEEEZNS1_14transform_implILb0ES3_S9_NS7_15normal_iteratorINS6_10device_ptrIsEEEENS6_16discard_iteratorINS6_11use_defaultEEEZNS1_13binary_searchIS3_S9_SE_SE_SH_NS1_16binary_search_opENS7_16wrapped_functionINS0_4lessIvEEbEEEE10hipError_tPvRmT1_T2_T3_mmT4_T5_P12ihipStream_tbEUlRKsE_EESO_SS_ST_mSU_SX_bEUlT_E_NS1_11comp_targetILNS1_3genE9ELNS1_11target_archE1100ELNS1_3gpuE3ELNS1_3repE0EEENS1_30default_config_static_selectorELNS0_4arch9wavefront6targetE1EEEvSR_
	.p2align	8
	.type	_ZN7rocprim17ROCPRIM_400000_NS6detail17trampoline_kernelINS0_14default_configENS1_29binary_search_config_selectorIsN6thrust23THRUST_200600_302600_NS6detail10any_assignEEEZNS1_14transform_implILb0ES3_S9_NS7_15normal_iteratorINS6_10device_ptrIsEEEENS6_16discard_iteratorINS6_11use_defaultEEEZNS1_13binary_searchIS3_S9_SE_SE_SH_NS1_16binary_search_opENS7_16wrapped_functionINS0_4lessIvEEbEEEE10hipError_tPvRmT1_T2_T3_mmT4_T5_P12ihipStream_tbEUlRKsE_EESO_SS_ST_mSU_SX_bEUlT_E_NS1_11comp_targetILNS1_3genE9ELNS1_11target_archE1100ELNS1_3gpuE3ELNS1_3repE0EEENS1_30default_config_static_selectorELNS0_4arch9wavefront6targetE1EEEvSR_,@function
_ZN7rocprim17ROCPRIM_400000_NS6detail17trampoline_kernelINS0_14default_configENS1_29binary_search_config_selectorIsN6thrust23THRUST_200600_302600_NS6detail10any_assignEEEZNS1_14transform_implILb0ES3_S9_NS7_15normal_iteratorINS6_10device_ptrIsEEEENS6_16discard_iteratorINS6_11use_defaultEEEZNS1_13binary_searchIS3_S9_SE_SE_SH_NS1_16binary_search_opENS7_16wrapped_functionINS0_4lessIvEEbEEEE10hipError_tPvRmT1_T2_T3_mmT4_T5_P12ihipStream_tbEUlRKsE_EESO_SS_ST_mSU_SX_bEUlT_E_NS1_11comp_targetILNS1_3genE9ELNS1_11target_archE1100ELNS1_3gpuE3ELNS1_3repE0EEENS1_30default_config_static_selectorELNS0_4arch9wavefront6targetE1EEEvSR_: ; @_ZN7rocprim17ROCPRIM_400000_NS6detail17trampoline_kernelINS0_14default_configENS1_29binary_search_config_selectorIsN6thrust23THRUST_200600_302600_NS6detail10any_assignEEEZNS1_14transform_implILb0ES3_S9_NS7_15normal_iteratorINS6_10device_ptrIsEEEENS6_16discard_iteratorINS6_11use_defaultEEEZNS1_13binary_searchIS3_S9_SE_SE_SH_NS1_16binary_search_opENS7_16wrapped_functionINS0_4lessIvEEbEEEE10hipError_tPvRmT1_T2_T3_mmT4_T5_P12ihipStream_tbEUlRKsE_EESO_SS_ST_mSU_SX_bEUlT_E_NS1_11comp_targetILNS1_3genE9ELNS1_11target_archE1100ELNS1_3gpuE3ELNS1_3repE0EEENS1_30default_config_static_selectorELNS0_4arch9wavefront6targetE1EEEvSR_
; %bb.0:
	.section	.rodata,"a",@progbits
	.p2align	6, 0x0
	.amdhsa_kernel _ZN7rocprim17ROCPRIM_400000_NS6detail17trampoline_kernelINS0_14default_configENS1_29binary_search_config_selectorIsN6thrust23THRUST_200600_302600_NS6detail10any_assignEEEZNS1_14transform_implILb0ES3_S9_NS7_15normal_iteratorINS6_10device_ptrIsEEEENS6_16discard_iteratorINS6_11use_defaultEEEZNS1_13binary_searchIS3_S9_SE_SE_SH_NS1_16binary_search_opENS7_16wrapped_functionINS0_4lessIvEEbEEEE10hipError_tPvRmT1_T2_T3_mmT4_T5_P12ihipStream_tbEUlRKsE_EESO_SS_ST_mSU_SX_bEUlT_E_NS1_11comp_targetILNS1_3genE9ELNS1_11target_archE1100ELNS1_3gpuE3ELNS1_3repE0EEENS1_30default_config_static_selectorELNS0_4arch9wavefront6targetE1EEEvSR_
		.amdhsa_group_segment_fixed_size 0
		.amdhsa_private_segment_fixed_size 0
		.amdhsa_kernarg_size 64
		.amdhsa_user_sgpr_count 6
		.amdhsa_user_sgpr_private_segment_buffer 1
		.amdhsa_user_sgpr_dispatch_ptr 0
		.amdhsa_user_sgpr_queue_ptr 0
		.amdhsa_user_sgpr_kernarg_segment_ptr 1
		.amdhsa_user_sgpr_dispatch_id 0
		.amdhsa_user_sgpr_flat_scratch_init 0
		.amdhsa_user_sgpr_kernarg_preload_length 0
		.amdhsa_user_sgpr_kernarg_preload_offset 0
		.amdhsa_user_sgpr_private_segment_size 0
		.amdhsa_uses_dynamic_stack 0
		.amdhsa_system_sgpr_private_segment_wavefront_offset 0
		.amdhsa_system_sgpr_workgroup_id_x 1
		.amdhsa_system_sgpr_workgroup_id_y 0
		.amdhsa_system_sgpr_workgroup_id_z 0
		.amdhsa_system_sgpr_workgroup_info 0
		.amdhsa_system_vgpr_workitem_id 0
		.amdhsa_next_free_vgpr 1
		.amdhsa_next_free_sgpr 0
		.amdhsa_accum_offset 4
		.amdhsa_reserve_vcc 0
		.amdhsa_reserve_flat_scratch 0
		.amdhsa_float_round_mode_32 0
		.amdhsa_float_round_mode_16_64 0
		.amdhsa_float_denorm_mode_32 3
		.amdhsa_float_denorm_mode_16_64 3
		.amdhsa_dx10_clamp 1
		.amdhsa_ieee_mode 1
		.amdhsa_fp16_overflow 0
		.amdhsa_tg_split 0
		.amdhsa_exception_fp_ieee_invalid_op 0
		.amdhsa_exception_fp_denorm_src 0
		.amdhsa_exception_fp_ieee_div_zero 0
		.amdhsa_exception_fp_ieee_overflow 0
		.amdhsa_exception_fp_ieee_underflow 0
		.amdhsa_exception_fp_ieee_inexact 0
		.amdhsa_exception_int_div_zero 0
	.end_amdhsa_kernel
	.section	.text._ZN7rocprim17ROCPRIM_400000_NS6detail17trampoline_kernelINS0_14default_configENS1_29binary_search_config_selectorIsN6thrust23THRUST_200600_302600_NS6detail10any_assignEEEZNS1_14transform_implILb0ES3_S9_NS7_15normal_iteratorINS6_10device_ptrIsEEEENS6_16discard_iteratorINS6_11use_defaultEEEZNS1_13binary_searchIS3_S9_SE_SE_SH_NS1_16binary_search_opENS7_16wrapped_functionINS0_4lessIvEEbEEEE10hipError_tPvRmT1_T2_T3_mmT4_T5_P12ihipStream_tbEUlRKsE_EESO_SS_ST_mSU_SX_bEUlT_E_NS1_11comp_targetILNS1_3genE9ELNS1_11target_archE1100ELNS1_3gpuE3ELNS1_3repE0EEENS1_30default_config_static_selectorELNS0_4arch9wavefront6targetE1EEEvSR_,"axG",@progbits,_ZN7rocprim17ROCPRIM_400000_NS6detail17trampoline_kernelINS0_14default_configENS1_29binary_search_config_selectorIsN6thrust23THRUST_200600_302600_NS6detail10any_assignEEEZNS1_14transform_implILb0ES3_S9_NS7_15normal_iteratorINS6_10device_ptrIsEEEENS6_16discard_iteratorINS6_11use_defaultEEEZNS1_13binary_searchIS3_S9_SE_SE_SH_NS1_16binary_search_opENS7_16wrapped_functionINS0_4lessIvEEbEEEE10hipError_tPvRmT1_T2_T3_mmT4_T5_P12ihipStream_tbEUlRKsE_EESO_SS_ST_mSU_SX_bEUlT_E_NS1_11comp_targetILNS1_3genE9ELNS1_11target_archE1100ELNS1_3gpuE3ELNS1_3repE0EEENS1_30default_config_static_selectorELNS0_4arch9wavefront6targetE1EEEvSR_,comdat
.Lfunc_end625:
	.size	_ZN7rocprim17ROCPRIM_400000_NS6detail17trampoline_kernelINS0_14default_configENS1_29binary_search_config_selectorIsN6thrust23THRUST_200600_302600_NS6detail10any_assignEEEZNS1_14transform_implILb0ES3_S9_NS7_15normal_iteratorINS6_10device_ptrIsEEEENS6_16discard_iteratorINS6_11use_defaultEEEZNS1_13binary_searchIS3_S9_SE_SE_SH_NS1_16binary_search_opENS7_16wrapped_functionINS0_4lessIvEEbEEEE10hipError_tPvRmT1_T2_T3_mmT4_T5_P12ihipStream_tbEUlRKsE_EESO_SS_ST_mSU_SX_bEUlT_E_NS1_11comp_targetILNS1_3genE9ELNS1_11target_archE1100ELNS1_3gpuE3ELNS1_3repE0EEENS1_30default_config_static_selectorELNS0_4arch9wavefront6targetE1EEEvSR_, .Lfunc_end625-_ZN7rocprim17ROCPRIM_400000_NS6detail17trampoline_kernelINS0_14default_configENS1_29binary_search_config_selectorIsN6thrust23THRUST_200600_302600_NS6detail10any_assignEEEZNS1_14transform_implILb0ES3_S9_NS7_15normal_iteratorINS6_10device_ptrIsEEEENS6_16discard_iteratorINS6_11use_defaultEEEZNS1_13binary_searchIS3_S9_SE_SE_SH_NS1_16binary_search_opENS7_16wrapped_functionINS0_4lessIvEEbEEEE10hipError_tPvRmT1_T2_T3_mmT4_T5_P12ihipStream_tbEUlRKsE_EESO_SS_ST_mSU_SX_bEUlT_E_NS1_11comp_targetILNS1_3genE9ELNS1_11target_archE1100ELNS1_3gpuE3ELNS1_3repE0EEENS1_30default_config_static_selectorELNS0_4arch9wavefront6targetE1EEEvSR_
                                        ; -- End function
	.section	.AMDGPU.csdata,"",@progbits
; Kernel info:
; codeLenInByte = 0
; NumSgprs: 4
; NumVgprs: 0
; NumAgprs: 0
; TotalNumVgprs: 0
; ScratchSize: 0
; MemoryBound: 0
; FloatMode: 240
; IeeeMode: 1
; LDSByteSize: 0 bytes/workgroup (compile time only)
; SGPRBlocks: 0
; VGPRBlocks: 0
; NumSGPRsForWavesPerEU: 4
; NumVGPRsForWavesPerEU: 1
; AccumOffset: 4
; Occupancy: 8
; WaveLimiterHint : 0
; COMPUTE_PGM_RSRC2:SCRATCH_EN: 0
; COMPUTE_PGM_RSRC2:USER_SGPR: 6
; COMPUTE_PGM_RSRC2:TRAP_HANDLER: 0
; COMPUTE_PGM_RSRC2:TGID_X_EN: 1
; COMPUTE_PGM_RSRC2:TGID_Y_EN: 0
; COMPUTE_PGM_RSRC2:TGID_Z_EN: 0
; COMPUTE_PGM_RSRC2:TIDIG_COMP_CNT: 0
; COMPUTE_PGM_RSRC3_GFX90A:ACCUM_OFFSET: 0
; COMPUTE_PGM_RSRC3_GFX90A:TG_SPLIT: 0
	.section	.text._ZN7rocprim17ROCPRIM_400000_NS6detail17trampoline_kernelINS0_14default_configENS1_29binary_search_config_selectorIsN6thrust23THRUST_200600_302600_NS6detail10any_assignEEEZNS1_14transform_implILb0ES3_S9_NS7_15normal_iteratorINS6_10device_ptrIsEEEENS6_16discard_iteratorINS6_11use_defaultEEEZNS1_13binary_searchIS3_S9_SE_SE_SH_NS1_16binary_search_opENS7_16wrapped_functionINS0_4lessIvEEbEEEE10hipError_tPvRmT1_T2_T3_mmT4_T5_P12ihipStream_tbEUlRKsE_EESO_SS_ST_mSU_SX_bEUlT_E_NS1_11comp_targetILNS1_3genE8ELNS1_11target_archE1030ELNS1_3gpuE2ELNS1_3repE0EEENS1_30default_config_static_selectorELNS0_4arch9wavefront6targetE1EEEvSR_,"axG",@progbits,_ZN7rocprim17ROCPRIM_400000_NS6detail17trampoline_kernelINS0_14default_configENS1_29binary_search_config_selectorIsN6thrust23THRUST_200600_302600_NS6detail10any_assignEEEZNS1_14transform_implILb0ES3_S9_NS7_15normal_iteratorINS6_10device_ptrIsEEEENS6_16discard_iteratorINS6_11use_defaultEEEZNS1_13binary_searchIS3_S9_SE_SE_SH_NS1_16binary_search_opENS7_16wrapped_functionINS0_4lessIvEEbEEEE10hipError_tPvRmT1_T2_T3_mmT4_T5_P12ihipStream_tbEUlRKsE_EESO_SS_ST_mSU_SX_bEUlT_E_NS1_11comp_targetILNS1_3genE8ELNS1_11target_archE1030ELNS1_3gpuE2ELNS1_3repE0EEENS1_30default_config_static_selectorELNS0_4arch9wavefront6targetE1EEEvSR_,comdat
	.protected	_ZN7rocprim17ROCPRIM_400000_NS6detail17trampoline_kernelINS0_14default_configENS1_29binary_search_config_selectorIsN6thrust23THRUST_200600_302600_NS6detail10any_assignEEEZNS1_14transform_implILb0ES3_S9_NS7_15normal_iteratorINS6_10device_ptrIsEEEENS6_16discard_iteratorINS6_11use_defaultEEEZNS1_13binary_searchIS3_S9_SE_SE_SH_NS1_16binary_search_opENS7_16wrapped_functionINS0_4lessIvEEbEEEE10hipError_tPvRmT1_T2_T3_mmT4_T5_P12ihipStream_tbEUlRKsE_EESO_SS_ST_mSU_SX_bEUlT_E_NS1_11comp_targetILNS1_3genE8ELNS1_11target_archE1030ELNS1_3gpuE2ELNS1_3repE0EEENS1_30default_config_static_selectorELNS0_4arch9wavefront6targetE1EEEvSR_ ; -- Begin function _ZN7rocprim17ROCPRIM_400000_NS6detail17trampoline_kernelINS0_14default_configENS1_29binary_search_config_selectorIsN6thrust23THRUST_200600_302600_NS6detail10any_assignEEEZNS1_14transform_implILb0ES3_S9_NS7_15normal_iteratorINS6_10device_ptrIsEEEENS6_16discard_iteratorINS6_11use_defaultEEEZNS1_13binary_searchIS3_S9_SE_SE_SH_NS1_16binary_search_opENS7_16wrapped_functionINS0_4lessIvEEbEEEE10hipError_tPvRmT1_T2_T3_mmT4_T5_P12ihipStream_tbEUlRKsE_EESO_SS_ST_mSU_SX_bEUlT_E_NS1_11comp_targetILNS1_3genE8ELNS1_11target_archE1030ELNS1_3gpuE2ELNS1_3repE0EEENS1_30default_config_static_selectorELNS0_4arch9wavefront6targetE1EEEvSR_
	.globl	_ZN7rocprim17ROCPRIM_400000_NS6detail17trampoline_kernelINS0_14default_configENS1_29binary_search_config_selectorIsN6thrust23THRUST_200600_302600_NS6detail10any_assignEEEZNS1_14transform_implILb0ES3_S9_NS7_15normal_iteratorINS6_10device_ptrIsEEEENS6_16discard_iteratorINS6_11use_defaultEEEZNS1_13binary_searchIS3_S9_SE_SE_SH_NS1_16binary_search_opENS7_16wrapped_functionINS0_4lessIvEEbEEEE10hipError_tPvRmT1_T2_T3_mmT4_T5_P12ihipStream_tbEUlRKsE_EESO_SS_ST_mSU_SX_bEUlT_E_NS1_11comp_targetILNS1_3genE8ELNS1_11target_archE1030ELNS1_3gpuE2ELNS1_3repE0EEENS1_30default_config_static_selectorELNS0_4arch9wavefront6targetE1EEEvSR_
	.p2align	8
	.type	_ZN7rocprim17ROCPRIM_400000_NS6detail17trampoline_kernelINS0_14default_configENS1_29binary_search_config_selectorIsN6thrust23THRUST_200600_302600_NS6detail10any_assignEEEZNS1_14transform_implILb0ES3_S9_NS7_15normal_iteratorINS6_10device_ptrIsEEEENS6_16discard_iteratorINS6_11use_defaultEEEZNS1_13binary_searchIS3_S9_SE_SE_SH_NS1_16binary_search_opENS7_16wrapped_functionINS0_4lessIvEEbEEEE10hipError_tPvRmT1_T2_T3_mmT4_T5_P12ihipStream_tbEUlRKsE_EESO_SS_ST_mSU_SX_bEUlT_E_NS1_11comp_targetILNS1_3genE8ELNS1_11target_archE1030ELNS1_3gpuE2ELNS1_3repE0EEENS1_30default_config_static_selectorELNS0_4arch9wavefront6targetE1EEEvSR_,@function
_ZN7rocprim17ROCPRIM_400000_NS6detail17trampoline_kernelINS0_14default_configENS1_29binary_search_config_selectorIsN6thrust23THRUST_200600_302600_NS6detail10any_assignEEEZNS1_14transform_implILb0ES3_S9_NS7_15normal_iteratorINS6_10device_ptrIsEEEENS6_16discard_iteratorINS6_11use_defaultEEEZNS1_13binary_searchIS3_S9_SE_SE_SH_NS1_16binary_search_opENS7_16wrapped_functionINS0_4lessIvEEbEEEE10hipError_tPvRmT1_T2_T3_mmT4_T5_P12ihipStream_tbEUlRKsE_EESO_SS_ST_mSU_SX_bEUlT_E_NS1_11comp_targetILNS1_3genE8ELNS1_11target_archE1030ELNS1_3gpuE2ELNS1_3repE0EEENS1_30default_config_static_selectorELNS0_4arch9wavefront6targetE1EEEvSR_: ; @_ZN7rocprim17ROCPRIM_400000_NS6detail17trampoline_kernelINS0_14default_configENS1_29binary_search_config_selectorIsN6thrust23THRUST_200600_302600_NS6detail10any_assignEEEZNS1_14transform_implILb0ES3_S9_NS7_15normal_iteratorINS6_10device_ptrIsEEEENS6_16discard_iteratorINS6_11use_defaultEEEZNS1_13binary_searchIS3_S9_SE_SE_SH_NS1_16binary_search_opENS7_16wrapped_functionINS0_4lessIvEEbEEEE10hipError_tPvRmT1_T2_T3_mmT4_T5_P12ihipStream_tbEUlRKsE_EESO_SS_ST_mSU_SX_bEUlT_E_NS1_11comp_targetILNS1_3genE8ELNS1_11target_archE1030ELNS1_3gpuE2ELNS1_3repE0EEENS1_30default_config_static_selectorELNS0_4arch9wavefront6targetE1EEEvSR_
; %bb.0:
	.section	.rodata,"a",@progbits
	.p2align	6, 0x0
	.amdhsa_kernel _ZN7rocprim17ROCPRIM_400000_NS6detail17trampoline_kernelINS0_14default_configENS1_29binary_search_config_selectorIsN6thrust23THRUST_200600_302600_NS6detail10any_assignEEEZNS1_14transform_implILb0ES3_S9_NS7_15normal_iteratorINS6_10device_ptrIsEEEENS6_16discard_iteratorINS6_11use_defaultEEEZNS1_13binary_searchIS3_S9_SE_SE_SH_NS1_16binary_search_opENS7_16wrapped_functionINS0_4lessIvEEbEEEE10hipError_tPvRmT1_T2_T3_mmT4_T5_P12ihipStream_tbEUlRKsE_EESO_SS_ST_mSU_SX_bEUlT_E_NS1_11comp_targetILNS1_3genE8ELNS1_11target_archE1030ELNS1_3gpuE2ELNS1_3repE0EEENS1_30default_config_static_selectorELNS0_4arch9wavefront6targetE1EEEvSR_
		.amdhsa_group_segment_fixed_size 0
		.amdhsa_private_segment_fixed_size 0
		.amdhsa_kernarg_size 64
		.amdhsa_user_sgpr_count 6
		.amdhsa_user_sgpr_private_segment_buffer 1
		.amdhsa_user_sgpr_dispatch_ptr 0
		.amdhsa_user_sgpr_queue_ptr 0
		.amdhsa_user_sgpr_kernarg_segment_ptr 1
		.amdhsa_user_sgpr_dispatch_id 0
		.amdhsa_user_sgpr_flat_scratch_init 0
		.amdhsa_user_sgpr_kernarg_preload_length 0
		.amdhsa_user_sgpr_kernarg_preload_offset 0
		.amdhsa_user_sgpr_private_segment_size 0
		.amdhsa_uses_dynamic_stack 0
		.amdhsa_system_sgpr_private_segment_wavefront_offset 0
		.amdhsa_system_sgpr_workgroup_id_x 1
		.amdhsa_system_sgpr_workgroup_id_y 0
		.amdhsa_system_sgpr_workgroup_id_z 0
		.amdhsa_system_sgpr_workgroup_info 0
		.amdhsa_system_vgpr_workitem_id 0
		.amdhsa_next_free_vgpr 1
		.amdhsa_next_free_sgpr 0
		.amdhsa_accum_offset 4
		.amdhsa_reserve_vcc 0
		.amdhsa_reserve_flat_scratch 0
		.amdhsa_float_round_mode_32 0
		.amdhsa_float_round_mode_16_64 0
		.amdhsa_float_denorm_mode_32 3
		.amdhsa_float_denorm_mode_16_64 3
		.amdhsa_dx10_clamp 1
		.amdhsa_ieee_mode 1
		.amdhsa_fp16_overflow 0
		.amdhsa_tg_split 0
		.amdhsa_exception_fp_ieee_invalid_op 0
		.amdhsa_exception_fp_denorm_src 0
		.amdhsa_exception_fp_ieee_div_zero 0
		.amdhsa_exception_fp_ieee_overflow 0
		.amdhsa_exception_fp_ieee_underflow 0
		.amdhsa_exception_fp_ieee_inexact 0
		.amdhsa_exception_int_div_zero 0
	.end_amdhsa_kernel
	.section	.text._ZN7rocprim17ROCPRIM_400000_NS6detail17trampoline_kernelINS0_14default_configENS1_29binary_search_config_selectorIsN6thrust23THRUST_200600_302600_NS6detail10any_assignEEEZNS1_14transform_implILb0ES3_S9_NS7_15normal_iteratorINS6_10device_ptrIsEEEENS6_16discard_iteratorINS6_11use_defaultEEEZNS1_13binary_searchIS3_S9_SE_SE_SH_NS1_16binary_search_opENS7_16wrapped_functionINS0_4lessIvEEbEEEE10hipError_tPvRmT1_T2_T3_mmT4_T5_P12ihipStream_tbEUlRKsE_EESO_SS_ST_mSU_SX_bEUlT_E_NS1_11comp_targetILNS1_3genE8ELNS1_11target_archE1030ELNS1_3gpuE2ELNS1_3repE0EEENS1_30default_config_static_selectorELNS0_4arch9wavefront6targetE1EEEvSR_,"axG",@progbits,_ZN7rocprim17ROCPRIM_400000_NS6detail17trampoline_kernelINS0_14default_configENS1_29binary_search_config_selectorIsN6thrust23THRUST_200600_302600_NS6detail10any_assignEEEZNS1_14transform_implILb0ES3_S9_NS7_15normal_iteratorINS6_10device_ptrIsEEEENS6_16discard_iteratorINS6_11use_defaultEEEZNS1_13binary_searchIS3_S9_SE_SE_SH_NS1_16binary_search_opENS7_16wrapped_functionINS0_4lessIvEEbEEEE10hipError_tPvRmT1_T2_T3_mmT4_T5_P12ihipStream_tbEUlRKsE_EESO_SS_ST_mSU_SX_bEUlT_E_NS1_11comp_targetILNS1_3genE8ELNS1_11target_archE1030ELNS1_3gpuE2ELNS1_3repE0EEENS1_30default_config_static_selectorELNS0_4arch9wavefront6targetE1EEEvSR_,comdat
.Lfunc_end626:
	.size	_ZN7rocprim17ROCPRIM_400000_NS6detail17trampoline_kernelINS0_14default_configENS1_29binary_search_config_selectorIsN6thrust23THRUST_200600_302600_NS6detail10any_assignEEEZNS1_14transform_implILb0ES3_S9_NS7_15normal_iteratorINS6_10device_ptrIsEEEENS6_16discard_iteratorINS6_11use_defaultEEEZNS1_13binary_searchIS3_S9_SE_SE_SH_NS1_16binary_search_opENS7_16wrapped_functionINS0_4lessIvEEbEEEE10hipError_tPvRmT1_T2_T3_mmT4_T5_P12ihipStream_tbEUlRKsE_EESO_SS_ST_mSU_SX_bEUlT_E_NS1_11comp_targetILNS1_3genE8ELNS1_11target_archE1030ELNS1_3gpuE2ELNS1_3repE0EEENS1_30default_config_static_selectorELNS0_4arch9wavefront6targetE1EEEvSR_, .Lfunc_end626-_ZN7rocprim17ROCPRIM_400000_NS6detail17trampoline_kernelINS0_14default_configENS1_29binary_search_config_selectorIsN6thrust23THRUST_200600_302600_NS6detail10any_assignEEEZNS1_14transform_implILb0ES3_S9_NS7_15normal_iteratorINS6_10device_ptrIsEEEENS6_16discard_iteratorINS6_11use_defaultEEEZNS1_13binary_searchIS3_S9_SE_SE_SH_NS1_16binary_search_opENS7_16wrapped_functionINS0_4lessIvEEbEEEE10hipError_tPvRmT1_T2_T3_mmT4_T5_P12ihipStream_tbEUlRKsE_EESO_SS_ST_mSU_SX_bEUlT_E_NS1_11comp_targetILNS1_3genE8ELNS1_11target_archE1030ELNS1_3gpuE2ELNS1_3repE0EEENS1_30default_config_static_selectorELNS0_4arch9wavefront6targetE1EEEvSR_
                                        ; -- End function
	.section	.AMDGPU.csdata,"",@progbits
; Kernel info:
; codeLenInByte = 0
; NumSgprs: 4
; NumVgprs: 0
; NumAgprs: 0
; TotalNumVgprs: 0
; ScratchSize: 0
; MemoryBound: 0
; FloatMode: 240
; IeeeMode: 1
; LDSByteSize: 0 bytes/workgroup (compile time only)
; SGPRBlocks: 0
; VGPRBlocks: 0
; NumSGPRsForWavesPerEU: 4
; NumVGPRsForWavesPerEU: 1
; AccumOffset: 4
; Occupancy: 8
; WaveLimiterHint : 0
; COMPUTE_PGM_RSRC2:SCRATCH_EN: 0
; COMPUTE_PGM_RSRC2:USER_SGPR: 6
; COMPUTE_PGM_RSRC2:TRAP_HANDLER: 0
; COMPUTE_PGM_RSRC2:TGID_X_EN: 1
; COMPUTE_PGM_RSRC2:TGID_Y_EN: 0
; COMPUTE_PGM_RSRC2:TGID_Z_EN: 0
; COMPUTE_PGM_RSRC2:TIDIG_COMP_CNT: 0
; COMPUTE_PGM_RSRC3_GFX90A:ACCUM_OFFSET: 0
; COMPUTE_PGM_RSRC3_GFX90A:TG_SPLIT: 0
	.text
	.p2alignl 6, 3212836864
	.fill 256, 4, 3212836864
	.type	__hip_cuid_7015928658f1d85c,@object ; @__hip_cuid_7015928658f1d85c
	.section	.bss,"aw",@nobits
	.globl	__hip_cuid_7015928658f1d85c
__hip_cuid_7015928658f1d85c:
	.byte	0                               ; 0x0
	.size	__hip_cuid_7015928658f1d85c, 1

	.ident	"AMD clang version 19.0.0git (https://github.com/RadeonOpenCompute/llvm-project roc-6.4.0 25133 c7fe45cf4b819c5991fe208aaa96edf142730f1d)"
	.section	".note.GNU-stack","",@progbits
	.addrsig
	.addrsig_sym __hip_cuid_7015928658f1d85c
	.amdgpu_metadata
---
amdhsa.kernels:
  - .agpr_count:     0
    .args:
      - .offset:         0
        .size:           16
        .value_kind:     by_value
      - .offset:         16
        .size:           8
        .value_kind:     by_value
      - .offset:         24
        .size:           8
        .value_kind:     by_value
    .group_segment_fixed_size: 0
    .kernarg_segment_align: 8
    .kernarg_segment_size: 32
    .language:       OpenCL C
    .language_version:
      - 2
      - 0
    .max_flat_workgroup_size: 256
    .name:           _ZN6thrust23THRUST_200600_302600_NS11hip_rocprim14__parallel_for6kernelILj256ENS1_20__uninitialized_fill7functorINS0_10device_ptrIdEEdEEmLj1EEEvT0_T1_SA_
    .private_segment_fixed_size: 0
    .sgpr_count:     20
    .sgpr_spill_count: 0
    .symbol:         _ZN6thrust23THRUST_200600_302600_NS11hip_rocprim14__parallel_for6kernelILj256ENS1_20__uninitialized_fill7functorINS0_10device_ptrIdEEdEEmLj1EEEvT0_T1_SA_.kd
    .uniform_work_group_size: 1
    .uses_dynamic_stack: false
    .vgpr_count:     5
    .vgpr_spill_count: 0
    .wavefront_size: 64
  - .agpr_count:     0
    .args:
      - .offset:         0
        .size:           16
        .value_kind:     by_value
      - .offset:         16
        .size:           8
        .value_kind:     by_value
      - .offset:         24
        .size:           8
        .value_kind:     by_value
    .group_segment_fixed_size: 0
    .kernarg_segment_align: 8
    .kernarg_segment_size: 32
    .language:       OpenCL C
    .language_version:
      - 2
      - 0
    .max_flat_workgroup_size: 256
    .name:           _ZN6thrust23THRUST_200600_302600_NS11hip_rocprim14__parallel_for6kernelILj256ENS1_20__uninitialized_fill7functorINS0_10device_ptrIlEElEEmLj1EEEvT0_T1_SA_
    .private_segment_fixed_size: 0
    .sgpr_count:     20
    .sgpr_spill_count: 0
    .symbol:         _ZN6thrust23THRUST_200600_302600_NS11hip_rocprim14__parallel_for6kernelILj256ENS1_20__uninitialized_fill7functorINS0_10device_ptrIlEElEEmLj1EEEvT0_T1_SA_.kd
    .uniform_work_group_size: 1
    .uses_dynamic_stack: false
    .vgpr_count:     5
    .vgpr_spill_count: 0
    .wavefront_size: 64
  - .agpr_count:     0
    .args:
      - .offset:         0
        .size:           8
        .value_kind:     by_value
      - .address_space:  global
        .offset:         8
        .size:           8
        .value_kind:     global_buffer
      - .address_space:  global
        .offset:         16
        .size:           8
        .value_kind:     global_buffer
    .group_segment_fixed_size: 0
    .kernarg_segment_align: 8
    .kernarg_segment_size: 24
    .language:       OpenCL C
    .language_version:
      - 2
      - 0
    .max_flat_workgroup_size: 256
    .name:           _Z18lower_bound_kernelIdEvmPT_Pl
    .private_segment_fixed_size: 0
    .sgpr_count:     25
    .sgpr_spill_count: 0
    .symbol:         _Z18lower_bound_kernelIdEvmPT_Pl.kd
    .uniform_work_group_size: 1
    .uses_dynamic_stack: false
    .vgpr_count:     8
    .vgpr_spill_count: 0
    .wavefront_size: 64
  - .agpr_count:     0
    .args:
      - .offset:         0
        .size:           56
        .value_kind:     by_value
    .group_segment_fixed_size: 0
    .kernarg_segment_align: 8
    .kernarg_segment_size: 56
    .language:       OpenCL C
    .language_version:
      - 2
      - 0
    .max_flat_workgroup_size: 64
    .name:           _ZN7rocprim17ROCPRIM_400000_NS6detail17trampoline_kernelINS0_14default_configENS1_27lower_bound_config_selectorIdlEEZNS1_14transform_implILb0ES3_S5_N6thrust23THRUST_200600_302600_NS17counting_iteratorIdNS8_11use_defaultESA_SA_EEPlZNS1_13binary_searchIS3_S5_PdSB_SC_NS1_21lower_bound_search_opENS8_6detail16wrapped_functionI11custom_lessbEEEE10hipError_tPvRmT1_T2_T3_mmT4_T5_P12ihipStream_tbEUlRKdE_EESK_SO_SP_mSQ_ST_bEUlT_E_NS1_11comp_targetILNS1_3genE0ELNS1_11target_archE4294967295ELNS1_3gpuE0ELNS1_3repE0EEENS1_30default_config_static_selectorELNS0_4arch9wavefront6targetE1EEEvSN_
    .private_segment_fixed_size: 0
    .sgpr_count:     4
    .sgpr_spill_count: 0
    .symbol:         _ZN7rocprim17ROCPRIM_400000_NS6detail17trampoline_kernelINS0_14default_configENS1_27lower_bound_config_selectorIdlEEZNS1_14transform_implILb0ES3_S5_N6thrust23THRUST_200600_302600_NS17counting_iteratorIdNS8_11use_defaultESA_SA_EEPlZNS1_13binary_searchIS3_S5_PdSB_SC_NS1_21lower_bound_search_opENS8_6detail16wrapped_functionI11custom_lessbEEEE10hipError_tPvRmT1_T2_T3_mmT4_T5_P12ihipStream_tbEUlRKdE_EESK_SO_SP_mSQ_ST_bEUlT_E_NS1_11comp_targetILNS1_3genE0ELNS1_11target_archE4294967295ELNS1_3gpuE0ELNS1_3repE0EEENS1_30default_config_static_selectorELNS0_4arch9wavefront6targetE1EEEvSN_.kd
    .uniform_work_group_size: 1
    .uses_dynamic_stack: false
    .vgpr_count:     0
    .vgpr_spill_count: 0
    .wavefront_size: 64
  - .agpr_count:     0
    .args:
      - .offset:         0
        .size:           56
        .value_kind:     by_value
    .group_segment_fixed_size: 0
    .kernarg_segment_align: 8
    .kernarg_segment_size: 56
    .language:       OpenCL C
    .language_version:
      - 2
      - 0
    .max_flat_workgroup_size: 64
    .name:           _ZN7rocprim17ROCPRIM_400000_NS6detail17trampoline_kernelINS0_14default_configENS1_27lower_bound_config_selectorIdlEEZNS1_14transform_implILb0ES3_S5_N6thrust23THRUST_200600_302600_NS17counting_iteratorIdNS8_11use_defaultESA_SA_EEPlZNS1_13binary_searchIS3_S5_PdSB_SC_NS1_21lower_bound_search_opENS8_6detail16wrapped_functionI11custom_lessbEEEE10hipError_tPvRmT1_T2_T3_mmT4_T5_P12ihipStream_tbEUlRKdE_EESK_SO_SP_mSQ_ST_bEUlT_E_NS1_11comp_targetILNS1_3genE5ELNS1_11target_archE942ELNS1_3gpuE9ELNS1_3repE0EEENS1_30default_config_static_selectorELNS0_4arch9wavefront6targetE1EEEvSN_
    .private_segment_fixed_size: 0
    .sgpr_count:     4
    .sgpr_spill_count: 0
    .symbol:         _ZN7rocprim17ROCPRIM_400000_NS6detail17trampoline_kernelINS0_14default_configENS1_27lower_bound_config_selectorIdlEEZNS1_14transform_implILb0ES3_S5_N6thrust23THRUST_200600_302600_NS17counting_iteratorIdNS8_11use_defaultESA_SA_EEPlZNS1_13binary_searchIS3_S5_PdSB_SC_NS1_21lower_bound_search_opENS8_6detail16wrapped_functionI11custom_lessbEEEE10hipError_tPvRmT1_T2_T3_mmT4_T5_P12ihipStream_tbEUlRKdE_EESK_SO_SP_mSQ_ST_bEUlT_E_NS1_11comp_targetILNS1_3genE5ELNS1_11target_archE942ELNS1_3gpuE9ELNS1_3repE0EEENS1_30default_config_static_selectorELNS0_4arch9wavefront6targetE1EEEvSN_.kd
    .uniform_work_group_size: 1
    .uses_dynamic_stack: false
    .vgpr_count:     0
    .vgpr_spill_count: 0
    .wavefront_size: 64
  - .agpr_count:     0
    .args:
      - .offset:         0
        .size:           56
        .value_kind:     by_value
      - .offset:         56
        .size:           4
        .value_kind:     hidden_block_count_x
      - .offset:         60
        .size:           4
        .value_kind:     hidden_block_count_y
      - .offset:         64
        .size:           4
        .value_kind:     hidden_block_count_z
      - .offset:         68
        .size:           2
        .value_kind:     hidden_group_size_x
      - .offset:         70
        .size:           2
        .value_kind:     hidden_group_size_y
      - .offset:         72
        .size:           2
        .value_kind:     hidden_group_size_z
      - .offset:         74
        .size:           2
        .value_kind:     hidden_remainder_x
      - .offset:         76
        .size:           2
        .value_kind:     hidden_remainder_y
      - .offset:         78
        .size:           2
        .value_kind:     hidden_remainder_z
      - .offset:         96
        .size:           8
        .value_kind:     hidden_global_offset_x
      - .offset:         104
        .size:           8
        .value_kind:     hidden_global_offset_y
      - .offset:         112
        .size:           8
        .value_kind:     hidden_global_offset_z
      - .offset:         120
        .size:           2
        .value_kind:     hidden_grid_dims
    .group_segment_fixed_size: 0
    .kernarg_segment_align: 8
    .kernarg_segment_size: 312
    .language:       OpenCL C
    .language_version:
      - 2
      - 0
    .max_flat_workgroup_size: 64
    .name:           _ZN7rocprim17ROCPRIM_400000_NS6detail17trampoline_kernelINS0_14default_configENS1_27lower_bound_config_selectorIdlEEZNS1_14transform_implILb0ES3_S5_N6thrust23THRUST_200600_302600_NS17counting_iteratorIdNS8_11use_defaultESA_SA_EEPlZNS1_13binary_searchIS3_S5_PdSB_SC_NS1_21lower_bound_search_opENS8_6detail16wrapped_functionI11custom_lessbEEEE10hipError_tPvRmT1_T2_T3_mmT4_T5_P12ihipStream_tbEUlRKdE_EESK_SO_SP_mSQ_ST_bEUlT_E_NS1_11comp_targetILNS1_3genE4ELNS1_11target_archE910ELNS1_3gpuE8ELNS1_3repE0EEENS1_30default_config_static_selectorELNS0_4arch9wavefront6targetE1EEEvSN_
    .private_segment_fixed_size: 0
    .sgpr_count:     20
    .sgpr_spill_count: 0
    .symbol:         _ZN7rocprim17ROCPRIM_400000_NS6detail17trampoline_kernelINS0_14default_configENS1_27lower_bound_config_selectorIdlEEZNS1_14transform_implILb0ES3_S5_N6thrust23THRUST_200600_302600_NS17counting_iteratorIdNS8_11use_defaultESA_SA_EEPlZNS1_13binary_searchIS3_S5_PdSB_SC_NS1_21lower_bound_search_opENS8_6detail16wrapped_functionI11custom_lessbEEEE10hipError_tPvRmT1_T2_T3_mmT4_T5_P12ihipStream_tbEUlRKdE_EESK_SO_SP_mSQ_ST_bEUlT_E_NS1_11comp_targetILNS1_3genE4ELNS1_11target_archE910ELNS1_3gpuE8ELNS1_3repE0EEENS1_30default_config_static_selectorELNS0_4arch9wavefront6targetE1EEEvSN_.kd
    .uniform_work_group_size: 1
    .uses_dynamic_stack: false
    .vgpr_count:     16
    .vgpr_spill_count: 0
    .wavefront_size: 64
  - .agpr_count:     0
    .args:
      - .offset:         0
        .size:           56
        .value_kind:     by_value
    .group_segment_fixed_size: 0
    .kernarg_segment_align: 8
    .kernarg_segment_size: 56
    .language:       OpenCL C
    .language_version:
      - 2
      - 0
    .max_flat_workgroup_size: 64
    .name:           _ZN7rocprim17ROCPRIM_400000_NS6detail17trampoline_kernelINS0_14default_configENS1_27lower_bound_config_selectorIdlEEZNS1_14transform_implILb0ES3_S5_N6thrust23THRUST_200600_302600_NS17counting_iteratorIdNS8_11use_defaultESA_SA_EEPlZNS1_13binary_searchIS3_S5_PdSB_SC_NS1_21lower_bound_search_opENS8_6detail16wrapped_functionI11custom_lessbEEEE10hipError_tPvRmT1_T2_T3_mmT4_T5_P12ihipStream_tbEUlRKdE_EESK_SO_SP_mSQ_ST_bEUlT_E_NS1_11comp_targetILNS1_3genE3ELNS1_11target_archE908ELNS1_3gpuE7ELNS1_3repE0EEENS1_30default_config_static_selectorELNS0_4arch9wavefront6targetE1EEEvSN_
    .private_segment_fixed_size: 0
    .sgpr_count:     4
    .sgpr_spill_count: 0
    .symbol:         _ZN7rocprim17ROCPRIM_400000_NS6detail17trampoline_kernelINS0_14default_configENS1_27lower_bound_config_selectorIdlEEZNS1_14transform_implILb0ES3_S5_N6thrust23THRUST_200600_302600_NS17counting_iteratorIdNS8_11use_defaultESA_SA_EEPlZNS1_13binary_searchIS3_S5_PdSB_SC_NS1_21lower_bound_search_opENS8_6detail16wrapped_functionI11custom_lessbEEEE10hipError_tPvRmT1_T2_T3_mmT4_T5_P12ihipStream_tbEUlRKdE_EESK_SO_SP_mSQ_ST_bEUlT_E_NS1_11comp_targetILNS1_3genE3ELNS1_11target_archE908ELNS1_3gpuE7ELNS1_3repE0EEENS1_30default_config_static_selectorELNS0_4arch9wavefront6targetE1EEEvSN_.kd
    .uniform_work_group_size: 1
    .uses_dynamic_stack: false
    .vgpr_count:     0
    .vgpr_spill_count: 0
    .wavefront_size: 64
  - .agpr_count:     0
    .args:
      - .offset:         0
        .size:           56
        .value_kind:     by_value
    .group_segment_fixed_size: 0
    .kernarg_segment_align: 8
    .kernarg_segment_size: 56
    .language:       OpenCL C
    .language_version:
      - 2
      - 0
    .max_flat_workgroup_size: 256
    .name:           _ZN7rocprim17ROCPRIM_400000_NS6detail17trampoline_kernelINS0_14default_configENS1_27lower_bound_config_selectorIdlEEZNS1_14transform_implILb0ES3_S5_N6thrust23THRUST_200600_302600_NS17counting_iteratorIdNS8_11use_defaultESA_SA_EEPlZNS1_13binary_searchIS3_S5_PdSB_SC_NS1_21lower_bound_search_opENS8_6detail16wrapped_functionI11custom_lessbEEEE10hipError_tPvRmT1_T2_T3_mmT4_T5_P12ihipStream_tbEUlRKdE_EESK_SO_SP_mSQ_ST_bEUlT_E_NS1_11comp_targetILNS1_3genE2ELNS1_11target_archE906ELNS1_3gpuE6ELNS1_3repE0EEENS1_30default_config_static_selectorELNS0_4arch9wavefront6targetE1EEEvSN_
    .private_segment_fixed_size: 0
    .sgpr_count:     4
    .sgpr_spill_count: 0
    .symbol:         _ZN7rocprim17ROCPRIM_400000_NS6detail17trampoline_kernelINS0_14default_configENS1_27lower_bound_config_selectorIdlEEZNS1_14transform_implILb0ES3_S5_N6thrust23THRUST_200600_302600_NS17counting_iteratorIdNS8_11use_defaultESA_SA_EEPlZNS1_13binary_searchIS3_S5_PdSB_SC_NS1_21lower_bound_search_opENS8_6detail16wrapped_functionI11custom_lessbEEEE10hipError_tPvRmT1_T2_T3_mmT4_T5_P12ihipStream_tbEUlRKdE_EESK_SO_SP_mSQ_ST_bEUlT_E_NS1_11comp_targetILNS1_3genE2ELNS1_11target_archE906ELNS1_3gpuE6ELNS1_3repE0EEENS1_30default_config_static_selectorELNS0_4arch9wavefront6targetE1EEEvSN_.kd
    .uniform_work_group_size: 1
    .uses_dynamic_stack: false
    .vgpr_count:     0
    .vgpr_spill_count: 0
    .wavefront_size: 64
  - .agpr_count:     0
    .args:
      - .offset:         0
        .size:           56
        .value_kind:     by_value
    .group_segment_fixed_size: 0
    .kernarg_segment_align: 8
    .kernarg_segment_size: 56
    .language:       OpenCL C
    .language_version:
      - 2
      - 0
    .max_flat_workgroup_size: 128
    .name:           _ZN7rocprim17ROCPRIM_400000_NS6detail17trampoline_kernelINS0_14default_configENS1_27lower_bound_config_selectorIdlEEZNS1_14transform_implILb0ES3_S5_N6thrust23THRUST_200600_302600_NS17counting_iteratorIdNS8_11use_defaultESA_SA_EEPlZNS1_13binary_searchIS3_S5_PdSB_SC_NS1_21lower_bound_search_opENS8_6detail16wrapped_functionI11custom_lessbEEEE10hipError_tPvRmT1_T2_T3_mmT4_T5_P12ihipStream_tbEUlRKdE_EESK_SO_SP_mSQ_ST_bEUlT_E_NS1_11comp_targetILNS1_3genE10ELNS1_11target_archE1201ELNS1_3gpuE5ELNS1_3repE0EEENS1_30default_config_static_selectorELNS0_4arch9wavefront6targetE1EEEvSN_
    .private_segment_fixed_size: 0
    .sgpr_count:     4
    .sgpr_spill_count: 0
    .symbol:         _ZN7rocprim17ROCPRIM_400000_NS6detail17trampoline_kernelINS0_14default_configENS1_27lower_bound_config_selectorIdlEEZNS1_14transform_implILb0ES3_S5_N6thrust23THRUST_200600_302600_NS17counting_iteratorIdNS8_11use_defaultESA_SA_EEPlZNS1_13binary_searchIS3_S5_PdSB_SC_NS1_21lower_bound_search_opENS8_6detail16wrapped_functionI11custom_lessbEEEE10hipError_tPvRmT1_T2_T3_mmT4_T5_P12ihipStream_tbEUlRKdE_EESK_SO_SP_mSQ_ST_bEUlT_E_NS1_11comp_targetILNS1_3genE10ELNS1_11target_archE1201ELNS1_3gpuE5ELNS1_3repE0EEENS1_30default_config_static_selectorELNS0_4arch9wavefront6targetE1EEEvSN_.kd
    .uniform_work_group_size: 1
    .uses_dynamic_stack: false
    .vgpr_count:     0
    .vgpr_spill_count: 0
    .wavefront_size: 64
  - .agpr_count:     0
    .args:
      - .offset:         0
        .size:           56
        .value_kind:     by_value
    .group_segment_fixed_size: 0
    .kernarg_segment_align: 8
    .kernarg_segment_size: 56
    .language:       OpenCL C
    .language_version:
      - 2
      - 0
    .max_flat_workgroup_size: 128
    .name:           _ZN7rocprim17ROCPRIM_400000_NS6detail17trampoline_kernelINS0_14default_configENS1_27lower_bound_config_selectorIdlEEZNS1_14transform_implILb0ES3_S5_N6thrust23THRUST_200600_302600_NS17counting_iteratorIdNS8_11use_defaultESA_SA_EEPlZNS1_13binary_searchIS3_S5_PdSB_SC_NS1_21lower_bound_search_opENS8_6detail16wrapped_functionI11custom_lessbEEEE10hipError_tPvRmT1_T2_T3_mmT4_T5_P12ihipStream_tbEUlRKdE_EESK_SO_SP_mSQ_ST_bEUlT_E_NS1_11comp_targetILNS1_3genE10ELNS1_11target_archE1200ELNS1_3gpuE4ELNS1_3repE0EEENS1_30default_config_static_selectorELNS0_4arch9wavefront6targetE1EEEvSN_
    .private_segment_fixed_size: 0
    .sgpr_count:     4
    .sgpr_spill_count: 0
    .symbol:         _ZN7rocprim17ROCPRIM_400000_NS6detail17trampoline_kernelINS0_14default_configENS1_27lower_bound_config_selectorIdlEEZNS1_14transform_implILb0ES3_S5_N6thrust23THRUST_200600_302600_NS17counting_iteratorIdNS8_11use_defaultESA_SA_EEPlZNS1_13binary_searchIS3_S5_PdSB_SC_NS1_21lower_bound_search_opENS8_6detail16wrapped_functionI11custom_lessbEEEE10hipError_tPvRmT1_T2_T3_mmT4_T5_P12ihipStream_tbEUlRKdE_EESK_SO_SP_mSQ_ST_bEUlT_E_NS1_11comp_targetILNS1_3genE10ELNS1_11target_archE1200ELNS1_3gpuE4ELNS1_3repE0EEENS1_30default_config_static_selectorELNS0_4arch9wavefront6targetE1EEEvSN_.kd
    .uniform_work_group_size: 1
    .uses_dynamic_stack: false
    .vgpr_count:     0
    .vgpr_spill_count: 0
    .wavefront_size: 64
  - .agpr_count:     0
    .args:
      - .offset:         0
        .size:           56
        .value_kind:     by_value
    .group_segment_fixed_size: 0
    .kernarg_segment_align: 8
    .kernarg_segment_size: 56
    .language:       OpenCL C
    .language_version:
      - 2
      - 0
    .max_flat_workgroup_size: 256
    .name:           _ZN7rocprim17ROCPRIM_400000_NS6detail17trampoline_kernelINS0_14default_configENS1_27lower_bound_config_selectorIdlEEZNS1_14transform_implILb0ES3_S5_N6thrust23THRUST_200600_302600_NS17counting_iteratorIdNS8_11use_defaultESA_SA_EEPlZNS1_13binary_searchIS3_S5_PdSB_SC_NS1_21lower_bound_search_opENS8_6detail16wrapped_functionI11custom_lessbEEEE10hipError_tPvRmT1_T2_T3_mmT4_T5_P12ihipStream_tbEUlRKdE_EESK_SO_SP_mSQ_ST_bEUlT_E_NS1_11comp_targetILNS1_3genE9ELNS1_11target_archE1100ELNS1_3gpuE3ELNS1_3repE0EEENS1_30default_config_static_selectorELNS0_4arch9wavefront6targetE1EEEvSN_
    .private_segment_fixed_size: 0
    .sgpr_count:     4
    .sgpr_spill_count: 0
    .symbol:         _ZN7rocprim17ROCPRIM_400000_NS6detail17trampoline_kernelINS0_14default_configENS1_27lower_bound_config_selectorIdlEEZNS1_14transform_implILb0ES3_S5_N6thrust23THRUST_200600_302600_NS17counting_iteratorIdNS8_11use_defaultESA_SA_EEPlZNS1_13binary_searchIS3_S5_PdSB_SC_NS1_21lower_bound_search_opENS8_6detail16wrapped_functionI11custom_lessbEEEE10hipError_tPvRmT1_T2_T3_mmT4_T5_P12ihipStream_tbEUlRKdE_EESK_SO_SP_mSQ_ST_bEUlT_E_NS1_11comp_targetILNS1_3genE9ELNS1_11target_archE1100ELNS1_3gpuE3ELNS1_3repE0EEENS1_30default_config_static_selectorELNS0_4arch9wavefront6targetE1EEEvSN_.kd
    .uniform_work_group_size: 1
    .uses_dynamic_stack: false
    .vgpr_count:     0
    .vgpr_spill_count: 0
    .wavefront_size: 64
  - .agpr_count:     0
    .args:
      - .offset:         0
        .size:           56
        .value_kind:     by_value
    .group_segment_fixed_size: 0
    .kernarg_segment_align: 8
    .kernarg_segment_size: 56
    .language:       OpenCL C
    .language_version:
      - 2
      - 0
    .max_flat_workgroup_size: 256
    .name:           _ZN7rocprim17ROCPRIM_400000_NS6detail17trampoline_kernelINS0_14default_configENS1_27lower_bound_config_selectorIdlEEZNS1_14transform_implILb0ES3_S5_N6thrust23THRUST_200600_302600_NS17counting_iteratorIdNS8_11use_defaultESA_SA_EEPlZNS1_13binary_searchIS3_S5_PdSB_SC_NS1_21lower_bound_search_opENS8_6detail16wrapped_functionI11custom_lessbEEEE10hipError_tPvRmT1_T2_T3_mmT4_T5_P12ihipStream_tbEUlRKdE_EESK_SO_SP_mSQ_ST_bEUlT_E_NS1_11comp_targetILNS1_3genE8ELNS1_11target_archE1030ELNS1_3gpuE2ELNS1_3repE0EEENS1_30default_config_static_selectorELNS0_4arch9wavefront6targetE1EEEvSN_
    .private_segment_fixed_size: 0
    .sgpr_count:     4
    .sgpr_spill_count: 0
    .symbol:         _ZN7rocprim17ROCPRIM_400000_NS6detail17trampoline_kernelINS0_14default_configENS1_27lower_bound_config_selectorIdlEEZNS1_14transform_implILb0ES3_S5_N6thrust23THRUST_200600_302600_NS17counting_iteratorIdNS8_11use_defaultESA_SA_EEPlZNS1_13binary_searchIS3_S5_PdSB_SC_NS1_21lower_bound_search_opENS8_6detail16wrapped_functionI11custom_lessbEEEE10hipError_tPvRmT1_T2_T3_mmT4_T5_P12ihipStream_tbEUlRKdE_EESK_SO_SP_mSQ_ST_bEUlT_E_NS1_11comp_targetILNS1_3genE8ELNS1_11target_archE1030ELNS1_3gpuE2ELNS1_3repE0EEENS1_30default_config_static_selectorELNS0_4arch9wavefront6targetE1EEEvSN_.kd
    .uniform_work_group_size: 1
    .uses_dynamic_stack: false
    .vgpr_count:     0
    .vgpr_spill_count: 0
    .wavefront_size: 64
  - .agpr_count:     0
    .args:
      - .offset:         0
        .size:           16
        .value_kind:     by_value
      - .offset:         16
        .size:           8
        .value_kind:     by_value
      - .offset:         24
        .size:           8
        .value_kind:     by_value
    .group_segment_fixed_size: 0
    .kernarg_segment_align: 8
    .kernarg_segment_size: 32
    .language:       OpenCL C
    .language_version:
      - 2
      - 0
    .max_flat_workgroup_size: 256
    .name:           _ZN6thrust23THRUST_200600_302600_NS11hip_rocprim14__parallel_for6kernelILj256ENS1_20__uninitialized_fill7functorINS0_10device_ptrIfEEfEEmLj1EEEvT0_T1_SA_
    .private_segment_fixed_size: 0
    .sgpr_count:     16
    .sgpr_spill_count: 0
    .symbol:         _ZN6thrust23THRUST_200600_302600_NS11hip_rocprim14__parallel_for6kernelILj256ENS1_20__uninitialized_fill7functorINS0_10device_ptrIfEEfEEmLj1EEEvT0_T1_SA_.kd
    .uniform_work_group_size: 1
    .uses_dynamic_stack: false
    .vgpr_count:     4
    .vgpr_spill_count: 0
    .wavefront_size: 64
  - .agpr_count:     0
    .args:
      - .offset:         0
        .size:           8
        .value_kind:     by_value
      - .address_space:  global
        .offset:         8
        .size:           8
        .value_kind:     global_buffer
      - .address_space:  global
        .offset:         16
        .size:           8
        .value_kind:     global_buffer
    .group_segment_fixed_size: 0
    .kernarg_segment_align: 8
    .kernarg_segment_size: 24
    .language:       OpenCL C
    .language_version:
      - 2
      - 0
    .max_flat_workgroup_size: 256
    .name:           _Z18lower_bound_kernelIfEvmPT_Pl
    .private_segment_fixed_size: 0
    .sgpr_count:     24
    .sgpr_spill_count: 0
    .symbol:         _Z18lower_bound_kernelIfEvmPT_Pl.kd
    .uniform_work_group_size: 1
    .uses_dynamic_stack: false
    .vgpr_count:     6
    .vgpr_spill_count: 0
    .wavefront_size: 64
  - .agpr_count:     0
    .args:
      - .offset:         0
        .size:           56
        .value_kind:     by_value
    .group_segment_fixed_size: 0
    .kernarg_segment_align: 8
    .kernarg_segment_size: 56
    .language:       OpenCL C
    .language_version:
      - 2
      - 0
    .max_flat_workgroup_size: 256
    .name:           _ZN7rocprim17ROCPRIM_400000_NS6detail17trampoline_kernelINS0_14default_configENS1_27lower_bound_config_selectorIflEEZNS1_14transform_implILb0ES3_S5_N6thrust23THRUST_200600_302600_NS17counting_iteratorIfNS8_11use_defaultESA_SA_EEPlZNS1_13binary_searchIS3_S5_PfSB_SC_NS1_21lower_bound_search_opENS8_6detail16wrapped_functionI11custom_lessbEEEE10hipError_tPvRmT1_T2_T3_mmT4_T5_P12ihipStream_tbEUlRKfE_EESK_SO_SP_mSQ_ST_bEUlT_E_NS1_11comp_targetILNS1_3genE0ELNS1_11target_archE4294967295ELNS1_3gpuE0ELNS1_3repE0EEENS1_30default_config_static_selectorELNS0_4arch9wavefront6targetE1EEEvSN_
    .private_segment_fixed_size: 0
    .sgpr_count:     4
    .sgpr_spill_count: 0
    .symbol:         _ZN7rocprim17ROCPRIM_400000_NS6detail17trampoline_kernelINS0_14default_configENS1_27lower_bound_config_selectorIflEEZNS1_14transform_implILb0ES3_S5_N6thrust23THRUST_200600_302600_NS17counting_iteratorIfNS8_11use_defaultESA_SA_EEPlZNS1_13binary_searchIS3_S5_PfSB_SC_NS1_21lower_bound_search_opENS8_6detail16wrapped_functionI11custom_lessbEEEE10hipError_tPvRmT1_T2_T3_mmT4_T5_P12ihipStream_tbEUlRKfE_EESK_SO_SP_mSQ_ST_bEUlT_E_NS1_11comp_targetILNS1_3genE0ELNS1_11target_archE4294967295ELNS1_3gpuE0ELNS1_3repE0EEENS1_30default_config_static_selectorELNS0_4arch9wavefront6targetE1EEEvSN_.kd
    .uniform_work_group_size: 1
    .uses_dynamic_stack: false
    .vgpr_count:     0
    .vgpr_spill_count: 0
    .wavefront_size: 64
  - .agpr_count:     0
    .args:
      - .offset:         0
        .size:           56
        .value_kind:     by_value
    .group_segment_fixed_size: 0
    .kernarg_segment_align: 8
    .kernarg_segment_size: 56
    .language:       OpenCL C
    .language_version:
      - 2
      - 0
    .max_flat_workgroup_size: 256
    .name:           _ZN7rocprim17ROCPRIM_400000_NS6detail17trampoline_kernelINS0_14default_configENS1_27lower_bound_config_selectorIflEEZNS1_14transform_implILb0ES3_S5_N6thrust23THRUST_200600_302600_NS17counting_iteratorIfNS8_11use_defaultESA_SA_EEPlZNS1_13binary_searchIS3_S5_PfSB_SC_NS1_21lower_bound_search_opENS8_6detail16wrapped_functionI11custom_lessbEEEE10hipError_tPvRmT1_T2_T3_mmT4_T5_P12ihipStream_tbEUlRKfE_EESK_SO_SP_mSQ_ST_bEUlT_E_NS1_11comp_targetILNS1_3genE5ELNS1_11target_archE942ELNS1_3gpuE9ELNS1_3repE0EEENS1_30default_config_static_selectorELNS0_4arch9wavefront6targetE1EEEvSN_
    .private_segment_fixed_size: 0
    .sgpr_count:     4
    .sgpr_spill_count: 0
    .symbol:         _ZN7rocprim17ROCPRIM_400000_NS6detail17trampoline_kernelINS0_14default_configENS1_27lower_bound_config_selectorIflEEZNS1_14transform_implILb0ES3_S5_N6thrust23THRUST_200600_302600_NS17counting_iteratorIfNS8_11use_defaultESA_SA_EEPlZNS1_13binary_searchIS3_S5_PfSB_SC_NS1_21lower_bound_search_opENS8_6detail16wrapped_functionI11custom_lessbEEEE10hipError_tPvRmT1_T2_T3_mmT4_T5_P12ihipStream_tbEUlRKfE_EESK_SO_SP_mSQ_ST_bEUlT_E_NS1_11comp_targetILNS1_3genE5ELNS1_11target_archE942ELNS1_3gpuE9ELNS1_3repE0EEENS1_30default_config_static_selectorELNS0_4arch9wavefront6targetE1EEEvSN_.kd
    .uniform_work_group_size: 1
    .uses_dynamic_stack: false
    .vgpr_count:     0
    .vgpr_spill_count: 0
    .wavefront_size: 64
  - .agpr_count:     0
    .args:
      - .offset:         0
        .size:           56
        .value_kind:     by_value
      - .offset:         56
        .size:           4
        .value_kind:     hidden_block_count_x
      - .offset:         60
        .size:           4
        .value_kind:     hidden_block_count_y
      - .offset:         64
        .size:           4
        .value_kind:     hidden_block_count_z
      - .offset:         68
        .size:           2
        .value_kind:     hidden_group_size_x
      - .offset:         70
        .size:           2
        .value_kind:     hidden_group_size_y
      - .offset:         72
        .size:           2
        .value_kind:     hidden_group_size_z
      - .offset:         74
        .size:           2
        .value_kind:     hidden_remainder_x
      - .offset:         76
        .size:           2
        .value_kind:     hidden_remainder_y
      - .offset:         78
        .size:           2
        .value_kind:     hidden_remainder_z
      - .offset:         96
        .size:           8
        .value_kind:     hidden_global_offset_x
      - .offset:         104
        .size:           8
        .value_kind:     hidden_global_offset_y
      - .offset:         112
        .size:           8
        .value_kind:     hidden_global_offset_z
      - .offset:         120
        .size:           2
        .value_kind:     hidden_grid_dims
    .group_segment_fixed_size: 0
    .kernarg_segment_align: 8
    .kernarg_segment_size: 312
    .language:       OpenCL C
    .language_version:
      - 2
      - 0
    .max_flat_workgroup_size: 256
    .name:           _ZN7rocprim17ROCPRIM_400000_NS6detail17trampoline_kernelINS0_14default_configENS1_27lower_bound_config_selectorIflEEZNS1_14transform_implILb0ES3_S5_N6thrust23THRUST_200600_302600_NS17counting_iteratorIfNS8_11use_defaultESA_SA_EEPlZNS1_13binary_searchIS3_S5_PfSB_SC_NS1_21lower_bound_search_opENS8_6detail16wrapped_functionI11custom_lessbEEEE10hipError_tPvRmT1_T2_T3_mmT4_T5_P12ihipStream_tbEUlRKfE_EESK_SO_SP_mSQ_ST_bEUlT_E_NS1_11comp_targetILNS1_3genE4ELNS1_11target_archE910ELNS1_3gpuE8ELNS1_3repE0EEENS1_30default_config_static_selectorELNS0_4arch9wavefront6targetE1EEEvSN_
    .private_segment_fixed_size: 0
    .sgpr_count:     20
    .sgpr_spill_count: 0
    .symbol:         _ZN7rocprim17ROCPRIM_400000_NS6detail17trampoline_kernelINS0_14default_configENS1_27lower_bound_config_selectorIflEEZNS1_14transform_implILb0ES3_S5_N6thrust23THRUST_200600_302600_NS17counting_iteratorIfNS8_11use_defaultESA_SA_EEPlZNS1_13binary_searchIS3_S5_PfSB_SC_NS1_21lower_bound_search_opENS8_6detail16wrapped_functionI11custom_lessbEEEE10hipError_tPvRmT1_T2_T3_mmT4_T5_P12ihipStream_tbEUlRKfE_EESK_SO_SP_mSQ_ST_bEUlT_E_NS1_11comp_targetILNS1_3genE4ELNS1_11target_archE910ELNS1_3gpuE8ELNS1_3repE0EEENS1_30default_config_static_selectorELNS0_4arch9wavefront6targetE1EEEvSN_.kd
    .uniform_work_group_size: 1
    .uses_dynamic_stack: false
    .vgpr_count:     13
    .vgpr_spill_count: 0
    .wavefront_size: 64
  - .agpr_count:     0
    .args:
      - .offset:         0
        .size:           56
        .value_kind:     by_value
    .group_segment_fixed_size: 0
    .kernarg_segment_align: 8
    .kernarg_segment_size: 56
    .language:       OpenCL C
    .language_version:
      - 2
      - 0
    .max_flat_workgroup_size: 256
    .name:           _ZN7rocprim17ROCPRIM_400000_NS6detail17trampoline_kernelINS0_14default_configENS1_27lower_bound_config_selectorIflEEZNS1_14transform_implILb0ES3_S5_N6thrust23THRUST_200600_302600_NS17counting_iteratorIfNS8_11use_defaultESA_SA_EEPlZNS1_13binary_searchIS3_S5_PfSB_SC_NS1_21lower_bound_search_opENS8_6detail16wrapped_functionI11custom_lessbEEEE10hipError_tPvRmT1_T2_T3_mmT4_T5_P12ihipStream_tbEUlRKfE_EESK_SO_SP_mSQ_ST_bEUlT_E_NS1_11comp_targetILNS1_3genE3ELNS1_11target_archE908ELNS1_3gpuE7ELNS1_3repE0EEENS1_30default_config_static_selectorELNS0_4arch9wavefront6targetE1EEEvSN_
    .private_segment_fixed_size: 0
    .sgpr_count:     4
    .sgpr_spill_count: 0
    .symbol:         _ZN7rocprim17ROCPRIM_400000_NS6detail17trampoline_kernelINS0_14default_configENS1_27lower_bound_config_selectorIflEEZNS1_14transform_implILb0ES3_S5_N6thrust23THRUST_200600_302600_NS17counting_iteratorIfNS8_11use_defaultESA_SA_EEPlZNS1_13binary_searchIS3_S5_PfSB_SC_NS1_21lower_bound_search_opENS8_6detail16wrapped_functionI11custom_lessbEEEE10hipError_tPvRmT1_T2_T3_mmT4_T5_P12ihipStream_tbEUlRKfE_EESK_SO_SP_mSQ_ST_bEUlT_E_NS1_11comp_targetILNS1_3genE3ELNS1_11target_archE908ELNS1_3gpuE7ELNS1_3repE0EEENS1_30default_config_static_selectorELNS0_4arch9wavefront6targetE1EEEvSN_.kd
    .uniform_work_group_size: 1
    .uses_dynamic_stack: false
    .vgpr_count:     0
    .vgpr_spill_count: 0
    .wavefront_size: 64
  - .agpr_count:     0
    .args:
      - .offset:         0
        .size:           56
        .value_kind:     by_value
    .group_segment_fixed_size: 0
    .kernarg_segment_align: 8
    .kernarg_segment_size: 56
    .language:       OpenCL C
    .language_version:
      - 2
      - 0
    .max_flat_workgroup_size: 256
    .name:           _ZN7rocprim17ROCPRIM_400000_NS6detail17trampoline_kernelINS0_14default_configENS1_27lower_bound_config_selectorIflEEZNS1_14transform_implILb0ES3_S5_N6thrust23THRUST_200600_302600_NS17counting_iteratorIfNS8_11use_defaultESA_SA_EEPlZNS1_13binary_searchIS3_S5_PfSB_SC_NS1_21lower_bound_search_opENS8_6detail16wrapped_functionI11custom_lessbEEEE10hipError_tPvRmT1_T2_T3_mmT4_T5_P12ihipStream_tbEUlRKfE_EESK_SO_SP_mSQ_ST_bEUlT_E_NS1_11comp_targetILNS1_3genE2ELNS1_11target_archE906ELNS1_3gpuE6ELNS1_3repE0EEENS1_30default_config_static_selectorELNS0_4arch9wavefront6targetE1EEEvSN_
    .private_segment_fixed_size: 0
    .sgpr_count:     4
    .sgpr_spill_count: 0
    .symbol:         _ZN7rocprim17ROCPRIM_400000_NS6detail17trampoline_kernelINS0_14default_configENS1_27lower_bound_config_selectorIflEEZNS1_14transform_implILb0ES3_S5_N6thrust23THRUST_200600_302600_NS17counting_iteratorIfNS8_11use_defaultESA_SA_EEPlZNS1_13binary_searchIS3_S5_PfSB_SC_NS1_21lower_bound_search_opENS8_6detail16wrapped_functionI11custom_lessbEEEE10hipError_tPvRmT1_T2_T3_mmT4_T5_P12ihipStream_tbEUlRKfE_EESK_SO_SP_mSQ_ST_bEUlT_E_NS1_11comp_targetILNS1_3genE2ELNS1_11target_archE906ELNS1_3gpuE6ELNS1_3repE0EEENS1_30default_config_static_selectorELNS0_4arch9wavefront6targetE1EEEvSN_.kd
    .uniform_work_group_size: 1
    .uses_dynamic_stack: false
    .vgpr_count:     0
    .vgpr_spill_count: 0
    .wavefront_size: 64
  - .agpr_count:     0
    .args:
      - .offset:         0
        .size:           56
        .value_kind:     by_value
    .group_segment_fixed_size: 0
    .kernarg_segment_align: 8
    .kernarg_segment_size: 56
    .language:       OpenCL C
    .language_version:
      - 2
      - 0
    .max_flat_workgroup_size: 128
    .name:           _ZN7rocprim17ROCPRIM_400000_NS6detail17trampoline_kernelINS0_14default_configENS1_27lower_bound_config_selectorIflEEZNS1_14transform_implILb0ES3_S5_N6thrust23THRUST_200600_302600_NS17counting_iteratorIfNS8_11use_defaultESA_SA_EEPlZNS1_13binary_searchIS3_S5_PfSB_SC_NS1_21lower_bound_search_opENS8_6detail16wrapped_functionI11custom_lessbEEEE10hipError_tPvRmT1_T2_T3_mmT4_T5_P12ihipStream_tbEUlRKfE_EESK_SO_SP_mSQ_ST_bEUlT_E_NS1_11comp_targetILNS1_3genE10ELNS1_11target_archE1201ELNS1_3gpuE5ELNS1_3repE0EEENS1_30default_config_static_selectorELNS0_4arch9wavefront6targetE1EEEvSN_
    .private_segment_fixed_size: 0
    .sgpr_count:     4
    .sgpr_spill_count: 0
    .symbol:         _ZN7rocprim17ROCPRIM_400000_NS6detail17trampoline_kernelINS0_14default_configENS1_27lower_bound_config_selectorIflEEZNS1_14transform_implILb0ES3_S5_N6thrust23THRUST_200600_302600_NS17counting_iteratorIfNS8_11use_defaultESA_SA_EEPlZNS1_13binary_searchIS3_S5_PfSB_SC_NS1_21lower_bound_search_opENS8_6detail16wrapped_functionI11custom_lessbEEEE10hipError_tPvRmT1_T2_T3_mmT4_T5_P12ihipStream_tbEUlRKfE_EESK_SO_SP_mSQ_ST_bEUlT_E_NS1_11comp_targetILNS1_3genE10ELNS1_11target_archE1201ELNS1_3gpuE5ELNS1_3repE0EEENS1_30default_config_static_selectorELNS0_4arch9wavefront6targetE1EEEvSN_.kd
    .uniform_work_group_size: 1
    .uses_dynamic_stack: false
    .vgpr_count:     0
    .vgpr_spill_count: 0
    .wavefront_size: 64
  - .agpr_count:     0
    .args:
      - .offset:         0
        .size:           56
        .value_kind:     by_value
    .group_segment_fixed_size: 0
    .kernarg_segment_align: 8
    .kernarg_segment_size: 56
    .language:       OpenCL C
    .language_version:
      - 2
      - 0
    .max_flat_workgroup_size: 128
    .name:           _ZN7rocprim17ROCPRIM_400000_NS6detail17trampoline_kernelINS0_14default_configENS1_27lower_bound_config_selectorIflEEZNS1_14transform_implILb0ES3_S5_N6thrust23THRUST_200600_302600_NS17counting_iteratorIfNS8_11use_defaultESA_SA_EEPlZNS1_13binary_searchIS3_S5_PfSB_SC_NS1_21lower_bound_search_opENS8_6detail16wrapped_functionI11custom_lessbEEEE10hipError_tPvRmT1_T2_T3_mmT4_T5_P12ihipStream_tbEUlRKfE_EESK_SO_SP_mSQ_ST_bEUlT_E_NS1_11comp_targetILNS1_3genE10ELNS1_11target_archE1200ELNS1_3gpuE4ELNS1_3repE0EEENS1_30default_config_static_selectorELNS0_4arch9wavefront6targetE1EEEvSN_
    .private_segment_fixed_size: 0
    .sgpr_count:     4
    .sgpr_spill_count: 0
    .symbol:         _ZN7rocprim17ROCPRIM_400000_NS6detail17trampoline_kernelINS0_14default_configENS1_27lower_bound_config_selectorIflEEZNS1_14transform_implILb0ES3_S5_N6thrust23THRUST_200600_302600_NS17counting_iteratorIfNS8_11use_defaultESA_SA_EEPlZNS1_13binary_searchIS3_S5_PfSB_SC_NS1_21lower_bound_search_opENS8_6detail16wrapped_functionI11custom_lessbEEEE10hipError_tPvRmT1_T2_T3_mmT4_T5_P12ihipStream_tbEUlRKfE_EESK_SO_SP_mSQ_ST_bEUlT_E_NS1_11comp_targetILNS1_3genE10ELNS1_11target_archE1200ELNS1_3gpuE4ELNS1_3repE0EEENS1_30default_config_static_selectorELNS0_4arch9wavefront6targetE1EEEvSN_.kd
    .uniform_work_group_size: 1
    .uses_dynamic_stack: false
    .vgpr_count:     0
    .vgpr_spill_count: 0
    .wavefront_size: 64
  - .agpr_count:     0
    .args:
      - .offset:         0
        .size:           56
        .value_kind:     by_value
    .group_segment_fixed_size: 0
    .kernarg_segment_align: 8
    .kernarg_segment_size: 56
    .language:       OpenCL C
    .language_version:
      - 2
      - 0
    .max_flat_workgroup_size: 256
    .name:           _ZN7rocprim17ROCPRIM_400000_NS6detail17trampoline_kernelINS0_14default_configENS1_27lower_bound_config_selectorIflEEZNS1_14transform_implILb0ES3_S5_N6thrust23THRUST_200600_302600_NS17counting_iteratorIfNS8_11use_defaultESA_SA_EEPlZNS1_13binary_searchIS3_S5_PfSB_SC_NS1_21lower_bound_search_opENS8_6detail16wrapped_functionI11custom_lessbEEEE10hipError_tPvRmT1_T2_T3_mmT4_T5_P12ihipStream_tbEUlRKfE_EESK_SO_SP_mSQ_ST_bEUlT_E_NS1_11comp_targetILNS1_3genE9ELNS1_11target_archE1100ELNS1_3gpuE3ELNS1_3repE0EEENS1_30default_config_static_selectorELNS0_4arch9wavefront6targetE1EEEvSN_
    .private_segment_fixed_size: 0
    .sgpr_count:     4
    .sgpr_spill_count: 0
    .symbol:         _ZN7rocprim17ROCPRIM_400000_NS6detail17trampoline_kernelINS0_14default_configENS1_27lower_bound_config_selectorIflEEZNS1_14transform_implILb0ES3_S5_N6thrust23THRUST_200600_302600_NS17counting_iteratorIfNS8_11use_defaultESA_SA_EEPlZNS1_13binary_searchIS3_S5_PfSB_SC_NS1_21lower_bound_search_opENS8_6detail16wrapped_functionI11custom_lessbEEEE10hipError_tPvRmT1_T2_T3_mmT4_T5_P12ihipStream_tbEUlRKfE_EESK_SO_SP_mSQ_ST_bEUlT_E_NS1_11comp_targetILNS1_3genE9ELNS1_11target_archE1100ELNS1_3gpuE3ELNS1_3repE0EEENS1_30default_config_static_selectorELNS0_4arch9wavefront6targetE1EEEvSN_.kd
    .uniform_work_group_size: 1
    .uses_dynamic_stack: false
    .vgpr_count:     0
    .vgpr_spill_count: 0
    .wavefront_size: 64
  - .agpr_count:     0
    .args:
      - .offset:         0
        .size:           56
        .value_kind:     by_value
    .group_segment_fixed_size: 0
    .kernarg_segment_align: 8
    .kernarg_segment_size: 56
    .language:       OpenCL C
    .language_version:
      - 2
      - 0
    .max_flat_workgroup_size: 256
    .name:           _ZN7rocprim17ROCPRIM_400000_NS6detail17trampoline_kernelINS0_14default_configENS1_27lower_bound_config_selectorIflEEZNS1_14transform_implILb0ES3_S5_N6thrust23THRUST_200600_302600_NS17counting_iteratorIfNS8_11use_defaultESA_SA_EEPlZNS1_13binary_searchIS3_S5_PfSB_SC_NS1_21lower_bound_search_opENS8_6detail16wrapped_functionI11custom_lessbEEEE10hipError_tPvRmT1_T2_T3_mmT4_T5_P12ihipStream_tbEUlRKfE_EESK_SO_SP_mSQ_ST_bEUlT_E_NS1_11comp_targetILNS1_3genE8ELNS1_11target_archE1030ELNS1_3gpuE2ELNS1_3repE0EEENS1_30default_config_static_selectorELNS0_4arch9wavefront6targetE1EEEvSN_
    .private_segment_fixed_size: 0
    .sgpr_count:     4
    .sgpr_spill_count: 0
    .symbol:         _ZN7rocprim17ROCPRIM_400000_NS6detail17trampoline_kernelINS0_14default_configENS1_27lower_bound_config_selectorIflEEZNS1_14transform_implILb0ES3_S5_N6thrust23THRUST_200600_302600_NS17counting_iteratorIfNS8_11use_defaultESA_SA_EEPlZNS1_13binary_searchIS3_S5_PfSB_SC_NS1_21lower_bound_search_opENS8_6detail16wrapped_functionI11custom_lessbEEEE10hipError_tPvRmT1_T2_T3_mmT4_T5_P12ihipStream_tbEUlRKfE_EESK_SO_SP_mSQ_ST_bEUlT_E_NS1_11comp_targetILNS1_3genE8ELNS1_11target_archE1030ELNS1_3gpuE2ELNS1_3repE0EEENS1_30default_config_static_selectorELNS0_4arch9wavefront6targetE1EEEvSN_.kd
    .uniform_work_group_size: 1
    .uses_dynamic_stack: false
    .vgpr_count:     0
    .vgpr_spill_count: 0
    .wavefront_size: 64
  - .agpr_count:     0
    .args:
      - .offset:         0
        .size:           16
        .value_kind:     by_value
      - .offset:         16
        .size:           8
        .value_kind:     by_value
      - .offset:         24
        .size:           8
        .value_kind:     by_value
    .group_segment_fixed_size: 0
    .kernarg_segment_align: 8
    .kernarg_segment_size: 32
    .language:       OpenCL C
    .language_version:
      - 2
      - 0
    .max_flat_workgroup_size: 256
    .name:           _ZN6thrust23THRUST_200600_302600_NS11hip_rocprim14__parallel_for6kernelILj256ENS1_20__uninitialized_fill7functorINS0_10device_ptrIyEEyEEmLj1EEEvT0_T1_SA_
    .private_segment_fixed_size: 0
    .sgpr_count:     20
    .sgpr_spill_count: 0
    .symbol:         _ZN6thrust23THRUST_200600_302600_NS11hip_rocprim14__parallel_for6kernelILj256ENS1_20__uninitialized_fill7functorINS0_10device_ptrIyEEyEEmLj1EEEvT0_T1_SA_.kd
    .uniform_work_group_size: 1
    .uses_dynamic_stack: false
    .vgpr_count:     5
    .vgpr_spill_count: 0
    .wavefront_size: 64
  - .agpr_count:     0
    .args:
      - .offset:         0
        .size:           8
        .value_kind:     by_value
      - .address_space:  global
        .offset:         8
        .size:           8
        .value_kind:     global_buffer
      - .address_space:  global
        .offset:         16
        .size:           8
        .value_kind:     global_buffer
    .group_segment_fixed_size: 0
    .kernarg_segment_align: 8
    .kernarg_segment_size: 24
    .language:       OpenCL C
    .language_version:
      - 2
      - 0
    .max_flat_workgroup_size: 256
    .name:           _Z18lower_bound_kernelIyEvmPT_Pl
    .private_segment_fixed_size: 0
    .sgpr_count:     24
    .sgpr_spill_count: 0
    .symbol:         _Z18lower_bound_kernelIyEvmPT_Pl.kd
    .uniform_work_group_size: 1
    .uses_dynamic_stack: false
    .vgpr_count:     4
    .vgpr_spill_count: 0
    .wavefront_size: 64
  - .agpr_count:     0
    .args:
      - .offset:         0
        .size:           56
        .value_kind:     by_value
    .group_segment_fixed_size: 0
    .kernarg_segment_align: 8
    .kernarg_segment_size: 56
    .language:       OpenCL C
    .language_version:
      - 2
      - 0
    .max_flat_workgroup_size: 128
    .name:           _ZN7rocprim17ROCPRIM_400000_NS6detail17trampoline_kernelINS0_14default_configENS1_27lower_bound_config_selectorIylEEZNS1_14transform_implILb0ES3_S5_N6thrust23THRUST_200600_302600_NS17counting_iteratorIyNS8_11use_defaultESA_SA_EEPlZNS1_13binary_searchIS3_S5_PySB_SC_NS1_21lower_bound_search_opENS8_6detail16wrapped_functionI11custom_lessbEEEE10hipError_tPvRmT1_T2_T3_mmT4_T5_P12ihipStream_tbEUlRKyE_EESK_SO_SP_mSQ_ST_bEUlT_E_NS1_11comp_targetILNS1_3genE0ELNS1_11target_archE4294967295ELNS1_3gpuE0ELNS1_3repE0EEENS1_30default_config_static_selectorELNS0_4arch9wavefront6targetE1EEEvSN_
    .private_segment_fixed_size: 0
    .sgpr_count:     4
    .sgpr_spill_count: 0
    .symbol:         _ZN7rocprim17ROCPRIM_400000_NS6detail17trampoline_kernelINS0_14default_configENS1_27lower_bound_config_selectorIylEEZNS1_14transform_implILb0ES3_S5_N6thrust23THRUST_200600_302600_NS17counting_iteratorIyNS8_11use_defaultESA_SA_EEPlZNS1_13binary_searchIS3_S5_PySB_SC_NS1_21lower_bound_search_opENS8_6detail16wrapped_functionI11custom_lessbEEEE10hipError_tPvRmT1_T2_T3_mmT4_T5_P12ihipStream_tbEUlRKyE_EESK_SO_SP_mSQ_ST_bEUlT_E_NS1_11comp_targetILNS1_3genE0ELNS1_11target_archE4294967295ELNS1_3gpuE0ELNS1_3repE0EEENS1_30default_config_static_selectorELNS0_4arch9wavefront6targetE1EEEvSN_.kd
    .uniform_work_group_size: 1
    .uses_dynamic_stack: false
    .vgpr_count:     0
    .vgpr_spill_count: 0
    .wavefront_size: 64
  - .agpr_count:     0
    .args:
      - .offset:         0
        .size:           56
        .value_kind:     by_value
    .group_segment_fixed_size: 0
    .kernarg_segment_align: 8
    .kernarg_segment_size: 56
    .language:       OpenCL C
    .language_version:
      - 2
      - 0
    .max_flat_workgroup_size: 64
    .name:           _ZN7rocprim17ROCPRIM_400000_NS6detail17trampoline_kernelINS0_14default_configENS1_27lower_bound_config_selectorIylEEZNS1_14transform_implILb0ES3_S5_N6thrust23THRUST_200600_302600_NS17counting_iteratorIyNS8_11use_defaultESA_SA_EEPlZNS1_13binary_searchIS3_S5_PySB_SC_NS1_21lower_bound_search_opENS8_6detail16wrapped_functionI11custom_lessbEEEE10hipError_tPvRmT1_T2_T3_mmT4_T5_P12ihipStream_tbEUlRKyE_EESK_SO_SP_mSQ_ST_bEUlT_E_NS1_11comp_targetILNS1_3genE5ELNS1_11target_archE942ELNS1_3gpuE9ELNS1_3repE0EEENS1_30default_config_static_selectorELNS0_4arch9wavefront6targetE1EEEvSN_
    .private_segment_fixed_size: 0
    .sgpr_count:     4
    .sgpr_spill_count: 0
    .symbol:         _ZN7rocprim17ROCPRIM_400000_NS6detail17trampoline_kernelINS0_14default_configENS1_27lower_bound_config_selectorIylEEZNS1_14transform_implILb0ES3_S5_N6thrust23THRUST_200600_302600_NS17counting_iteratorIyNS8_11use_defaultESA_SA_EEPlZNS1_13binary_searchIS3_S5_PySB_SC_NS1_21lower_bound_search_opENS8_6detail16wrapped_functionI11custom_lessbEEEE10hipError_tPvRmT1_T2_T3_mmT4_T5_P12ihipStream_tbEUlRKyE_EESK_SO_SP_mSQ_ST_bEUlT_E_NS1_11comp_targetILNS1_3genE5ELNS1_11target_archE942ELNS1_3gpuE9ELNS1_3repE0EEENS1_30default_config_static_selectorELNS0_4arch9wavefront6targetE1EEEvSN_.kd
    .uniform_work_group_size: 1
    .uses_dynamic_stack: false
    .vgpr_count:     0
    .vgpr_spill_count: 0
    .wavefront_size: 64
  - .agpr_count:     0
    .args:
      - .offset:         0
        .size:           56
        .value_kind:     by_value
      - .offset:         56
        .size:           4
        .value_kind:     hidden_block_count_x
      - .offset:         60
        .size:           4
        .value_kind:     hidden_block_count_y
      - .offset:         64
        .size:           4
        .value_kind:     hidden_block_count_z
      - .offset:         68
        .size:           2
        .value_kind:     hidden_group_size_x
      - .offset:         70
        .size:           2
        .value_kind:     hidden_group_size_y
      - .offset:         72
        .size:           2
        .value_kind:     hidden_group_size_z
      - .offset:         74
        .size:           2
        .value_kind:     hidden_remainder_x
      - .offset:         76
        .size:           2
        .value_kind:     hidden_remainder_y
      - .offset:         78
        .size:           2
        .value_kind:     hidden_remainder_z
      - .offset:         96
        .size:           8
        .value_kind:     hidden_global_offset_x
      - .offset:         104
        .size:           8
        .value_kind:     hidden_global_offset_y
      - .offset:         112
        .size:           8
        .value_kind:     hidden_global_offset_z
      - .offset:         120
        .size:           2
        .value_kind:     hidden_grid_dims
    .group_segment_fixed_size: 0
    .kernarg_segment_align: 8
    .kernarg_segment_size: 312
    .language:       OpenCL C
    .language_version:
      - 2
      - 0
    .max_flat_workgroup_size: 64
    .name:           _ZN7rocprim17ROCPRIM_400000_NS6detail17trampoline_kernelINS0_14default_configENS1_27lower_bound_config_selectorIylEEZNS1_14transform_implILb0ES3_S5_N6thrust23THRUST_200600_302600_NS17counting_iteratorIyNS8_11use_defaultESA_SA_EEPlZNS1_13binary_searchIS3_S5_PySB_SC_NS1_21lower_bound_search_opENS8_6detail16wrapped_functionI11custom_lessbEEEE10hipError_tPvRmT1_T2_T3_mmT4_T5_P12ihipStream_tbEUlRKyE_EESK_SO_SP_mSQ_ST_bEUlT_E_NS1_11comp_targetILNS1_3genE4ELNS1_11target_archE910ELNS1_3gpuE8ELNS1_3repE0EEENS1_30default_config_static_selectorELNS0_4arch9wavefront6targetE1EEEvSN_
    .private_segment_fixed_size: 0
    .sgpr_count:     22
    .sgpr_spill_count: 0
    .symbol:         _ZN7rocprim17ROCPRIM_400000_NS6detail17trampoline_kernelINS0_14default_configENS1_27lower_bound_config_selectorIylEEZNS1_14transform_implILb0ES3_S5_N6thrust23THRUST_200600_302600_NS17counting_iteratorIyNS8_11use_defaultESA_SA_EEPlZNS1_13binary_searchIS3_S5_PySB_SC_NS1_21lower_bound_search_opENS8_6detail16wrapped_functionI11custom_lessbEEEE10hipError_tPvRmT1_T2_T3_mmT4_T5_P12ihipStream_tbEUlRKyE_EESK_SO_SP_mSQ_ST_bEUlT_E_NS1_11comp_targetILNS1_3genE4ELNS1_11target_archE910ELNS1_3gpuE8ELNS1_3repE0EEENS1_30default_config_static_selectorELNS0_4arch9wavefront6targetE1EEEvSN_.kd
    .uniform_work_group_size: 1
    .uses_dynamic_stack: false
    .vgpr_count:     15
    .vgpr_spill_count: 0
    .wavefront_size: 64
  - .agpr_count:     0
    .args:
      - .offset:         0
        .size:           56
        .value_kind:     by_value
    .group_segment_fixed_size: 0
    .kernarg_segment_align: 8
    .kernarg_segment_size: 56
    .language:       OpenCL C
    .language_version:
      - 2
      - 0
    .max_flat_workgroup_size: 128
    .name:           _ZN7rocprim17ROCPRIM_400000_NS6detail17trampoline_kernelINS0_14default_configENS1_27lower_bound_config_selectorIylEEZNS1_14transform_implILb0ES3_S5_N6thrust23THRUST_200600_302600_NS17counting_iteratorIyNS8_11use_defaultESA_SA_EEPlZNS1_13binary_searchIS3_S5_PySB_SC_NS1_21lower_bound_search_opENS8_6detail16wrapped_functionI11custom_lessbEEEE10hipError_tPvRmT1_T2_T3_mmT4_T5_P12ihipStream_tbEUlRKyE_EESK_SO_SP_mSQ_ST_bEUlT_E_NS1_11comp_targetILNS1_3genE3ELNS1_11target_archE908ELNS1_3gpuE7ELNS1_3repE0EEENS1_30default_config_static_selectorELNS0_4arch9wavefront6targetE1EEEvSN_
    .private_segment_fixed_size: 0
    .sgpr_count:     4
    .sgpr_spill_count: 0
    .symbol:         _ZN7rocprim17ROCPRIM_400000_NS6detail17trampoline_kernelINS0_14default_configENS1_27lower_bound_config_selectorIylEEZNS1_14transform_implILb0ES3_S5_N6thrust23THRUST_200600_302600_NS17counting_iteratorIyNS8_11use_defaultESA_SA_EEPlZNS1_13binary_searchIS3_S5_PySB_SC_NS1_21lower_bound_search_opENS8_6detail16wrapped_functionI11custom_lessbEEEE10hipError_tPvRmT1_T2_T3_mmT4_T5_P12ihipStream_tbEUlRKyE_EESK_SO_SP_mSQ_ST_bEUlT_E_NS1_11comp_targetILNS1_3genE3ELNS1_11target_archE908ELNS1_3gpuE7ELNS1_3repE0EEENS1_30default_config_static_selectorELNS0_4arch9wavefront6targetE1EEEvSN_.kd
    .uniform_work_group_size: 1
    .uses_dynamic_stack: false
    .vgpr_count:     0
    .vgpr_spill_count: 0
    .wavefront_size: 64
  - .agpr_count:     0
    .args:
      - .offset:         0
        .size:           56
        .value_kind:     by_value
    .group_segment_fixed_size: 0
    .kernarg_segment_align: 8
    .kernarg_segment_size: 56
    .language:       OpenCL C
    .language_version:
      - 2
      - 0
    .max_flat_workgroup_size: 256
    .name:           _ZN7rocprim17ROCPRIM_400000_NS6detail17trampoline_kernelINS0_14default_configENS1_27lower_bound_config_selectorIylEEZNS1_14transform_implILb0ES3_S5_N6thrust23THRUST_200600_302600_NS17counting_iteratorIyNS8_11use_defaultESA_SA_EEPlZNS1_13binary_searchIS3_S5_PySB_SC_NS1_21lower_bound_search_opENS8_6detail16wrapped_functionI11custom_lessbEEEE10hipError_tPvRmT1_T2_T3_mmT4_T5_P12ihipStream_tbEUlRKyE_EESK_SO_SP_mSQ_ST_bEUlT_E_NS1_11comp_targetILNS1_3genE2ELNS1_11target_archE906ELNS1_3gpuE6ELNS1_3repE0EEENS1_30default_config_static_selectorELNS0_4arch9wavefront6targetE1EEEvSN_
    .private_segment_fixed_size: 0
    .sgpr_count:     4
    .sgpr_spill_count: 0
    .symbol:         _ZN7rocprim17ROCPRIM_400000_NS6detail17trampoline_kernelINS0_14default_configENS1_27lower_bound_config_selectorIylEEZNS1_14transform_implILb0ES3_S5_N6thrust23THRUST_200600_302600_NS17counting_iteratorIyNS8_11use_defaultESA_SA_EEPlZNS1_13binary_searchIS3_S5_PySB_SC_NS1_21lower_bound_search_opENS8_6detail16wrapped_functionI11custom_lessbEEEE10hipError_tPvRmT1_T2_T3_mmT4_T5_P12ihipStream_tbEUlRKyE_EESK_SO_SP_mSQ_ST_bEUlT_E_NS1_11comp_targetILNS1_3genE2ELNS1_11target_archE906ELNS1_3gpuE6ELNS1_3repE0EEENS1_30default_config_static_selectorELNS0_4arch9wavefront6targetE1EEEvSN_.kd
    .uniform_work_group_size: 1
    .uses_dynamic_stack: false
    .vgpr_count:     0
    .vgpr_spill_count: 0
    .wavefront_size: 64
  - .agpr_count:     0
    .args:
      - .offset:         0
        .size:           56
        .value_kind:     by_value
    .group_segment_fixed_size: 0
    .kernarg_segment_align: 8
    .kernarg_segment_size: 56
    .language:       OpenCL C
    .language_version:
      - 2
      - 0
    .max_flat_workgroup_size: 128
    .name:           _ZN7rocprim17ROCPRIM_400000_NS6detail17trampoline_kernelINS0_14default_configENS1_27lower_bound_config_selectorIylEEZNS1_14transform_implILb0ES3_S5_N6thrust23THRUST_200600_302600_NS17counting_iteratorIyNS8_11use_defaultESA_SA_EEPlZNS1_13binary_searchIS3_S5_PySB_SC_NS1_21lower_bound_search_opENS8_6detail16wrapped_functionI11custom_lessbEEEE10hipError_tPvRmT1_T2_T3_mmT4_T5_P12ihipStream_tbEUlRKyE_EESK_SO_SP_mSQ_ST_bEUlT_E_NS1_11comp_targetILNS1_3genE10ELNS1_11target_archE1201ELNS1_3gpuE5ELNS1_3repE0EEENS1_30default_config_static_selectorELNS0_4arch9wavefront6targetE1EEEvSN_
    .private_segment_fixed_size: 0
    .sgpr_count:     4
    .sgpr_spill_count: 0
    .symbol:         _ZN7rocprim17ROCPRIM_400000_NS6detail17trampoline_kernelINS0_14default_configENS1_27lower_bound_config_selectorIylEEZNS1_14transform_implILb0ES3_S5_N6thrust23THRUST_200600_302600_NS17counting_iteratorIyNS8_11use_defaultESA_SA_EEPlZNS1_13binary_searchIS3_S5_PySB_SC_NS1_21lower_bound_search_opENS8_6detail16wrapped_functionI11custom_lessbEEEE10hipError_tPvRmT1_T2_T3_mmT4_T5_P12ihipStream_tbEUlRKyE_EESK_SO_SP_mSQ_ST_bEUlT_E_NS1_11comp_targetILNS1_3genE10ELNS1_11target_archE1201ELNS1_3gpuE5ELNS1_3repE0EEENS1_30default_config_static_selectorELNS0_4arch9wavefront6targetE1EEEvSN_.kd
    .uniform_work_group_size: 1
    .uses_dynamic_stack: false
    .vgpr_count:     0
    .vgpr_spill_count: 0
    .wavefront_size: 64
  - .agpr_count:     0
    .args:
      - .offset:         0
        .size:           56
        .value_kind:     by_value
    .group_segment_fixed_size: 0
    .kernarg_segment_align: 8
    .kernarg_segment_size: 56
    .language:       OpenCL C
    .language_version:
      - 2
      - 0
    .max_flat_workgroup_size: 128
    .name:           _ZN7rocprim17ROCPRIM_400000_NS6detail17trampoline_kernelINS0_14default_configENS1_27lower_bound_config_selectorIylEEZNS1_14transform_implILb0ES3_S5_N6thrust23THRUST_200600_302600_NS17counting_iteratorIyNS8_11use_defaultESA_SA_EEPlZNS1_13binary_searchIS3_S5_PySB_SC_NS1_21lower_bound_search_opENS8_6detail16wrapped_functionI11custom_lessbEEEE10hipError_tPvRmT1_T2_T3_mmT4_T5_P12ihipStream_tbEUlRKyE_EESK_SO_SP_mSQ_ST_bEUlT_E_NS1_11comp_targetILNS1_3genE10ELNS1_11target_archE1200ELNS1_3gpuE4ELNS1_3repE0EEENS1_30default_config_static_selectorELNS0_4arch9wavefront6targetE1EEEvSN_
    .private_segment_fixed_size: 0
    .sgpr_count:     4
    .sgpr_spill_count: 0
    .symbol:         _ZN7rocprim17ROCPRIM_400000_NS6detail17trampoline_kernelINS0_14default_configENS1_27lower_bound_config_selectorIylEEZNS1_14transform_implILb0ES3_S5_N6thrust23THRUST_200600_302600_NS17counting_iteratorIyNS8_11use_defaultESA_SA_EEPlZNS1_13binary_searchIS3_S5_PySB_SC_NS1_21lower_bound_search_opENS8_6detail16wrapped_functionI11custom_lessbEEEE10hipError_tPvRmT1_T2_T3_mmT4_T5_P12ihipStream_tbEUlRKyE_EESK_SO_SP_mSQ_ST_bEUlT_E_NS1_11comp_targetILNS1_3genE10ELNS1_11target_archE1200ELNS1_3gpuE4ELNS1_3repE0EEENS1_30default_config_static_selectorELNS0_4arch9wavefront6targetE1EEEvSN_.kd
    .uniform_work_group_size: 1
    .uses_dynamic_stack: false
    .vgpr_count:     0
    .vgpr_spill_count: 0
    .wavefront_size: 64
  - .agpr_count:     0
    .args:
      - .offset:         0
        .size:           56
        .value_kind:     by_value
    .group_segment_fixed_size: 0
    .kernarg_segment_align: 8
    .kernarg_segment_size: 56
    .language:       OpenCL C
    .language_version:
      - 2
      - 0
    .max_flat_workgroup_size: 256
    .name:           _ZN7rocprim17ROCPRIM_400000_NS6detail17trampoline_kernelINS0_14default_configENS1_27lower_bound_config_selectorIylEEZNS1_14transform_implILb0ES3_S5_N6thrust23THRUST_200600_302600_NS17counting_iteratorIyNS8_11use_defaultESA_SA_EEPlZNS1_13binary_searchIS3_S5_PySB_SC_NS1_21lower_bound_search_opENS8_6detail16wrapped_functionI11custom_lessbEEEE10hipError_tPvRmT1_T2_T3_mmT4_T5_P12ihipStream_tbEUlRKyE_EESK_SO_SP_mSQ_ST_bEUlT_E_NS1_11comp_targetILNS1_3genE9ELNS1_11target_archE1100ELNS1_3gpuE3ELNS1_3repE0EEENS1_30default_config_static_selectorELNS0_4arch9wavefront6targetE1EEEvSN_
    .private_segment_fixed_size: 0
    .sgpr_count:     4
    .sgpr_spill_count: 0
    .symbol:         _ZN7rocprim17ROCPRIM_400000_NS6detail17trampoline_kernelINS0_14default_configENS1_27lower_bound_config_selectorIylEEZNS1_14transform_implILb0ES3_S5_N6thrust23THRUST_200600_302600_NS17counting_iteratorIyNS8_11use_defaultESA_SA_EEPlZNS1_13binary_searchIS3_S5_PySB_SC_NS1_21lower_bound_search_opENS8_6detail16wrapped_functionI11custom_lessbEEEE10hipError_tPvRmT1_T2_T3_mmT4_T5_P12ihipStream_tbEUlRKyE_EESK_SO_SP_mSQ_ST_bEUlT_E_NS1_11comp_targetILNS1_3genE9ELNS1_11target_archE1100ELNS1_3gpuE3ELNS1_3repE0EEENS1_30default_config_static_selectorELNS0_4arch9wavefront6targetE1EEEvSN_.kd
    .uniform_work_group_size: 1
    .uses_dynamic_stack: false
    .vgpr_count:     0
    .vgpr_spill_count: 0
    .wavefront_size: 64
  - .agpr_count:     0
    .args:
      - .offset:         0
        .size:           56
        .value_kind:     by_value
    .group_segment_fixed_size: 0
    .kernarg_segment_align: 8
    .kernarg_segment_size: 56
    .language:       OpenCL C
    .language_version:
      - 2
      - 0
    .max_flat_workgroup_size: 256
    .name:           _ZN7rocprim17ROCPRIM_400000_NS6detail17trampoline_kernelINS0_14default_configENS1_27lower_bound_config_selectorIylEEZNS1_14transform_implILb0ES3_S5_N6thrust23THRUST_200600_302600_NS17counting_iteratorIyNS8_11use_defaultESA_SA_EEPlZNS1_13binary_searchIS3_S5_PySB_SC_NS1_21lower_bound_search_opENS8_6detail16wrapped_functionI11custom_lessbEEEE10hipError_tPvRmT1_T2_T3_mmT4_T5_P12ihipStream_tbEUlRKyE_EESK_SO_SP_mSQ_ST_bEUlT_E_NS1_11comp_targetILNS1_3genE8ELNS1_11target_archE1030ELNS1_3gpuE2ELNS1_3repE0EEENS1_30default_config_static_selectorELNS0_4arch9wavefront6targetE1EEEvSN_
    .private_segment_fixed_size: 0
    .sgpr_count:     4
    .sgpr_spill_count: 0
    .symbol:         _ZN7rocprim17ROCPRIM_400000_NS6detail17trampoline_kernelINS0_14default_configENS1_27lower_bound_config_selectorIylEEZNS1_14transform_implILb0ES3_S5_N6thrust23THRUST_200600_302600_NS17counting_iteratorIyNS8_11use_defaultESA_SA_EEPlZNS1_13binary_searchIS3_S5_PySB_SC_NS1_21lower_bound_search_opENS8_6detail16wrapped_functionI11custom_lessbEEEE10hipError_tPvRmT1_T2_T3_mmT4_T5_P12ihipStream_tbEUlRKyE_EESK_SO_SP_mSQ_ST_bEUlT_E_NS1_11comp_targetILNS1_3genE8ELNS1_11target_archE1030ELNS1_3gpuE2ELNS1_3repE0EEENS1_30default_config_static_selectorELNS0_4arch9wavefront6targetE1EEEvSN_.kd
    .uniform_work_group_size: 1
    .uses_dynamic_stack: false
    .vgpr_count:     0
    .vgpr_spill_count: 0
    .wavefront_size: 64
  - .agpr_count:     0
    .args:
      - .offset:         0
        .size:           16
        .value_kind:     by_value
      - .offset:         16
        .size:           8
        .value_kind:     by_value
      - .offset:         24
        .size:           8
        .value_kind:     by_value
    .group_segment_fixed_size: 0
    .kernarg_segment_align: 8
    .kernarg_segment_size: 32
    .language:       OpenCL C
    .language_version:
      - 2
      - 0
    .max_flat_workgroup_size: 256
    .name:           _ZN6thrust23THRUST_200600_302600_NS11hip_rocprim14__parallel_for6kernelILj256ENS1_20__uninitialized_fill7functorINS0_10device_ptrIjEEjEEmLj1EEEvT0_T1_SA_
    .private_segment_fixed_size: 0
    .sgpr_count:     16
    .sgpr_spill_count: 0
    .symbol:         _ZN6thrust23THRUST_200600_302600_NS11hip_rocprim14__parallel_for6kernelILj256ENS1_20__uninitialized_fill7functorINS0_10device_ptrIjEEjEEmLj1EEEvT0_T1_SA_.kd
    .uniform_work_group_size: 1
    .uses_dynamic_stack: false
    .vgpr_count:     4
    .vgpr_spill_count: 0
    .wavefront_size: 64
  - .agpr_count:     0
    .args:
      - .offset:         0
        .size:           8
        .value_kind:     by_value
      - .address_space:  global
        .offset:         8
        .size:           8
        .value_kind:     global_buffer
      - .address_space:  global
        .offset:         16
        .size:           8
        .value_kind:     global_buffer
    .group_segment_fixed_size: 0
    .kernarg_segment_align: 8
    .kernarg_segment_size: 24
    .language:       OpenCL C
    .language_version:
      - 2
      - 0
    .max_flat_workgroup_size: 256
    .name:           _Z18lower_bound_kernelIjEvmPT_Pl
    .private_segment_fixed_size: 0
    .sgpr_count:     23
    .sgpr_spill_count: 0
    .symbol:         _Z18lower_bound_kernelIjEvmPT_Pl.kd
    .uniform_work_group_size: 1
    .uses_dynamic_stack: false
    .vgpr_count:     4
    .vgpr_spill_count: 0
    .wavefront_size: 64
  - .agpr_count:     0
    .args:
      - .offset:         0
        .size:           56
        .value_kind:     by_value
    .group_segment_fixed_size: 0
    .kernarg_segment_align: 8
    .kernarg_segment_size: 56
    .language:       OpenCL C
    .language_version:
      - 2
      - 0
    .max_flat_workgroup_size: 256
    .name:           _ZN7rocprim17ROCPRIM_400000_NS6detail17trampoline_kernelINS0_14default_configENS1_27lower_bound_config_selectorIjlEEZNS1_14transform_implILb0ES3_S5_N6thrust23THRUST_200600_302600_NS17counting_iteratorIjNS8_11use_defaultESA_SA_EEPlZNS1_13binary_searchIS3_S5_PjSB_SC_NS1_21lower_bound_search_opENS8_6detail16wrapped_functionI11custom_lessbEEEE10hipError_tPvRmT1_T2_T3_mmT4_T5_P12ihipStream_tbEUlRKjE_EESK_SO_SP_mSQ_ST_bEUlT_E_NS1_11comp_targetILNS1_3genE0ELNS1_11target_archE4294967295ELNS1_3gpuE0ELNS1_3repE0EEENS1_30default_config_static_selectorELNS0_4arch9wavefront6targetE1EEEvSN_
    .private_segment_fixed_size: 0
    .sgpr_count:     4
    .sgpr_spill_count: 0
    .symbol:         _ZN7rocprim17ROCPRIM_400000_NS6detail17trampoline_kernelINS0_14default_configENS1_27lower_bound_config_selectorIjlEEZNS1_14transform_implILb0ES3_S5_N6thrust23THRUST_200600_302600_NS17counting_iteratorIjNS8_11use_defaultESA_SA_EEPlZNS1_13binary_searchIS3_S5_PjSB_SC_NS1_21lower_bound_search_opENS8_6detail16wrapped_functionI11custom_lessbEEEE10hipError_tPvRmT1_T2_T3_mmT4_T5_P12ihipStream_tbEUlRKjE_EESK_SO_SP_mSQ_ST_bEUlT_E_NS1_11comp_targetILNS1_3genE0ELNS1_11target_archE4294967295ELNS1_3gpuE0ELNS1_3repE0EEENS1_30default_config_static_selectorELNS0_4arch9wavefront6targetE1EEEvSN_.kd
    .uniform_work_group_size: 1
    .uses_dynamic_stack: false
    .vgpr_count:     0
    .vgpr_spill_count: 0
    .wavefront_size: 64
  - .agpr_count:     0
    .args:
      - .offset:         0
        .size:           56
        .value_kind:     by_value
    .group_segment_fixed_size: 0
    .kernarg_segment_align: 8
    .kernarg_segment_size: 56
    .language:       OpenCL C
    .language_version:
      - 2
      - 0
    .max_flat_workgroup_size: 256
    .name:           _ZN7rocprim17ROCPRIM_400000_NS6detail17trampoline_kernelINS0_14default_configENS1_27lower_bound_config_selectorIjlEEZNS1_14transform_implILb0ES3_S5_N6thrust23THRUST_200600_302600_NS17counting_iteratorIjNS8_11use_defaultESA_SA_EEPlZNS1_13binary_searchIS3_S5_PjSB_SC_NS1_21lower_bound_search_opENS8_6detail16wrapped_functionI11custom_lessbEEEE10hipError_tPvRmT1_T2_T3_mmT4_T5_P12ihipStream_tbEUlRKjE_EESK_SO_SP_mSQ_ST_bEUlT_E_NS1_11comp_targetILNS1_3genE5ELNS1_11target_archE942ELNS1_3gpuE9ELNS1_3repE0EEENS1_30default_config_static_selectorELNS0_4arch9wavefront6targetE1EEEvSN_
    .private_segment_fixed_size: 0
    .sgpr_count:     4
    .sgpr_spill_count: 0
    .symbol:         _ZN7rocprim17ROCPRIM_400000_NS6detail17trampoline_kernelINS0_14default_configENS1_27lower_bound_config_selectorIjlEEZNS1_14transform_implILb0ES3_S5_N6thrust23THRUST_200600_302600_NS17counting_iteratorIjNS8_11use_defaultESA_SA_EEPlZNS1_13binary_searchIS3_S5_PjSB_SC_NS1_21lower_bound_search_opENS8_6detail16wrapped_functionI11custom_lessbEEEE10hipError_tPvRmT1_T2_T3_mmT4_T5_P12ihipStream_tbEUlRKjE_EESK_SO_SP_mSQ_ST_bEUlT_E_NS1_11comp_targetILNS1_3genE5ELNS1_11target_archE942ELNS1_3gpuE9ELNS1_3repE0EEENS1_30default_config_static_selectorELNS0_4arch9wavefront6targetE1EEEvSN_.kd
    .uniform_work_group_size: 1
    .uses_dynamic_stack: false
    .vgpr_count:     0
    .vgpr_spill_count: 0
    .wavefront_size: 64
  - .agpr_count:     0
    .args:
      - .offset:         0
        .size:           56
        .value_kind:     by_value
      - .offset:         56
        .size:           4
        .value_kind:     hidden_block_count_x
      - .offset:         60
        .size:           4
        .value_kind:     hidden_block_count_y
      - .offset:         64
        .size:           4
        .value_kind:     hidden_block_count_z
      - .offset:         68
        .size:           2
        .value_kind:     hidden_group_size_x
      - .offset:         70
        .size:           2
        .value_kind:     hidden_group_size_y
      - .offset:         72
        .size:           2
        .value_kind:     hidden_group_size_z
      - .offset:         74
        .size:           2
        .value_kind:     hidden_remainder_x
      - .offset:         76
        .size:           2
        .value_kind:     hidden_remainder_y
      - .offset:         78
        .size:           2
        .value_kind:     hidden_remainder_z
      - .offset:         96
        .size:           8
        .value_kind:     hidden_global_offset_x
      - .offset:         104
        .size:           8
        .value_kind:     hidden_global_offset_y
      - .offset:         112
        .size:           8
        .value_kind:     hidden_global_offset_z
      - .offset:         120
        .size:           2
        .value_kind:     hidden_grid_dims
    .group_segment_fixed_size: 0
    .kernarg_segment_align: 8
    .kernarg_segment_size: 312
    .language:       OpenCL C
    .language_version:
      - 2
      - 0
    .max_flat_workgroup_size: 256
    .name:           _ZN7rocprim17ROCPRIM_400000_NS6detail17trampoline_kernelINS0_14default_configENS1_27lower_bound_config_selectorIjlEEZNS1_14transform_implILb0ES3_S5_N6thrust23THRUST_200600_302600_NS17counting_iteratorIjNS8_11use_defaultESA_SA_EEPlZNS1_13binary_searchIS3_S5_PjSB_SC_NS1_21lower_bound_search_opENS8_6detail16wrapped_functionI11custom_lessbEEEE10hipError_tPvRmT1_T2_T3_mmT4_T5_P12ihipStream_tbEUlRKjE_EESK_SO_SP_mSQ_ST_bEUlT_E_NS1_11comp_targetILNS1_3genE4ELNS1_11target_archE910ELNS1_3gpuE8ELNS1_3repE0EEENS1_30default_config_static_selectorELNS0_4arch9wavefront6targetE1EEEvSN_
    .private_segment_fixed_size: 0
    .sgpr_count:     21
    .sgpr_spill_count: 0
    .symbol:         _ZN7rocprim17ROCPRIM_400000_NS6detail17trampoline_kernelINS0_14default_configENS1_27lower_bound_config_selectorIjlEEZNS1_14transform_implILb0ES3_S5_N6thrust23THRUST_200600_302600_NS17counting_iteratorIjNS8_11use_defaultESA_SA_EEPlZNS1_13binary_searchIS3_S5_PjSB_SC_NS1_21lower_bound_search_opENS8_6detail16wrapped_functionI11custom_lessbEEEE10hipError_tPvRmT1_T2_T3_mmT4_T5_P12ihipStream_tbEUlRKjE_EESK_SO_SP_mSQ_ST_bEUlT_E_NS1_11comp_targetILNS1_3genE4ELNS1_11target_archE910ELNS1_3gpuE8ELNS1_3repE0EEENS1_30default_config_static_selectorELNS0_4arch9wavefront6targetE1EEEvSN_.kd
    .uniform_work_group_size: 1
    .uses_dynamic_stack: false
    .vgpr_count:     12
    .vgpr_spill_count: 0
    .wavefront_size: 64
  - .agpr_count:     0
    .args:
      - .offset:         0
        .size:           56
        .value_kind:     by_value
    .group_segment_fixed_size: 0
    .kernarg_segment_align: 8
    .kernarg_segment_size: 56
    .language:       OpenCL C
    .language_version:
      - 2
      - 0
    .max_flat_workgroup_size: 256
    .name:           _ZN7rocprim17ROCPRIM_400000_NS6detail17trampoline_kernelINS0_14default_configENS1_27lower_bound_config_selectorIjlEEZNS1_14transform_implILb0ES3_S5_N6thrust23THRUST_200600_302600_NS17counting_iteratorIjNS8_11use_defaultESA_SA_EEPlZNS1_13binary_searchIS3_S5_PjSB_SC_NS1_21lower_bound_search_opENS8_6detail16wrapped_functionI11custom_lessbEEEE10hipError_tPvRmT1_T2_T3_mmT4_T5_P12ihipStream_tbEUlRKjE_EESK_SO_SP_mSQ_ST_bEUlT_E_NS1_11comp_targetILNS1_3genE3ELNS1_11target_archE908ELNS1_3gpuE7ELNS1_3repE0EEENS1_30default_config_static_selectorELNS0_4arch9wavefront6targetE1EEEvSN_
    .private_segment_fixed_size: 0
    .sgpr_count:     4
    .sgpr_spill_count: 0
    .symbol:         _ZN7rocprim17ROCPRIM_400000_NS6detail17trampoline_kernelINS0_14default_configENS1_27lower_bound_config_selectorIjlEEZNS1_14transform_implILb0ES3_S5_N6thrust23THRUST_200600_302600_NS17counting_iteratorIjNS8_11use_defaultESA_SA_EEPlZNS1_13binary_searchIS3_S5_PjSB_SC_NS1_21lower_bound_search_opENS8_6detail16wrapped_functionI11custom_lessbEEEE10hipError_tPvRmT1_T2_T3_mmT4_T5_P12ihipStream_tbEUlRKjE_EESK_SO_SP_mSQ_ST_bEUlT_E_NS1_11comp_targetILNS1_3genE3ELNS1_11target_archE908ELNS1_3gpuE7ELNS1_3repE0EEENS1_30default_config_static_selectorELNS0_4arch9wavefront6targetE1EEEvSN_.kd
    .uniform_work_group_size: 1
    .uses_dynamic_stack: false
    .vgpr_count:     0
    .vgpr_spill_count: 0
    .wavefront_size: 64
  - .agpr_count:     0
    .args:
      - .offset:         0
        .size:           56
        .value_kind:     by_value
    .group_segment_fixed_size: 0
    .kernarg_segment_align: 8
    .kernarg_segment_size: 56
    .language:       OpenCL C
    .language_version:
      - 2
      - 0
    .max_flat_workgroup_size: 256
    .name:           _ZN7rocprim17ROCPRIM_400000_NS6detail17trampoline_kernelINS0_14default_configENS1_27lower_bound_config_selectorIjlEEZNS1_14transform_implILb0ES3_S5_N6thrust23THRUST_200600_302600_NS17counting_iteratorIjNS8_11use_defaultESA_SA_EEPlZNS1_13binary_searchIS3_S5_PjSB_SC_NS1_21lower_bound_search_opENS8_6detail16wrapped_functionI11custom_lessbEEEE10hipError_tPvRmT1_T2_T3_mmT4_T5_P12ihipStream_tbEUlRKjE_EESK_SO_SP_mSQ_ST_bEUlT_E_NS1_11comp_targetILNS1_3genE2ELNS1_11target_archE906ELNS1_3gpuE6ELNS1_3repE0EEENS1_30default_config_static_selectorELNS0_4arch9wavefront6targetE1EEEvSN_
    .private_segment_fixed_size: 0
    .sgpr_count:     4
    .sgpr_spill_count: 0
    .symbol:         _ZN7rocprim17ROCPRIM_400000_NS6detail17trampoline_kernelINS0_14default_configENS1_27lower_bound_config_selectorIjlEEZNS1_14transform_implILb0ES3_S5_N6thrust23THRUST_200600_302600_NS17counting_iteratorIjNS8_11use_defaultESA_SA_EEPlZNS1_13binary_searchIS3_S5_PjSB_SC_NS1_21lower_bound_search_opENS8_6detail16wrapped_functionI11custom_lessbEEEE10hipError_tPvRmT1_T2_T3_mmT4_T5_P12ihipStream_tbEUlRKjE_EESK_SO_SP_mSQ_ST_bEUlT_E_NS1_11comp_targetILNS1_3genE2ELNS1_11target_archE906ELNS1_3gpuE6ELNS1_3repE0EEENS1_30default_config_static_selectorELNS0_4arch9wavefront6targetE1EEEvSN_.kd
    .uniform_work_group_size: 1
    .uses_dynamic_stack: false
    .vgpr_count:     0
    .vgpr_spill_count: 0
    .wavefront_size: 64
  - .agpr_count:     0
    .args:
      - .offset:         0
        .size:           56
        .value_kind:     by_value
    .group_segment_fixed_size: 0
    .kernarg_segment_align: 8
    .kernarg_segment_size: 56
    .language:       OpenCL C
    .language_version:
      - 2
      - 0
    .max_flat_workgroup_size: 128
    .name:           _ZN7rocprim17ROCPRIM_400000_NS6detail17trampoline_kernelINS0_14default_configENS1_27lower_bound_config_selectorIjlEEZNS1_14transform_implILb0ES3_S5_N6thrust23THRUST_200600_302600_NS17counting_iteratorIjNS8_11use_defaultESA_SA_EEPlZNS1_13binary_searchIS3_S5_PjSB_SC_NS1_21lower_bound_search_opENS8_6detail16wrapped_functionI11custom_lessbEEEE10hipError_tPvRmT1_T2_T3_mmT4_T5_P12ihipStream_tbEUlRKjE_EESK_SO_SP_mSQ_ST_bEUlT_E_NS1_11comp_targetILNS1_3genE10ELNS1_11target_archE1201ELNS1_3gpuE5ELNS1_3repE0EEENS1_30default_config_static_selectorELNS0_4arch9wavefront6targetE1EEEvSN_
    .private_segment_fixed_size: 0
    .sgpr_count:     4
    .sgpr_spill_count: 0
    .symbol:         _ZN7rocprim17ROCPRIM_400000_NS6detail17trampoline_kernelINS0_14default_configENS1_27lower_bound_config_selectorIjlEEZNS1_14transform_implILb0ES3_S5_N6thrust23THRUST_200600_302600_NS17counting_iteratorIjNS8_11use_defaultESA_SA_EEPlZNS1_13binary_searchIS3_S5_PjSB_SC_NS1_21lower_bound_search_opENS8_6detail16wrapped_functionI11custom_lessbEEEE10hipError_tPvRmT1_T2_T3_mmT4_T5_P12ihipStream_tbEUlRKjE_EESK_SO_SP_mSQ_ST_bEUlT_E_NS1_11comp_targetILNS1_3genE10ELNS1_11target_archE1201ELNS1_3gpuE5ELNS1_3repE0EEENS1_30default_config_static_selectorELNS0_4arch9wavefront6targetE1EEEvSN_.kd
    .uniform_work_group_size: 1
    .uses_dynamic_stack: false
    .vgpr_count:     0
    .vgpr_spill_count: 0
    .wavefront_size: 64
  - .agpr_count:     0
    .args:
      - .offset:         0
        .size:           56
        .value_kind:     by_value
    .group_segment_fixed_size: 0
    .kernarg_segment_align: 8
    .kernarg_segment_size: 56
    .language:       OpenCL C
    .language_version:
      - 2
      - 0
    .max_flat_workgroup_size: 128
    .name:           _ZN7rocprim17ROCPRIM_400000_NS6detail17trampoline_kernelINS0_14default_configENS1_27lower_bound_config_selectorIjlEEZNS1_14transform_implILb0ES3_S5_N6thrust23THRUST_200600_302600_NS17counting_iteratorIjNS8_11use_defaultESA_SA_EEPlZNS1_13binary_searchIS3_S5_PjSB_SC_NS1_21lower_bound_search_opENS8_6detail16wrapped_functionI11custom_lessbEEEE10hipError_tPvRmT1_T2_T3_mmT4_T5_P12ihipStream_tbEUlRKjE_EESK_SO_SP_mSQ_ST_bEUlT_E_NS1_11comp_targetILNS1_3genE10ELNS1_11target_archE1200ELNS1_3gpuE4ELNS1_3repE0EEENS1_30default_config_static_selectorELNS0_4arch9wavefront6targetE1EEEvSN_
    .private_segment_fixed_size: 0
    .sgpr_count:     4
    .sgpr_spill_count: 0
    .symbol:         _ZN7rocprim17ROCPRIM_400000_NS6detail17trampoline_kernelINS0_14default_configENS1_27lower_bound_config_selectorIjlEEZNS1_14transform_implILb0ES3_S5_N6thrust23THRUST_200600_302600_NS17counting_iteratorIjNS8_11use_defaultESA_SA_EEPlZNS1_13binary_searchIS3_S5_PjSB_SC_NS1_21lower_bound_search_opENS8_6detail16wrapped_functionI11custom_lessbEEEE10hipError_tPvRmT1_T2_T3_mmT4_T5_P12ihipStream_tbEUlRKjE_EESK_SO_SP_mSQ_ST_bEUlT_E_NS1_11comp_targetILNS1_3genE10ELNS1_11target_archE1200ELNS1_3gpuE4ELNS1_3repE0EEENS1_30default_config_static_selectorELNS0_4arch9wavefront6targetE1EEEvSN_.kd
    .uniform_work_group_size: 1
    .uses_dynamic_stack: false
    .vgpr_count:     0
    .vgpr_spill_count: 0
    .wavefront_size: 64
  - .agpr_count:     0
    .args:
      - .offset:         0
        .size:           56
        .value_kind:     by_value
    .group_segment_fixed_size: 0
    .kernarg_segment_align: 8
    .kernarg_segment_size: 56
    .language:       OpenCL C
    .language_version:
      - 2
      - 0
    .max_flat_workgroup_size: 256
    .name:           _ZN7rocprim17ROCPRIM_400000_NS6detail17trampoline_kernelINS0_14default_configENS1_27lower_bound_config_selectorIjlEEZNS1_14transform_implILb0ES3_S5_N6thrust23THRUST_200600_302600_NS17counting_iteratorIjNS8_11use_defaultESA_SA_EEPlZNS1_13binary_searchIS3_S5_PjSB_SC_NS1_21lower_bound_search_opENS8_6detail16wrapped_functionI11custom_lessbEEEE10hipError_tPvRmT1_T2_T3_mmT4_T5_P12ihipStream_tbEUlRKjE_EESK_SO_SP_mSQ_ST_bEUlT_E_NS1_11comp_targetILNS1_3genE9ELNS1_11target_archE1100ELNS1_3gpuE3ELNS1_3repE0EEENS1_30default_config_static_selectorELNS0_4arch9wavefront6targetE1EEEvSN_
    .private_segment_fixed_size: 0
    .sgpr_count:     4
    .sgpr_spill_count: 0
    .symbol:         _ZN7rocprim17ROCPRIM_400000_NS6detail17trampoline_kernelINS0_14default_configENS1_27lower_bound_config_selectorIjlEEZNS1_14transform_implILb0ES3_S5_N6thrust23THRUST_200600_302600_NS17counting_iteratorIjNS8_11use_defaultESA_SA_EEPlZNS1_13binary_searchIS3_S5_PjSB_SC_NS1_21lower_bound_search_opENS8_6detail16wrapped_functionI11custom_lessbEEEE10hipError_tPvRmT1_T2_T3_mmT4_T5_P12ihipStream_tbEUlRKjE_EESK_SO_SP_mSQ_ST_bEUlT_E_NS1_11comp_targetILNS1_3genE9ELNS1_11target_archE1100ELNS1_3gpuE3ELNS1_3repE0EEENS1_30default_config_static_selectorELNS0_4arch9wavefront6targetE1EEEvSN_.kd
    .uniform_work_group_size: 1
    .uses_dynamic_stack: false
    .vgpr_count:     0
    .vgpr_spill_count: 0
    .wavefront_size: 64
  - .agpr_count:     0
    .args:
      - .offset:         0
        .size:           56
        .value_kind:     by_value
    .group_segment_fixed_size: 0
    .kernarg_segment_align: 8
    .kernarg_segment_size: 56
    .language:       OpenCL C
    .language_version:
      - 2
      - 0
    .max_flat_workgroup_size: 256
    .name:           _ZN7rocprim17ROCPRIM_400000_NS6detail17trampoline_kernelINS0_14default_configENS1_27lower_bound_config_selectorIjlEEZNS1_14transform_implILb0ES3_S5_N6thrust23THRUST_200600_302600_NS17counting_iteratorIjNS8_11use_defaultESA_SA_EEPlZNS1_13binary_searchIS3_S5_PjSB_SC_NS1_21lower_bound_search_opENS8_6detail16wrapped_functionI11custom_lessbEEEE10hipError_tPvRmT1_T2_T3_mmT4_T5_P12ihipStream_tbEUlRKjE_EESK_SO_SP_mSQ_ST_bEUlT_E_NS1_11comp_targetILNS1_3genE8ELNS1_11target_archE1030ELNS1_3gpuE2ELNS1_3repE0EEENS1_30default_config_static_selectorELNS0_4arch9wavefront6targetE1EEEvSN_
    .private_segment_fixed_size: 0
    .sgpr_count:     4
    .sgpr_spill_count: 0
    .symbol:         _ZN7rocprim17ROCPRIM_400000_NS6detail17trampoline_kernelINS0_14default_configENS1_27lower_bound_config_selectorIjlEEZNS1_14transform_implILb0ES3_S5_N6thrust23THRUST_200600_302600_NS17counting_iteratorIjNS8_11use_defaultESA_SA_EEPlZNS1_13binary_searchIS3_S5_PjSB_SC_NS1_21lower_bound_search_opENS8_6detail16wrapped_functionI11custom_lessbEEEE10hipError_tPvRmT1_T2_T3_mmT4_T5_P12ihipStream_tbEUlRKjE_EESK_SO_SP_mSQ_ST_bEUlT_E_NS1_11comp_targetILNS1_3genE8ELNS1_11target_archE1030ELNS1_3gpuE2ELNS1_3repE0EEENS1_30default_config_static_selectorELNS0_4arch9wavefront6targetE1EEEvSN_.kd
    .uniform_work_group_size: 1
    .uses_dynamic_stack: false
    .vgpr_count:     0
    .vgpr_spill_count: 0
    .wavefront_size: 64
  - .agpr_count:     0
    .args:
      - .offset:         0
        .size:           16
        .value_kind:     by_value
      - .offset:         16
        .size:           8
        .value_kind:     by_value
      - .offset:         24
        .size:           8
        .value_kind:     by_value
    .group_segment_fixed_size: 0
    .kernarg_segment_align: 8
    .kernarg_segment_size: 32
    .language:       OpenCL C
    .language_version:
      - 2
      - 0
    .max_flat_workgroup_size: 256
    .name:           _ZN6thrust23THRUST_200600_302600_NS11hip_rocprim14__parallel_for6kernelILj256ENS1_20__uninitialized_fill7functorINS0_10device_ptrItEEtEEmLj1EEEvT0_T1_SA_
    .private_segment_fixed_size: 0
    .sgpr_count:     16
    .sgpr_spill_count: 0
    .symbol:         _ZN6thrust23THRUST_200600_302600_NS11hip_rocprim14__parallel_for6kernelILj256ENS1_20__uninitialized_fill7functorINS0_10device_ptrItEEtEEmLj1EEEvT0_T1_SA_.kd
    .uniform_work_group_size: 1
    .uses_dynamic_stack: false
    .vgpr_count:     4
    .vgpr_spill_count: 0
    .wavefront_size: 64
  - .agpr_count:     0
    .args:
      - .offset:         0
        .size:           8
        .value_kind:     by_value
      - .address_space:  global
        .offset:         8
        .size:           8
        .value_kind:     global_buffer
      - .address_space:  global
        .offset:         16
        .size:           8
        .value_kind:     global_buffer
    .group_segment_fixed_size: 0
    .kernarg_segment_align: 8
    .kernarg_segment_size: 24
    .language:       OpenCL C
    .language_version:
      - 2
      - 0
    .max_flat_workgroup_size: 256
    .name:           _Z18lower_bound_kernelItEvmPT_Pl
    .private_segment_fixed_size: 0
    .sgpr_count:     24
    .sgpr_spill_count: 0
    .symbol:         _Z18lower_bound_kernelItEvmPT_Pl.kd
    .uniform_work_group_size: 1
    .uses_dynamic_stack: false
    .vgpr_count:     4
    .vgpr_spill_count: 0
    .wavefront_size: 64
  - .agpr_count:     0
    .args:
      - .offset:         0
        .size:           56
        .value_kind:     by_value
    .group_segment_fixed_size: 0
    .kernarg_segment_align: 8
    .kernarg_segment_size: 56
    .language:       OpenCL C
    .language_version:
      - 2
      - 0
    .max_flat_workgroup_size: 256
    .name:           _ZN7rocprim17ROCPRIM_400000_NS6detail17trampoline_kernelINS0_14default_configENS1_27lower_bound_config_selectorItlEEZNS1_14transform_implILb0ES3_S5_N6thrust23THRUST_200600_302600_NS17counting_iteratorItNS8_11use_defaultESA_SA_EEPlZNS1_13binary_searchIS3_S5_PtSB_SC_NS1_21lower_bound_search_opENS8_6detail16wrapped_functionI11custom_lessbEEEE10hipError_tPvRmT1_T2_T3_mmT4_T5_P12ihipStream_tbEUlRKtE_EESK_SO_SP_mSQ_ST_bEUlT_E_NS1_11comp_targetILNS1_3genE0ELNS1_11target_archE4294967295ELNS1_3gpuE0ELNS1_3repE0EEENS1_30default_config_static_selectorELNS0_4arch9wavefront6targetE1EEEvSN_
    .private_segment_fixed_size: 0
    .sgpr_count:     4
    .sgpr_spill_count: 0
    .symbol:         _ZN7rocprim17ROCPRIM_400000_NS6detail17trampoline_kernelINS0_14default_configENS1_27lower_bound_config_selectorItlEEZNS1_14transform_implILb0ES3_S5_N6thrust23THRUST_200600_302600_NS17counting_iteratorItNS8_11use_defaultESA_SA_EEPlZNS1_13binary_searchIS3_S5_PtSB_SC_NS1_21lower_bound_search_opENS8_6detail16wrapped_functionI11custom_lessbEEEE10hipError_tPvRmT1_T2_T3_mmT4_T5_P12ihipStream_tbEUlRKtE_EESK_SO_SP_mSQ_ST_bEUlT_E_NS1_11comp_targetILNS1_3genE0ELNS1_11target_archE4294967295ELNS1_3gpuE0ELNS1_3repE0EEENS1_30default_config_static_selectorELNS0_4arch9wavefront6targetE1EEEvSN_.kd
    .uniform_work_group_size: 1
    .uses_dynamic_stack: false
    .vgpr_count:     0
    .vgpr_spill_count: 0
    .wavefront_size: 64
  - .agpr_count:     0
    .args:
      - .offset:         0
        .size:           56
        .value_kind:     by_value
    .group_segment_fixed_size: 0
    .kernarg_segment_align: 8
    .kernarg_segment_size: 56
    .language:       OpenCL C
    .language_version:
      - 2
      - 0
    .max_flat_workgroup_size: 256
    .name:           _ZN7rocprim17ROCPRIM_400000_NS6detail17trampoline_kernelINS0_14default_configENS1_27lower_bound_config_selectorItlEEZNS1_14transform_implILb0ES3_S5_N6thrust23THRUST_200600_302600_NS17counting_iteratorItNS8_11use_defaultESA_SA_EEPlZNS1_13binary_searchIS3_S5_PtSB_SC_NS1_21lower_bound_search_opENS8_6detail16wrapped_functionI11custom_lessbEEEE10hipError_tPvRmT1_T2_T3_mmT4_T5_P12ihipStream_tbEUlRKtE_EESK_SO_SP_mSQ_ST_bEUlT_E_NS1_11comp_targetILNS1_3genE5ELNS1_11target_archE942ELNS1_3gpuE9ELNS1_3repE0EEENS1_30default_config_static_selectorELNS0_4arch9wavefront6targetE1EEEvSN_
    .private_segment_fixed_size: 0
    .sgpr_count:     4
    .sgpr_spill_count: 0
    .symbol:         _ZN7rocprim17ROCPRIM_400000_NS6detail17trampoline_kernelINS0_14default_configENS1_27lower_bound_config_selectorItlEEZNS1_14transform_implILb0ES3_S5_N6thrust23THRUST_200600_302600_NS17counting_iteratorItNS8_11use_defaultESA_SA_EEPlZNS1_13binary_searchIS3_S5_PtSB_SC_NS1_21lower_bound_search_opENS8_6detail16wrapped_functionI11custom_lessbEEEE10hipError_tPvRmT1_T2_T3_mmT4_T5_P12ihipStream_tbEUlRKtE_EESK_SO_SP_mSQ_ST_bEUlT_E_NS1_11comp_targetILNS1_3genE5ELNS1_11target_archE942ELNS1_3gpuE9ELNS1_3repE0EEENS1_30default_config_static_selectorELNS0_4arch9wavefront6targetE1EEEvSN_.kd
    .uniform_work_group_size: 1
    .uses_dynamic_stack: false
    .vgpr_count:     0
    .vgpr_spill_count: 0
    .wavefront_size: 64
  - .agpr_count:     0
    .args:
      - .offset:         0
        .size:           56
        .value_kind:     by_value
      - .offset:         56
        .size:           4
        .value_kind:     hidden_block_count_x
      - .offset:         60
        .size:           4
        .value_kind:     hidden_block_count_y
      - .offset:         64
        .size:           4
        .value_kind:     hidden_block_count_z
      - .offset:         68
        .size:           2
        .value_kind:     hidden_group_size_x
      - .offset:         70
        .size:           2
        .value_kind:     hidden_group_size_y
      - .offset:         72
        .size:           2
        .value_kind:     hidden_group_size_z
      - .offset:         74
        .size:           2
        .value_kind:     hidden_remainder_x
      - .offset:         76
        .size:           2
        .value_kind:     hidden_remainder_y
      - .offset:         78
        .size:           2
        .value_kind:     hidden_remainder_z
      - .offset:         96
        .size:           8
        .value_kind:     hidden_global_offset_x
      - .offset:         104
        .size:           8
        .value_kind:     hidden_global_offset_y
      - .offset:         112
        .size:           8
        .value_kind:     hidden_global_offset_z
      - .offset:         120
        .size:           2
        .value_kind:     hidden_grid_dims
    .group_segment_fixed_size: 0
    .kernarg_segment_align: 8
    .kernarg_segment_size: 312
    .language:       OpenCL C
    .language_version:
      - 2
      - 0
    .max_flat_workgroup_size: 256
    .name:           _ZN7rocprim17ROCPRIM_400000_NS6detail17trampoline_kernelINS0_14default_configENS1_27lower_bound_config_selectorItlEEZNS1_14transform_implILb0ES3_S5_N6thrust23THRUST_200600_302600_NS17counting_iteratorItNS8_11use_defaultESA_SA_EEPlZNS1_13binary_searchIS3_S5_PtSB_SC_NS1_21lower_bound_search_opENS8_6detail16wrapped_functionI11custom_lessbEEEE10hipError_tPvRmT1_T2_T3_mmT4_T5_P12ihipStream_tbEUlRKtE_EESK_SO_SP_mSQ_ST_bEUlT_E_NS1_11comp_targetILNS1_3genE4ELNS1_11target_archE910ELNS1_3gpuE8ELNS1_3repE0EEENS1_30default_config_static_selectorELNS0_4arch9wavefront6targetE1EEEvSN_
    .private_segment_fixed_size: 0
    .sgpr_count:     21
    .sgpr_spill_count: 0
    .symbol:         _ZN7rocprim17ROCPRIM_400000_NS6detail17trampoline_kernelINS0_14default_configENS1_27lower_bound_config_selectorItlEEZNS1_14transform_implILb0ES3_S5_N6thrust23THRUST_200600_302600_NS17counting_iteratorItNS8_11use_defaultESA_SA_EEPlZNS1_13binary_searchIS3_S5_PtSB_SC_NS1_21lower_bound_search_opENS8_6detail16wrapped_functionI11custom_lessbEEEE10hipError_tPvRmT1_T2_T3_mmT4_T5_P12ihipStream_tbEUlRKtE_EESK_SO_SP_mSQ_ST_bEUlT_E_NS1_11comp_targetILNS1_3genE4ELNS1_11target_archE910ELNS1_3gpuE8ELNS1_3repE0EEENS1_30default_config_static_selectorELNS0_4arch9wavefront6targetE1EEEvSN_.kd
    .uniform_work_group_size: 1
    .uses_dynamic_stack: false
    .vgpr_count:     12
    .vgpr_spill_count: 0
    .wavefront_size: 64
  - .agpr_count:     0
    .args:
      - .offset:         0
        .size:           56
        .value_kind:     by_value
    .group_segment_fixed_size: 0
    .kernarg_segment_align: 8
    .kernarg_segment_size: 56
    .language:       OpenCL C
    .language_version:
      - 2
      - 0
    .max_flat_workgroup_size: 256
    .name:           _ZN7rocprim17ROCPRIM_400000_NS6detail17trampoline_kernelINS0_14default_configENS1_27lower_bound_config_selectorItlEEZNS1_14transform_implILb0ES3_S5_N6thrust23THRUST_200600_302600_NS17counting_iteratorItNS8_11use_defaultESA_SA_EEPlZNS1_13binary_searchIS3_S5_PtSB_SC_NS1_21lower_bound_search_opENS8_6detail16wrapped_functionI11custom_lessbEEEE10hipError_tPvRmT1_T2_T3_mmT4_T5_P12ihipStream_tbEUlRKtE_EESK_SO_SP_mSQ_ST_bEUlT_E_NS1_11comp_targetILNS1_3genE3ELNS1_11target_archE908ELNS1_3gpuE7ELNS1_3repE0EEENS1_30default_config_static_selectorELNS0_4arch9wavefront6targetE1EEEvSN_
    .private_segment_fixed_size: 0
    .sgpr_count:     4
    .sgpr_spill_count: 0
    .symbol:         _ZN7rocprim17ROCPRIM_400000_NS6detail17trampoline_kernelINS0_14default_configENS1_27lower_bound_config_selectorItlEEZNS1_14transform_implILb0ES3_S5_N6thrust23THRUST_200600_302600_NS17counting_iteratorItNS8_11use_defaultESA_SA_EEPlZNS1_13binary_searchIS3_S5_PtSB_SC_NS1_21lower_bound_search_opENS8_6detail16wrapped_functionI11custom_lessbEEEE10hipError_tPvRmT1_T2_T3_mmT4_T5_P12ihipStream_tbEUlRKtE_EESK_SO_SP_mSQ_ST_bEUlT_E_NS1_11comp_targetILNS1_3genE3ELNS1_11target_archE908ELNS1_3gpuE7ELNS1_3repE0EEENS1_30default_config_static_selectorELNS0_4arch9wavefront6targetE1EEEvSN_.kd
    .uniform_work_group_size: 1
    .uses_dynamic_stack: false
    .vgpr_count:     0
    .vgpr_spill_count: 0
    .wavefront_size: 64
  - .agpr_count:     0
    .args:
      - .offset:         0
        .size:           56
        .value_kind:     by_value
    .group_segment_fixed_size: 0
    .kernarg_segment_align: 8
    .kernarg_segment_size: 56
    .language:       OpenCL C
    .language_version:
      - 2
      - 0
    .max_flat_workgroup_size: 256
    .name:           _ZN7rocprim17ROCPRIM_400000_NS6detail17trampoline_kernelINS0_14default_configENS1_27lower_bound_config_selectorItlEEZNS1_14transform_implILb0ES3_S5_N6thrust23THRUST_200600_302600_NS17counting_iteratorItNS8_11use_defaultESA_SA_EEPlZNS1_13binary_searchIS3_S5_PtSB_SC_NS1_21lower_bound_search_opENS8_6detail16wrapped_functionI11custom_lessbEEEE10hipError_tPvRmT1_T2_T3_mmT4_T5_P12ihipStream_tbEUlRKtE_EESK_SO_SP_mSQ_ST_bEUlT_E_NS1_11comp_targetILNS1_3genE2ELNS1_11target_archE906ELNS1_3gpuE6ELNS1_3repE0EEENS1_30default_config_static_selectorELNS0_4arch9wavefront6targetE1EEEvSN_
    .private_segment_fixed_size: 0
    .sgpr_count:     4
    .sgpr_spill_count: 0
    .symbol:         _ZN7rocprim17ROCPRIM_400000_NS6detail17trampoline_kernelINS0_14default_configENS1_27lower_bound_config_selectorItlEEZNS1_14transform_implILb0ES3_S5_N6thrust23THRUST_200600_302600_NS17counting_iteratorItNS8_11use_defaultESA_SA_EEPlZNS1_13binary_searchIS3_S5_PtSB_SC_NS1_21lower_bound_search_opENS8_6detail16wrapped_functionI11custom_lessbEEEE10hipError_tPvRmT1_T2_T3_mmT4_T5_P12ihipStream_tbEUlRKtE_EESK_SO_SP_mSQ_ST_bEUlT_E_NS1_11comp_targetILNS1_3genE2ELNS1_11target_archE906ELNS1_3gpuE6ELNS1_3repE0EEENS1_30default_config_static_selectorELNS0_4arch9wavefront6targetE1EEEvSN_.kd
    .uniform_work_group_size: 1
    .uses_dynamic_stack: false
    .vgpr_count:     0
    .vgpr_spill_count: 0
    .wavefront_size: 64
  - .agpr_count:     0
    .args:
      - .offset:         0
        .size:           56
        .value_kind:     by_value
    .group_segment_fixed_size: 0
    .kernarg_segment_align: 8
    .kernarg_segment_size: 56
    .language:       OpenCL C
    .language_version:
      - 2
      - 0
    .max_flat_workgroup_size: 256
    .name:           _ZN7rocprim17ROCPRIM_400000_NS6detail17trampoline_kernelINS0_14default_configENS1_27lower_bound_config_selectorItlEEZNS1_14transform_implILb0ES3_S5_N6thrust23THRUST_200600_302600_NS17counting_iteratorItNS8_11use_defaultESA_SA_EEPlZNS1_13binary_searchIS3_S5_PtSB_SC_NS1_21lower_bound_search_opENS8_6detail16wrapped_functionI11custom_lessbEEEE10hipError_tPvRmT1_T2_T3_mmT4_T5_P12ihipStream_tbEUlRKtE_EESK_SO_SP_mSQ_ST_bEUlT_E_NS1_11comp_targetILNS1_3genE10ELNS1_11target_archE1201ELNS1_3gpuE5ELNS1_3repE0EEENS1_30default_config_static_selectorELNS0_4arch9wavefront6targetE1EEEvSN_
    .private_segment_fixed_size: 0
    .sgpr_count:     4
    .sgpr_spill_count: 0
    .symbol:         _ZN7rocprim17ROCPRIM_400000_NS6detail17trampoline_kernelINS0_14default_configENS1_27lower_bound_config_selectorItlEEZNS1_14transform_implILb0ES3_S5_N6thrust23THRUST_200600_302600_NS17counting_iteratorItNS8_11use_defaultESA_SA_EEPlZNS1_13binary_searchIS3_S5_PtSB_SC_NS1_21lower_bound_search_opENS8_6detail16wrapped_functionI11custom_lessbEEEE10hipError_tPvRmT1_T2_T3_mmT4_T5_P12ihipStream_tbEUlRKtE_EESK_SO_SP_mSQ_ST_bEUlT_E_NS1_11comp_targetILNS1_3genE10ELNS1_11target_archE1201ELNS1_3gpuE5ELNS1_3repE0EEENS1_30default_config_static_selectorELNS0_4arch9wavefront6targetE1EEEvSN_.kd
    .uniform_work_group_size: 1
    .uses_dynamic_stack: false
    .vgpr_count:     0
    .vgpr_spill_count: 0
    .wavefront_size: 64
  - .agpr_count:     0
    .args:
      - .offset:         0
        .size:           56
        .value_kind:     by_value
    .group_segment_fixed_size: 0
    .kernarg_segment_align: 8
    .kernarg_segment_size: 56
    .language:       OpenCL C
    .language_version:
      - 2
      - 0
    .max_flat_workgroup_size: 256
    .name:           _ZN7rocprim17ROCPRIM_400000_NS6detail17trampoline_kernelINS0_14default_configENS1_27lower_bound_config_selectorItlEEZNS1_14transform_implILb0ES3_S5_N6thrust23THRUST_200600_302600_NS17counting_iteratorItNS8_11use_defaultESA_SA_EEPlZNS1_13binary_searchIS3_S5_PtSB_SC_NS1_21lower_bound_search_opENS8_6detail16wrapped_functionI11custom_lessbEEEE10hipError_tPvRmT1_T2_T3_mmT4_T5_P12ihipStream_tbEUlRKtE_EESK_SO_SP_mSQ_ST_bEUlT_E_NS1_11comp_targetILNS1_3genE10ELNS1_11target_archE1200ELNS1_3gpuE4ELNS1_3repE0EEENS1_30default_config_static_selectorELNS0_4arch9wavefront6targetE1EEEvSN_
    .private_segment_fixed_size: 0
    .sgpr_count:     4
    .sgpr_spill_count: 0
    .symbol:         _ZN7rocprim17ROCPRIM_400000_NS6detail17trampoline_kernelINS0_14default_configENS1_27lower_bound_config_selectorItlEEZNS1_14transform_implILb0ES3_S5_N6thrust23THRUST_200600_302600_NS17counting_iteratorItNS8_11use_defaultESA_SA_EEPlZNS1_13binary_searchIS3_S5_PtSB_SC_NS1_21lower_bound_search_opENS8_6detail16wrapped_functionI11custom_lessbEEEE10hipError_tPvRmT1_T2_T3_mmT4_T5_P12ihipStream_tbEUlRKtE_EESK_SO_SP_mSQ_ST_bEUlT_E_NS1_11comp_targetILNS1_3genE10ELNS1_11target_archE1200ELNS1_3gpuE4ELNS1_3repE0EEENS1_30default_config_static_selectorELNS0_4arch9wavefront6targetE1EEEvSN_.kd
    .uniform_work_group_size: 1
    .uses_dynamic_stack: false
    .vgpr_count:     0
    .vgpr_spill_count: 0
    .wavefront_size: 64
  - .agpr_count:     0
    .args:
      - .offset:         0
        .size:           56
        .value_kind:     by_value
    .group_segment_fixed_size: 0
    .kernarg_segment_align: 8
    .kernarg_segment_size: 56
    .language:       OpenCL C
    .language_version:
      - 2
      - 0
    .max_flat_workgroup_size: 64
    .name:           _ZN7rocprim17ROCPRIM_400000_NS6detail17trampoline_kernelINS0_14default_configENS1_27lower_bound_config_selectorItlEEZNS1_14transform_implILb0ES3_S5_N6thrust23THRUST_200600_302600_NS17counting_iteratorItNS8_11use_defaultESA_SA_EEPlZNS1_13binary_searchIS3_S5_PtSB_SC_NS1_21lower_bound_search_opENS8_6detail16wrapped_functionI11custom_lessbEEEE10hipError_tPvRmT1_T2_T3_mmT4_T5_P12ihipStream_tbEUlRKtE_EESK_SO_SP_mSQ_ST_bEUlT_E_NS1_11comp_targetILNS1_3genE9ELNS1_11target_archE1100ELNS1_3gpuE3ELNS1_3repE0EEENS1_30default_config_static_selectorELNS0_4arch9wavefront6targetE1EEEvSN_
    .private_segment_fixed_size: 0
    .sgpr_count:     4
    .sgpr_spill_count: 0
    .symbol:         _ZN7rocprim17ROCPRIM_400000_NS6detail17trampoline_kernelINS0_14default_configENS1_27lower_bound_config_selectorItlEEZNS1_14transform_implILb0ES3_S5_N6thrust23THRUST_200600_302600_NS17counting_iteratorItNS8_11use_defaultESA_SA_EEPlZNS1_13binary_searchIS3_S5_PtSB_SC_NS1_21lower_bound_search_opENS8_6detail16wrapped_functionI11custom_lessbEEEE10hipError_tPvRmT1_T2_T3_mmT4_T5_P12ihipStream_tbEUlRKtE_EESK_SO_SP_mSQ_ST_bEUlT_E_NS1_11comp_targetILNS1_3genE9ELNS1_11target_archE1100ELNS1_3gpuE3ELNS1_3repE0EEENS1_30default_config_static_selectorELNS0_4arch9wavefront6targetE1EEEvSN_.kd
    .uniform_work_group_size: 1
    .uses_dynamic_stack: false
    .vgpr_count:     0
    .vgpr_spill_count: 0
    .wavefront_size: 64
  - .agpr_count:     0
    .args:
      - .offset:         0
        .size:           56
        .value_kind:     by_value
    .group_segment_fixed_size: 0
    .kernarg_segment_align: 8
    .kernarg_segment_size: 56
    .language:       OpenCL C
    .language_version:
      - 2
      - 0
    .max_flat_workgroup_size: 128
    .name:           _ZN7rocprim17ROCPRIM_400000_NS6detail17trampoline_kernelINS0_14default_configENS1_27lower_bound_config_selectorItlEEZNS1_14transform_implILb0ES3_S5_N6thrust23THRUST_200600_302600_NS17counting_iteratorItNS8_11use_defaultESA_SA_EEPlZNS1_13binary_searchIS3_S5_PtSB_SC_NS1_21lower_bound_search_opENS8_6detail16wrapped_functionI11custom_lessbEEEE10hipError_tPvRmT1_T2_T3_mmT4_T5_P12ihipStream_tbEUlRKtE_EESK_SO_SP_mSQ_ST_bEUlT_E_NS1_11comp_targetILNS1_3genE8ELNS1_11target_archE1030ELNS1_3gpuE2ELNS1_3repE0EEENS1_30default_config_static_selectorELNS0_4arch9wavefront6targetE1EEEvSN_
    .private_segment_fixed_size: 0
    .sgpr_count:     4
    .sgpr_spill_count: 0
    .symbol:         _ZN7rocprim17ROCPRIM_400000_NS6detail17trampoline_kernelINS0_14default_configENS1_27lower_bound_config_selectorItlEEZNS1_14transform_implILb0ES3_S5_N6thrust23THRUST_200600_302600_NS17counting_iteratorItNS8_11use_defaultESA_SA_EEPlZNS1_13binary_searchIS3_S5_PtSB_SC_NS1_21lower_bound_search_opENS8_6detail16wrapped_functionI11custom_lessbEEEE10hipError_tPvRmT1_T2_T3_mmT4_T5_P12ihipStream_tbEUlRKtE_EESK_SO_SP_mSQ_ST_bEUlT_E_NS1_11comp_targetILNS1_3genE8ELNS1_11target_archE1030ELNS1_3gpuE2ELNS1_3repE0EEENS1_30default_config_static_selectorELNS0_4arch9wavefront6targetE1EEEvSN_.kd
    .uniform_work_group_size: 1
    .uses_dynamic_stack: false
    .vgpr_count:     0
    .vgpr_spill_count: 0
    .wavefront_size: 64
  - .agpr_count:     0
    .args:
      - .offset:         0
        .size:           16
        .value_kind:     by_value
      - .offset:         16
        .size:           8
        .value_kind:     by_value
      - .offset:         24
        .size:           8
        .value_kind:     by_value
    .group_segment_fixed_size: 0
    .kernarg_segment_align: 8
    .kernarg_segment_size: 32
    .language:       OpenCL C
    .language_version:
      - 2
      - 0
    .max_flat_workgroup_size: 256
    .name:           _ZN6thrust23THRUST_200600_302600_NS11hip_rocprim14__parallel_for6kernelILj256ENS1_20__uninitialized_fill7functorINS0_10device_ptrIxEExEEmLj1EEEvT0_T1_SA_
    .private_segment_fixed_size: 0
    .sgpr_count:     20
    .sgpr_spill_count: 0
    .symbol:         _ZN6thrust23THRUST_200600_302600_NS11hip_rocprim14__parallel_for6kernelILj256ENS1_20__uninitialized_fill7functorINS0_10device_ptrIxEExEEmLj1EEEvT0_T1_SA_.kd
    .uniform_work_group_size: 1
    .uses_dynamic_stack: false
    .vgpr_count:     5
    .vgpr_spill_count: 0
    .wavefront_size: 64
  - .agpr_count:     0
    .args:
      - .offset:         0
        .size:           8
        .value_kind:     by_value
      - .address_space:  global
        .offset:         8
        .size:           8
        .value_kind:     global_buffer
      - .address_space:  global
        .offset:         16
        .size:           8
        .value_kind:     global_buffer
    .group_segment_fixed_size: 0
    .kernarg_segment_align: 8
    .kernarg_segment_size: 24
    .language:       OpenCL C
    .language_version:
      - 2
      - 0
    .max_flat_workgroup_size: 256
    .name:           _Z18lower_bound_kernelIxEvmPT_Pl
    .private_segment_fixed_size: 0
    .sgpr_count:     24
    .sgpr_spill_count: 0
    .symbol:         _Z18lower_bound_kernelIxEvmPT_Pl.kd
    .uniform_work_group_size: 1
    .uses_dynamic_stack: false
    .vgpr_count:     4
    .vgpr_spill_count: 0
    .wavefront_size: 64
  - .agpr_count:     0
    .args:
      - .offset:         0
        .size:           56
        .value_kind:     by_value
    .group_segment_fixed_size: 0
    .kernarg_segment_align: 8
    .kernarg_segment_size: 56
    .language:       OpenCL C
    .language_version:
      - 2
      - 0
    .max_flat_workgroup_size: 128
    .name:           _ZN7rocprim17ROCPRIM_400000_NS6detail17trampoline_kernelINS0_14default_configENS1_27lower_bound_config_selectorIxlEEZNS1_14transform_implILb0ES3_S5_N6thrust23THRUST_200600_302600_NS17counting_iteratorIxNS8_11use_defaultESA_SA_EEPlZNS1_13binary_searchIS3_S5_PxSB_SC_NS1_21lower_bound_search_opENS8_6detail16wrapped_functionI11custom_lessbEEEE10hipError_tPvRmT1_T2_T3_mmT4_T5_P12ihipStream_tbEUlRKxE_EESK_SO_SP_mSQ_ST_bEUlT_E_NS1_11comp_targetILNS1_3genE0ELNS1_11target_archE4294967295ELNS1_3gpuE0ELNS1_3repE0EEENS1_30default_config_static_selectorELNS0_4arch9wavefront6targetE1EEEvSN_
    .private_segment_fixed_size: 0
    .sgpr_count:     4
    .sgpr_spill_count: 0
    .symbol:         _ZN7rocprim17ROCPRIM_400000_NS6detail17trampoline_kernelINS0_14default_configENS1_27lower_bound_config_selectorIxlEEZNS1_14transform_implILb0ES3_S5_N6thrust23THRUST_200600_302600_NS17counting_iteratorIxNS8_11use_defaultESA_SA_EEPlZNS1_13binary_searchIS3_S5_PxSB_SC_NS1_21lower_bound_search_opENS8_6detail16wrapped_functionI11custom_lessbEEEE10hipError_tPvRmT1_T2_T3_mmT4_T5_P12ihipStream_tbEUlRKxE_EESK_SO_SP_mSQ_ST_bEUlT_E_NS1_11comp_targetILNS1_3genE0ELNS1_11target_archE4294967295ELNS1_3gpuE0ELNS1_3repE0EEENS1_30default_config_static_selectorELNS0_4arch9wavefront6targetE1EEEvSN_.kd
    .uniform_work_group_size: 1
    .uses_dynamic_stack: false
    .vgpr_count:     0
    .vgpr_spill_count: 0
    .wavefront_size: 64
  - .agpr_count:     0
    .args:
      - .offset:         0
        .size:           56
        .value_kind:     by_value
    .group_segment_fixed_size: 0
    .kernarg_segment_align: 8
    .kernarg_segment_size: 56
    .language:       OpenCL C
    .language_version:
      - 2
      - 0
    .max_flat_workgroup_size: 64
    .name:           _ZN7rocprim17ROCPRIM_400000_NS6detail17trampoline_kernelINS0_14default_configENS1_27lower_bound_config_selectorIxlEEZNS1_14transform_implILb0ES3_S5_N6thrust23THRUST_200600_302600_NS17counting_iteratorIxNS8_11use_defaultESA_SA_EEPlZNS1_13binary_searchIS3_S5_PxSB_SC_NS1_21lower_bound_search_opENS8_6detail16wrapped_functionI11custom_lessbEEEE10hipError_tPvRmT1_T2_T3_mmT4_T5_P12ihipStream_tbEUlRKxE_EESK_SO_SP_mSQ_ST_bEUlT_E_NS1_11comp_targetILNS1_3genE5ELNS1_11target_archE942ELNS1_3gpuE9ELNS1_3repE0EEENS1_30default_config_static_selectorELNS0_4arch9wavefront6targetE1EEEvSN_
    .private_segment_fixed_size: 0
    .sgpr_count:     4
    .sgpr_spill_count: 0
    .symbol:         _ZN7rocprim17ROCPRIM_400000_NS6detail17trampoline_kernelINS0_14default_configENS1_27lower_bound_config_selectorIxlEEZNS1_14transform_implILb0ES3_S5_N6thrust23THRUST_200600_302600_NS17counting_iteratorIxNS8_11use_defaultESA_SA_EEPlZNS1_13binary_searchIS3_S5_PxSB_SC_NS1_21lower_bound_search_opENS8_6detail16wrapped_functionI11custom_lessbEEEE10hipError_tPvRmT1_T2_T3_mmT4_T5_P12ihipStream_tbEUlRKxE_EESK_SO_SP_mSQ_ST_bEUlT_E_NS1_11comp_targetILNS1_3genE5ELNS1_11target_archE942ELNS1_3gpuE9ELNS1_3repE0EEENS1_30default_config_static_selectorELNS0_4arch9wavefront6targetE1EEEvSN_.kd
    .uniform_work_group_size: 1
    .uses_dynamic_stack: false
    .vgpr_count:     0
    .vgpr_spill_count: 0
    .wavefront_size: 64
  - .agpr_count:     0
    .args:
      - .offset:         0
        .size:           56
        .value_kind:     by_value
      - .offset:         56
        .size:           4
        .value_kind:     hidden_block_count_x
      - .offset:         60
        .size:           4
        .value_kind:     hidden_block_count_y
      - .offset:         64
        .size:           4
        .value_kind:     hidden_block_count_z
      - .offset:         68
        .size:           2
        .value_kind:     hidden_group_size_x
      - .offset:         70
        .size:           2
        .value_kind:     hidden_group_size_y
      - .offset:         72
        .size:           2
        .value_kind:     hidden_group_size_z
      - .offset:         74
        .size:           2
        .value_kind:     hidden_remainder_x
      - .offset:         76
        .size:           2
        .value_kind:     hidden_remainder_y
      - .offset:         78
        .size:           2
        .value_kind:     hidden_remainder_z
      - .offset:         96
        .size:           8
        .value_kind:     hidden_global_offset_x
      - .offset:         104
        .size:           8
        .value_kind:     hidden_global_offset_y
      - .offset:         112
        .size:           8
        .value_kind:     hidden_global_offset_z
      - .offset:         120
        .size:           2
        .value_kind:     hidden_grid_dims
    .group_segment_fixed_size: 0
    .kernarg_segment_align: 8
    .kernarg_segment_size: 312
    .language:       OpenCL C
    .language_version:
      - 2
      - 0
    .max_flat_workgroup_size: 64
    .name:           _ZN7rocprim17ROCPRIM_400000_NS6detail17trampoline_kernelINS0_14default_configENS1_27lower_bound_config_selectorIxlEEZNS1_14transform_implILb0ES3_S5_N6thrust23THRUST_200600_302600_NS17counting_iteratorIxNS8_11use_defaultESA_SA_EEPlZNS1_13binary_searchIS3_S5_PxSB_SC_NS1_21lower_bound_search_opENS8_6detail16wrapped_functionI11custom_lessbEEEE10hipError_tPvRmT1_T2_T3_mmT4_T5_P12ihipStream_tbEUlRKxE_EESK_SO_SP_mSQ_ST_bEUlT_E_NS1_11comp_targetILNS1_3genE4ELNS1_11target_archE910ELNS1_3gpuE8ELNS1_3repE0EEENS1_30default_config_static_selectorELNS0_4arch9wavefront6targetE1EEEvSN_
    .private_segment_fixed_size: 0
    .sgpr_count:     22
    .sgpr_spill_count: 0
    .symbol:         _ZN7rocprim17ROCPRIM_400000_NS6detail17trampoline_kernelINS0_14default_configENS1_27lower_bound_config_selectorIxlEEZNS1_14transform_implILb0ES3_S5_N6thrust23THRUST_200600_302600_NS17counting_iteratorIxNS8_11use_defaultESA_SA_EEPlZNS1_13binary_searchIS3_S5_PxSB_SC_NS1_21lower_bound_search_opENS8_6detail16wrapped_functionI11custom_lessbEEEE10hipError_tPvRmT1_T2_T3_mmT4_T5_P12ihipStream_tbEUlRKxE_EESK_SO_SP_mSQ_ST_bEUlT_E_NS1_11comp_targetILNS1_3genE4ELNS1_11target_archE910ELNS1_3gpuE8ELNS1_3repE0EEENS1_30default_config_static_selectorELNS0_4arch9wavefront6targetE1EEEvSN_.kd
    .uniform_work_group_size: 1
    .uses_dynamic_stack: false
    .vgpr_count:     15
    .vgpr_spill_count: 0
    .wavefront_size: 64
  - .agpr_count:     0
    .args:
      - .offset:         0
        .size:           56
        .value_kind:     by_value
    .group_segment_fixed_size: 0
    .kernarg_segment_align: 8
    .kernarg_segment_size: 56
    .language:       OpenCL C
    .language_version:
      - 2
      - 0
    .max_flat_workgroup_size: 128
    .name:           _ZN7rocprim17ROCPRIM_400000_NS6detail17trampoline_kernelINS0_14default_configENS1_27lower_bound_config_selectorIxlEEZNS1_14transform_implILb0ES3_S5_N6thrust23THRUST_200600_302600_NS17counting_iteratorIxNS8_11use_defaultESA_SA_EEPlZNS1_13binary_searchIS3_S5_PxSB_SC_NS1_21lower_bound_search_opENS8_6detail16wrapped_functionI11custom_lessbEEEE10hipError_tPvRmT1_T2_T3_mmT4_T5_P12ihipStream_tbEUlRKxE_EESK_SO_SP_mSQ_ST_bEUlT_E_NS1_11comp_targetILNS1_3genE3ELNS1_11target_archE908ELNS1_3gpuE7ELNS1_3repE0EEENS1_30default_config_static_selectorELNS0_4arch9wavefront6targetE1EEEvSN_
    .private_segment_fixed_size: 0
    .sgpr_count:     4
    .sgpr_spill_count: 0
    .symbol:         _ZN7rocprim17ROCPRIM_400000_NS6detail17trampoline_kernelINS0_14default_configENS1_27lower_bound_config_selectorIxlEEZNS1_14transform_implILb0ES3_S5_N6thrust23THRUST_200600_302600_NS17counting_iteratorIxNS8_11use_defaultESA_SA_EEPlZNS1_13binary_searchIS3_S5_PxSB_SC_NS1_21lower_bound_search_opENS8_6detail16wrapped_functionI11custom_lessbEEEE10hipError_tPvRmT1_T2_T3_mmT4_T5_P12ihipStream_tbEUlRKxE_EESK_SO_SP_mSQ_ST_bEUlT_E_NS1_11comp_targetILNS1_3genE3ELNS1_11target_archE908ELNS1_3gpuE7ELNS1_3repE0EEENS1_30default_config_static_selectorELNS0_4arch9wavefront6targetE1EEEvSN_.kd
    .uniform_work_group_size: 1
    .uses_dynamic_stack: false
    .vgpr_count:     0
    .vgpr_spill_count: 0
    .wavefront_size: 64
  - .agpr_count:     0
    .args:
      - .offset:         0
        .size:           56
        .value_kind:     by_value
    .group_segment_fixed_size: 0
    .kernarg_segment_align: 8
    .kernarg_segment_size: 56
    .language:       OpenCL C
    .language_version:
      - 2
      - 0
    .max_flat_workgroup_size: 256
    .name:           _ZN7rocprim17ROCPRIM_400000_NS6detail17trampoline_kernelINS0_14default_configENS1_27lower_bound_config_selectorIxlEEZNS1_14transform_implILb0ES3_S5_N6thrust23THRUST_200600_302600_NS17counting_iteratorIxNS8_11use_defaultESA_SA_EEPlZNS1_13binary_searchIS3_S5_PxSB_SC_NS1_21lower_bound_search_opENS8_6detail16wrapped_functionI11custom_lessbEEEE10hipError_tPvRmT1_T2_T3_mmT4_T5_P12ihipStream_tbEUlRKxE_EESK_SO_SP_mSQ_ST_bEUlT_E_NS1_11comp_targetILNS1_3genE2ELNS1_11target_archE906ELNS1_3gpuE6ELNS1_3repE0EEENS1_30default_config_static_selectorELNS0_4arch9wavefront6targetE1EEEvSN_
    .private_segment_fixed_size: 0
    .sgpr_count:     4
    .sgpr_spill_count: 0
    .symbol:         _ZN7rocprim17ROCPRIM_400000_NS6detail17trampoline_kernelINS0_14default_configENS1_27lower_bound_config_selectorIxlEEZNS1_14transform_implILb0ES3_S5_N6thrust23THRUST_200600_302600_NS17counting_iteratorIxNS8_11use_defaultESA_SA_EEPlZNS1_13binary_searchIS3_S5_PxSB_SC_NS1_21lower_bound_search_opENS8_6detail16wrapped_functionI11custom_lessbEEEE10hipError_tPvRmT1_T2_T3_mmT4_T5_P12ihipStream_tbEUlRKxE_EESK_SO_SP_mSQ_ST_bEUlT_E_NS1_11comp_targetILNS1_3genE2ELNS1_11target_archE906ELNS1_3gpuE6ELNS1_3repE0EEENS1_30default_config_static_selectorELNS0_4arch9wavefront6targetE1EEEvSN_.kd
    .uniform_work_group_size: 1
    .uses_dynamic_stack: false
    .vgpr_count:     0
    .vgpr_spill_count: 0
    .wavefront_size: 64
  - .agpr_count:     0
    .args:
      - .offset:         0
        .size:           56
        .value_kind:     by_value
    .group_segment_fixed_size: 0
    .kernarg_segment_align: 8
    .kernarg_segment_size: 56
    .language:       OpenCL C
    .language_version:
      - 2
      - 0
    .max_flat_workgroup_size: 128
    .name:           _ZN7rocprim17ROCPRIM_400000_NS6detail17trampoline_kernelINS0_14default_configENS1_27lower_bound_config_selectorIxlEEZNS1_14transform_implILb0ES3_S5_N6thrust23THRUST_200600_302600_NS17counting_iteratorIxNS8_11use_defaultESA_SA_EEPlZNS1_13binary_searchIS3_S5_PxSB_SC_NS1_21lower_bound_search_opENS8_6detail16wrapped_functionI11custom_lessbEEEE10hipError_tPvRmT1_T2_T3_mmT4_T5_P12ihipStream_tbEUlRKxE_EESK_SO_SP_mSQ_ST_bEUlT_E_NS1_11comp_targetILNS1_3genE10ELNS1_11target_archE1201ELNS1_3gpuE5ELNS1_3repE0EEENS1_30default_config_static_selectorELNS0_4arch9wavefront6targetE1EEEvSN_
    .private_segment_fixed_size: 0
    .sgpr_count:     4
    .sgpr_spill_count: 0
    .symbol:         _ZN7rocprim17ROCPRIM_400000_NS6detail17trampoline_kernelINS0_14default_configENS1_27lower_bound_config_selectorIxlEEZNS1_14transform_implILb0ES3_S5_N6thrust23THRUST_200600_302600_NS17counting_iteratorIxNS8_11use_defaultESA_SA_EEPlZNS1_13binary_searchIS3_S5_PxSB_SC_NS1_21lower_bound_search_opENS8_6detail16wrapped_functionI11custom_lessbEEEE10hipError_tPvRmT1_T2_T3_mmT4_T5_P12ihipStream_tbEUlRKxE_EESK_SO_SP_mSQ_ST_bEUlT_E_NS1_11comp_targetILNS1_3genE10ELNS1_11target_archE1201ELNS1_3gpuE5ELNS1_3repE0EEENS1_30default_config_static_selectorELNS0_4arch9wavefront6targetE1EEEvSN_.kd
    .uniform_work_group_size: 1
    .uses_dynamic_stack: false
    .vgpr_count:     0
    .vgpr_spill_count: 0
    .wavefront_size: 64
  - .agpr_count:     0
    .args:
      - .offset:         0
        .size:           56
        .value_kind:     by_value
    .group_segment_fixed_size: 0
    .kernarg_segment_align: 8
    .kernarg_segment_size: 56
    .language:       OpenCL C
    .language_version:
      - 2
      - 0
    .max_flat_workgroup_size: 128
    .name:           _ZN7rocprim17ROCPRIM_400000_NS6detail17trampoline_kernelINS0_14default_configENS1_27lower_bound_config_selectorIxlEEZNS1_14transform_implILb0ES3_S5_N6thrust23THRUST_200600_302600_NS17counting_iteratorIxNS8_11use_defaultESA_SA_EEPlZNS1_13binary_searchIS3_S5_PxSB_SC_NS1_21lower_bound_search_opENS8_6detail16wrapped_functionI11custom_lessbEEEE10hipError_tPvRmT1_T2_T3_mmT4_T5_P12ihipStream_tbEUlRKxE_EESK_SO_SP_mSQ_ST_bEUlT_E_NS1_11comp_targetILNS1_3genE10ELNS1_11target_archE1200ELNS1_3gpuE4ELNS1_3repE0EEENS1_30default_config_static_selectorELNS0_4arch9wavefront6targetE1EEEvSN_
    .private_segment_fixed_size: 0
    .sgpr_count:     4
    .sgpr_spill_count: 0
    .symbol:         _ZN7rocprim17ROCPRIM_400000_NS6detail17trampoline_kernelINS0_14default_configENS1_27lower_bound_config_selectorIxlEEZNS1_14transform_implILb0ES3_S5_N6thrust23THRUST_200600_302600_NS17counting_iteratorIxNS8_11use_defaultESA_SA_EEPlZNS1_13binary_searchIS3_S5_PxSB_SC_NS1_21lower_bound_search_opENS8_6detail16wrapped_functionI11custom_lessbEEEE10hipError_tPvRmT1_T2_T3_mmT4_T5_P12ihipStream_tbEUlRKxE_EESK_SO_SP_mSQ_ST_bEUlT_E_NS1_11comp_targetILNS1_3genE10ELNS1_11target_archE1200ELNS1_3gpuE4ELNS1_3repE0EEENS1_30default_config_static_selectorELNS0_4arch9wavefront6targetE1EEEvSN_.kd
    .uniform_work_group_size: 1
    .uses_dynamic_stack: false
    .vgpr_count:     0
    .vgpr_spill_count: 0
    .wavefront_size: 64
  - .agpr_count:     0
    .args:
      - .offset:         0
        .size:           56
        .value_kind:     by_value
    .group_segment_fixed_size: 0
    .kernarg_segment_align: 8
    .kernarg_segment_size: 56
    .language:       OpenCL C
    .language_version:
      - 2
      - 0
    .max_flat_workgroup_size: 256
    .name:           _ZN7rocprim17ROCPRIM_400000_NS6detail17trampoline_kernelINS0_14default_configENS1_27lower_bound_config_selectorIxlEEZNS1_14transform_implILb0ES3_S5_N6thrust23THRUST_200600_302600_NS17counting_iteratorIxNS8_11use_defaultESA_SA_EEPlZNS1_13binary_searchIS3_S5_PxSB_SC_NS1_21lower_bound_search_opENS8_6detail16wrapped_functionI11custom_lessbEEEE10hipError_tPvRmT1_T2_T3_mmT4_T5_P12ihipStream_tbEUlRKxE_EESK_SO_SP_mSQ_ST_bEUlT_E_NS1_11comp_targetILNS1_3genE9ELNS1_11target_archE1100ELNS1_3gpuE3ELNS1_3repE0EEENS1_30default_config_static_selectorELNS0_4arch9wavefront6targetE1EEEvSN_
    .private_segment_fixed_size: 0
    .sgpr_count:     4
    .sgpr_spill_count: 0
    .symbol:         _ZN7rocprim17ROCPRIM_400000_NS6detail17trampoline_kernelINS0_14default_configENS1_27lower_bound_config_selectorIxlEEZNS1_14transform_implILb0ES3_S5_N6thrust23THRUST_200600_302600_NS17counting_iteratorIxNS8_11use_defaultESA_SA_EEPlZNS1_13binary_searchIS3_S5_PxSB_SC_NS1_21lower_bound_search_opENS8_6detail16wrapped_functionI11custom_lessbEEEE10hipError_tPvRmT1_T2_T3_mmT4_T5_P12ihipStream_tbEUlRKxE_EESK_SO_SP_mSQ_ST_bEUlT_E_NS1_11comp_targetILNS1_3genE9ELNS1_11target_archE1100ELNS1_3gpuE3ELNS1_3repE0EEENS1_30default_config_static_selectorELNS0_4arch9wavefront6targetE1EEEvSN_.kd
    .uniform_work_group_size: 1
    .uses_dynamic_stack: false
    .vgpr_count:     0
    .vgpr_spill_count: 0
    .wavefront_size: 64
  - .agpr_count:     0
    .args:
      - .offset:         0
        .size:           56
        .value_kind:     by_value
    .group_segment_fixed_size: 0
    .kernarg_segment_align: 8
    .kernarg_segment_size: 56
    .language:       OpenCL C
    .language_version:
      - 2
      - 0
    .max_flat_workgroup_size: 256
    .name:           _ZN7rocprim17ROCPRIM_400000_NS6detail17trampoline_kernelINS0_14default_configENS1_27lower_bound_config_selectorIxlEEZNS1_14transform_implILb0ES3_S5_N6thrust23THRUST_200600_302600_NS17counting_iteratorIxNS8_11use_defaultESA_SA_EEPlZNS1_13binary_searchIS3_S5_PxSB_SC_NS1_21lower_bound_search_opENS8_6detail16wrapped_functionI11custom_lessbEEEE10hipError_tPvRmT1_T2_T3_mmT4_T5_P12ihipStream_tbEUlRKxE_EESK_SO_SP_mSQ_ST_bEUlT_E_NS1_11comp_targetILNS1_3genE8ELNS1_11target_archE1030ELNS1_3gpuE2ELNS1_3repE0EEENS1_30default_config_static_selectorELNS0_4arch9wavefront6targetE1EEEvSN_
    .private_segment_fixed_size: 0
    .sgpr_count:     4
    .sgpr_spill_count: 0
    .symbol:         _ZN7rocprim17ROCPRIM_400000_NS6detail17trampoline_kernelINS0_14default_configENS1_27lower_bound_config_selectorIxlEEZNS1_14transform_implILb0ES3_S5_N6thrust23THRUST_200600_302600_NS17counting_iteratorIxNS8_11use_defaultESA_SA_EEPlZNS1_13binary_searchIS3_S5_PxSB_SC_NS1_21lower_bound_search_opENS8_6detail16wrapped_functionI11custom_lessbEEEE10hipError_tPvRmT1_T2_T3_mmT4_T5_P12ihipStream_tbEUlRKxE_EESK_SO_SP_mSQ_ST_bEUlT_E_NS1_11comp_targetILNS1_3genE8ELNS1_11target_archE1030ELNS1_3gpuE2ELNS1_3repE0EEENS1_30default_config_static_selectorELNS0_4arch9wavefront6targetE1EEEvSN_.kd
    .uniform_work_group_size: 1
    .uses_dynamic_stack: false
    .vgpr_count:     0
    .vgpr_spill_count: 0
    .wavefront_size: 64
  - .agpr_count:     0
    .args:
      - .offset:         0
        .size:           8
        .value_kind:     by_value
      - .address_space:  global
        .offset:         8
        .size:           8
        .value_kind:     global_buffer
      - .address_space:  global
        .offset:         16
        .size:           8
        .value_kind:     global_buffer
    .group_segment_fixed_size: 0
    .kernarg_segment_align: 8
    .kernarg_segment_size: 24
    .language:       OpenCL C
    .language_version:
      - 2
      - 0
    .max_flat_workgroup_size: 256
    .name:           _Z18lower_bound_kernelIiEvmPT_Pl
    .private_segment_fixed_size: 0
    .sgpr_count:     23
    .sgpr_spill_count: 0
    .symbol:         _Z18lower_bound_kernelIiEvmPT_Pl.kd
    .uniform_work_group_size: 1
    .uses_dynamic_stack: false
    .vgpr_count:     4
    .vgpr_spill_count: 0
    .wavefront_size: 64
  - .agpr_count:     0
    .args:
      - .offset:         0
        .size:           56
        .value_kind:     by_value
    .group_segment_fixed_size: 0
    .kernarg_segment_align: 8
    .kernarg_segment_size: 56
    .language:       OpenCL C
    .language_version:
      - 2
      - 0
    .max_flat_workgroup_size: 256
    .name:           _ZN7rocprim17ROCPRIM_400000_NS6detail17trampoline_kernelINS0_14default_configENS1_27lower_bound_config_selectorIilEEZNS1_14transform_implILb0ES3_S5_N6thrust23THRUST_200600_302600_NS17counting_iteratorIiNS8_11use_defaultESA_SA_EEPlZNS1_13binary_searchIS3_S5_PiSB_SC_NS1_21lower_bound_search_opENS8_6detail16wrapped_functionI11custom_lessbEEEE10hipError_tPvRmT1_T2_T3_mmT4_T5_P12ihipStream_tbEUlRKiE_EESK_SO_SP_mSQ_ST_bEUlT_E_NS1_11comp_targetILNS1_3genE0ELNS1_11target_archE4294967295ELNS1_3gpuE0ELNS1_3repE0EEENS1_30default_config_static_selectorELNS0_4arch9wavefront6targetE1EEEvSN_
    .private_segment_fixed_size: 0
    .sgpr_count:     4
    .sgpr_spill_count: 0
    .symbol:         _ZN7rocprim17ROCPRIM_400000_NS6detail17trampoline_kernelINS0_14default_configENS1_27lower_bound_config_selectorIilEEZNS1_14transform_implILb0ES3_S5_N6thrust23THRUST_200600_302600_NS17counting_iteratorIiNS8_11use_defaultESA_SA_EEPlZNS1_13binary_searchIS3_S5_PiSB_SC_NS1_21lower_bound_search_opENS8_6detail16wrapped_functionI11custom_lessbEEEE10hipError_tPvRmT1_T2_T3_mmT4_T5_P12ihipStream_tbEUlRKiE_EESK_SO_SP_mSQ_ST_bEUlT_E_NS1_11comp_targetILNS1_3genE0ELNS1_11target_archE4294967295ELNS1_3gpuE0ELNS1_3repE0EEENS1_30default_config_static_selectorELNS0_4arch9wavefront6targetE1EEEvSN_.kd
    .uniform_work_group_size: 1
    .uses_dynamic_stack: false
    .vgpr_count:     0
    .vgpr_spill_count: 0
    .wavefront_size: 64
  - .agpr_count:     0
    .args:
      - .offset:         0
        .size:           56
        .value_kind:     by_value
    .group_segment_fixed_size: 0
    .kernarg_segment_align: 8
    .kernarg_segment_size: 56
    .language:       OpenCL C
    .language_version:
      - 2
      - 0
    .max_flat_workgroup_size: 256
    .name:           _ZN7rocprim17ROCPRIM_400000_NS6detail17trampoline_kernelINS0_14default_configENS1_27lower_bound_config_selectorIilEEZNS1_14transform_implILb0ES3_S5_N6thrust23THRUST_200600_302600_NS17counting_iteratorIiNS8_11use_defaultESA_SA_EEPlZNS1_13binary_searchIS3_S5_PiSB_SC_NS1_21lower_bound_search_opENS8_6detail16wrapped_functionI11custom_lessbEEEE10hipError_tPvRmT1_T2_T3_mmT4_T5_P12ihipStream_tbEUlRKiE_EESK_SO_SP_mSQ_ST_bEUlT_E_NS1_11comp_targetILNS1_3genE5ELNS1_11target_archE942ELNS1_3gpuE9ELNS1_3repE0EEENS1_30default_config_static_selectorELNS0_4arch9wavefront6targetE1EEEvSN_
    .private_segment_fixed_size: 0
    .sgpr_count:     4
    .sgpr_spill_count: 0
    .symbol:         _ZN7rocprim17ROCPRIM_400000_NS6detail17trampoline_kernelINS0_14default_configENS1_27lower_bound_config_selectorIilEEZNS1_14transform_implILb0ES3_S5_N6thrust23THRUST_200600_302600_NS17counting_iteratorIiNS8_11use_defaultESA_SA_EEPlZNS1_13binary_searchIS3_S5_PiSB_SC_NS1_21lower_bound_search_opENS8_6detail16wrapped_functionI11custom_lessbEEEE10hipError_tPvRmT1_T2_T3_mmT4_T5_P12ihipStream_tbEUlRKiE_EESK_SO_SP_mSQ_ST_bEUlT_E_NS1_11comp_targetILNS1_3genE5ELNS1_11target_archE942ELNS1_3gpuE9ELNS1_3repE0EEENS1_30default_config_static_selectorELNS0_4arch9wavefront6targetE1EEEvSN_.kd
    .uniform_work_group_size: 1
    .uses_dynamic_stack: false
    .vgpr_count:     0
    .vgpr_spill_count: 0
    .wavefront_size: 64
  - .agpr_count:     0
    .args:
      - .offset:         0
        .size:           56
        .value_kind:     by_value
      - .offset:         56
        .size:           4
        .value_kind:     hidden_block_count_x
      - .offset:         60
        .size:           4
        .value_kind:     hidden_block_count_y
      - .offset:         64
        .size:           4
        .value_kind:     hidden_block_count_z
      - .offset:         68
        .size:           2
        .value_kind:     hidden_group_size_x
      - .offset:         70
        .size:           2
        .value_kind:     hidden_group_size_y
      - .offset:         72
        .size:           2
        .value_kind:     hidden_group_size_z
      - .offset:         74
        .size:           2
        .value_kind:     hidden_remainder_x
      - .offset:         76
        .size:           2
        .value_kind:     hidden_remainder_y
      - .offset:         78
        .size:           2
        .value_kind:     hidden_remainder_z
      - .offset:         96
        .size:           8
        .value_kind:     hidden_global_offset_x
      - .offset:         104
        .size:           8
        .value_kind:     hidden_global_offset_y
      - .offset:         112
        .size:           8
        .value_kind:     hidden_global_offset_z
      - .offset:         120
        .size:           2
        .value_kind:     hidden_grid_dims
    .group_segment_fixed_size: 0
    .kernarg_segment_align: 8
    .kernarg_segment_size: 312
    .language:       OpenCL C
    .language_version:
      - 2
      - 0
    .max_flat_workgroup_size: 256
    .name:           _ZN7rocprim17ROCPRIM_400000_NS6detail17trampoline_kernelINS0_14default_configENS1_27lower_bound_config_selectorIilEEZNS1_14transform_implILb0ES3_S5_N6thrust23THRUST_200600_302600_NS17counting_iteratorIiNS8_11use_defaultESA_SA_EEPlZNS1_13binary_searchIS3_S5_PiSB_SC_NS1_21lower_bound_search_opENS8_6detail16wrapped_functionI11custom_lessbEEEE10hipError_tPvRmT1_T2_T3_mmT4_T5_P12ihipStream_tbEUlRKiE_EESK_SO_SP_mSQ_ST_bEUlT_E_NS1_11comp_targetILNS1_3genE4ELNS1_11target_archE910ELNS1_3gpuE8ELNS1_3repE0EEENS1_30default_config_static_selectorELNS0_4arch9wavefront6targetE1EEEvSN_
    .private_segment_fixed_size: 0
    .sgpr_count:     21
    .sgpr_spill_count: 0
    .symbol:         _ZN7rocprim17ROCPRIM_400000_NS6detail17trampoline_kernelINS0_14default_configENS1_27lower_bound_config_selectorIilEEZNS1_14transform_implILb0ES3_S5_N6thrust23THRUST_200600_302600_NS17counting_iteratorIiNS8_11use_defaultESA_SA_EEPlZNS1_13binary_searchIS3_S5_PiSB_SC_NS1_21lower_bound_search_opENS8_6detail16wrapped_functionI11custom_lessbEEEE10hipError_tPvRmT1_T2_T3_mmT4_T5_P12ihipStream_tbEUlRKiE_EESK_SO_SP_mSQ_ST_bEUlT_E_NS1_11comp_targetILNS1_3genE4ELNS1_11target_archE910ELNS1_3gpuE8ELNS1_3repE0EEENS1_30default_config_static_selectorELNS0_4arch9wavefront6targetE1EEEvSN_.kd
    .uniform_work_group_size: 1
    .uses_dynamic_stack: false
    .vgpr_count:     12
    .vgpr_spill_count: 0
    .wavefront_size: 64
  - .agpr_count:     0
    .args:
      - .offset:         0
        .size:           56
        .value_kind:     by_value
    .group_segment_fixed_size: 0
    .kernarg_segment_align: 8
    .kernarg_segment_size: 56
    .language:       OpenCL C
    .language_version:
      - 2
      - 0
    .max_flat_workgroup_size: 256
    .name:           _ZN7rocprim17ROCPRIM_400000_NS6detail17trampoline_kernelINS0_14default_configENS1_27lower_bound_config_selectorIilEEZNS1_14transform_implILb0ES3_S5_N6thrust23THRUST_200600_302600_NS17counting_iteratorIiNS8_11use_defaultESA_SA_EEPlZNS1_13binary_searchIS3_S5_PiSB_SC_NS1_21lower_bound_search_opENS8_6detail16wrapped_functionI11custom_lessbEEEE10hipError_tPvRmT1_T2_T3_mmT4_T5_P12ihipStream_tbEUlRKiE_EESK_SO_SP_mSQ_ST_bEUlT_E_NS1_11comp_targetILNS1_3genE3ELNS1_11target_archE908ELNS1_3gpuE7ELNS1_3repE0EEENS1_30default_config_static_selectorELNS0_4arch9wavefront6targetE1EEEvSN_
    .private_segment_fixed_size: 0
    .sgpr_count:     4
    .sgpr_spill_count: 0
    .symbol:         _ZN7rocprim17ROCPRIM_400000_NS6detail17trampoline_kernelINS0_14default_configENS1_27lower_bound_config_selectorIilEEZNS1_14transform_implILb0ES3_S5_N6thrust23THRUST_200600_302600_NS17counting_iteratorIiNS8_11use_defaultESA_SA_EEPlZNS1_13binary_searchIS3_S5_PiSB_SC_NS1_21lower_bound_search_opENS8_6detail16wrapped_functionI11custom_lessbEEEE10hipError_tPvRmT1_T2_T3_mmT4_T5_P12ihipStream_tbEUlRKiE_EESK_SO_SP_mSQ_ST_bEUlT_E_NS1_11comp_targetILNS1_3genE3ELNS1_11target_archE908ELNS1_3gpuE7ELNS1_3repE0EEENS1_30default_config_static_selectorELNS0_4arch9wavefront6targetE1EEEvSN_.kd
    .uniform_work_group_size: 1
    .uses_dynamic_stack: false
    .vgpr_count:     0
    .vgpr_spill_count: 0
    .wavefront_size: 64
  - .agpr_count:     0
    .args:
      - .offset:         0
        .size:           56
        .value_kind:     by_value
    .group_segment_fixed_size: 0
    .kernarg_segment_align: 8
    .kernarg_segment_size: 56
    .language:       OpenCL C
    .language_version:
      - 2
      - 0
    .max_flat_workgroup_size: 256
    .name:           _ZN7rocprim17ROCPRIM_400000_NS6detail17trampoline_kernelINS0_14default_configENS1_27lower_bound_config_selectorIilEEZNS1_14transform_implILb0ES3_S5_N6thrust23THRUST_200600_302600_NS17counting_iteratorIiNS8_11use_defaultESA_SA_EEPlZNS1_13binary_searchIS3_S5_PiSB_SC_NS1_21lower_bound_search_opENS8_6detail16wrapped_functionI11custom_lessbEEEE10hipError_tPvRmT1_T2_T3_mmT4_T5_P12ihipStream_tbEUlRKiE_EESK_SO_SP_mSQ_ST_bEUlT_E_NS1_11comp_targetILNS1_3genE2ELNS1_11target_archE906ELNS1_3gpuE6ELNS1_3repE0EEENS1_30default_config_static_selectorELNS0_4arch9wavefront6targetE1EEEvSN_
    .private_segment_fixed_size: 0
    .sgpr_count:     4
    .sgpr_spill_count: 0
    .symbol:         _ZN7rocprim17ROCPRIM_400000_NS6detail17trampoline_kernelINS0_14default_configENS1_27lower_bound_config_selectorIilEEZNS1_14transform_implILb0ES3_S5_N6thrust23THRUST_200600_302600_NS17counting_iteratorIiNS8_11use_defaultESA_SA_EEPlZNS1_13binary_searchIS3_S5_PiSB_SC_NS1_21lower_bound_search_opENS8_6detail16wrapped_functionI11custom_lessbEEEE10hipError_tPvRmT1_T2_T3_mmT4_T5_P12ihipStream_tbEUlRKiE_EESK_SO_SP_mSQ_ST_bEUlT_E_NS1_11comp_targetILNS1_3genE2ELNS1_11target_archE906ELNS1_3gpuE6ELNS1_3repE0EEENS1_30default_config_static_selectorELNS0_4arch9wavefront6targetE1EEEvSN_.kd
    .uniform_work_group_size: 1
    .uses_dynamic_stack: false
    .vgpr_count:     0
    .vgpr_spill_count: 0
    .wavefront_size: 64
  - .agpr_count:     0
    .args:
      - .offset:         0
        .size:           56
        .value_kind:     by_value
    .group_segment_fixed_size: 0
    .kernarg_segment_align: 8
    .kernarg_segment_size: 56
    .language:       OpenCL C
    .language_version:
      - 2
      - 0
    .max_flat_workgroup_size: 128
    .name:           _ZN7rocprim17ROCPRIM_400000_NS6detail17trampoline_kernelINS0_14default_configENS1_27lower_bound_config_selectorIilEEZNS1_14transform_implILb0ES3_S5_N6thrust23THRUST_200600_302600_NS17counting_iteratorIiNS8_11use_defaultESA_SA_EEPlZNS1_13binary_searchIS3_S5_PiSB_SC_NS1_21lower_bound_search_opENS8_6detail16wrapped_functionI11custom_lessbEEEE10hipError_tPvRmT1_T2_T3_mmT4_T5_P12ihipStream_tbEUlRKiE_EESK_SO_SP_mSQ_ST_bEUlT_E_NS1_11comp_targetILNS1_3genE10ELNS1_11target_archE1201ELNS1_3gpuE5ELNS1_3repE0EEENS1_30default_config_static_selectorELNS0_4arch9wavefront6targetE1EEEvSN_
    .private_segment_fixed_size: 0
    .sgpr_count:     4
    .sgpr_spill_count: 0
    .symbol:         _ZN7rocprim17ROCPRIM_400000_NS6detail17trampoline_kernelINS0_14default_configENS1_27lower_bound_config_selectorIilEEZNS1_14transform_implILb0ES3_S5_N6thrust23THRUST_200600_302600_NS17counting_iteratorIiNS8_11use_defaultESA_SA_EEPlZNS1_13binary_searchIS3_S5_PiSB_SC_NS1_21lower_bound_search_opENS8_6detail16wrapped_functionI11custom_lessbEEEE10hipError_tPvRmT1_T2_T3_mmT4_T5_P12ihipStream_tbEUlRKiE_EESK_SO_SP_mSQ_ST_bEUlT_E_NS1_11comp_targetILNS1_3genE10ELNS1_11target_archE1201ELNS1_3gpuE5ELNS1_3repE0EEENS1_30default_config_static_selectorELNS0_4arch9wavefront6targetE1EEEvSN_.kd
    .uniform_work_group_size: 1
    .uses_dynamic_stack: false
    .vgpr_count:     0
    .vgpr_spill_count: 0
    .wavefront_size: 64
  - .agpr_count:     0
    .args:
      - .offset:         0
        .size:           56
        .value_kind:     by_value
    .group_segment_fixed_size: 0
    .kernarg_segment_align: 8
    .kernarg_segment_size: 56
    .language:       OpenCL C
    .language_version:
      - 2
      - 0
    .max_flat_workgroup_size: 128
    .name:           _ZN7rocprim17ROCPRIM_400000_NS6detail17trampoline_kernelINS0_14default_configENS1_27lower_bound_config_selectorIilEEZNS1_14transform_implILb0ES3_S5_N6thrust23THRUST_200600_302600_NS17counting_iteratorIiNS8_11use_defaultESA_SA_EEPlZNS1_13binary_searchIS3_S5_PiSB_SC_NS1_21lower_bound_search_opENS8_6detail16wrapped_functionI11custom_lessbEEEE10hipError_tPvRmT1_T2_T3_mmT4_T5_P12ihipStream_tbEUlRKiE_EESK_SO_SP_mSQ_ST_bEUlT_E_NS1_11comp_targetILNS1_3genE10ELNS1_11target_archE1200ELNS1_3gpuE4ELNS1_3repE0EEENS1_30default_config_static_selectorELNS0_4arch9wavefront6targetE1EEEvSN_
    .private_segment_fixed_size: 0
    .sgpr_count:     4
    .sgpr_spill_count: 0
    .symbol:         _ZN7rocprim17ROCPRIM_400000_NS6detail17trampoline_kernelINS0_14default_configENS1_27lower_bound_config_selectorIilEEZNS1_14transform_implILb0ES3_S5_N6thrust23THRUST_200600_302600_NS17counting_iteratorIiNS8_11use_defaultESA_SA_EEPlZNS1_13binary_searchIS3_S5_PiSB_SC_NS1_21lower_bound_search_opENS8_6detail16wrapped_functionI11custom_lessbEEEE10hipError_tPvRmT1_T2_T3_mmT4_T5_P12ihipStream_tbEUlRKiE_EESK_SO_SP_mSQ_ST_bEUlT_E_NS1_11comp_targetILNS1_3genE10ELNS1_11target_archE1200ELNS1_3gpuE4ELNS1_3repE0EEENS1_30default_config_static_selectorELNS0_4arch9wavefront6targetE1EEEvSN_.kd
    .uniform_work_group_size: 1
    .uses_dynamic_stack: false
    .vgpr_count:     0
    .vgpr_spill_count: 0
    .wavefront_size: 64
  - .agpr_count:     0
    .args:
      - .offset:         0
        .size:           56
        .value_kind:     by_value
    .group_segment_fixed_size: 0
    .kernarg_segment_align: 8
    .kernarg_segment_size: 56
    .language:       OpenCL C
    .language_version:
      - 2
      - 0
    .max_flat_workgroup_size: 256
    .name:           _ZN7rocprim17ROCPRIM_400000_NS6detail17trampoline_kernelINS0_14default_configENS1_27lower_bound_config_selectorIilEEZNS1_14transform_implILb0ES3_S5_N6thrust23THRUST_200600_302600_NS17counting_iteratorIiNS8_11use_defaultESA_SA_EEPlZNS1_13binary_searchIS3_S5_PiSB_SC_NS1_21lower_bound_search_opENS8_6detail16wrapped_functionI11custom_lessbEEEE10hipError_tPvRmT1_T2_T3_mmT4_T5_P12ihipStream_tbEUlRKiE_EESK_SO_SP_mSQ_ST_bEUlT_E_NS1_11comp_targetILNS1_3genE9ELNS1_11target_archE1100ELNS1_3gpuE3ELNS1_3repE0EEENS1_30default_config_static_selectorELNS0_4arch9wavefront6targetE1EEEvSN_
    .private_segment_fixed_size: 0
    .sgpr_count:     4
    .sgpr_spill_count: 0
    .symbol:         _ZN7rocprim17ROCPRIM_400000_NS6detail17trampoline_kernelINS0_14default_configENS1_27lower_bound_config_selectorIilEEZNS1_14transform_implILb0ES3_S5_N6thrust23THRUST_200600_302600_NS17counting_iteratorIiNS8_11use_defaultESA_SA_EEPlZNS1_13binary_searchIS3_S5_PiSB_SC_NS1_21lower_bound_search_opENS8_6detail16wrapped_functionI11custom_lessbEEEE10hipError_tPvRmT1_T2_T3_mmT4_T5_P12ihipStream_tbEUlRKiE_EESK_SO_SP_mSQ_ST_bEUlT_E_NS1_11comp_targetILNS1_3genE9ELNS1_11target_archE1100ELNS1_3gpuE3ELNS1_3repE0EEENS1_30default_config_static_selectorELNS0_4arch9wavefront6targetE1EEEvSN_.kd
    .uniform_work_group_size: 1
    .uses_dynamic_stack: false
    .vgpr_count:     0
    .vgpr_spill_count: 0
    .wavefront_size: 64
  - .agpr_count:     0
    .args:
      - .offset:         0
        .size:           56
        .value_kind:     by_value
    .group_segment_fixed_size: 0
    .kernarg_segment_align: 8
    .kernarg_segment_size: 56
    .language:       OpenCL C
    .language_version:
      - 2
      - 0
    .max_flat_workgroup_size: 256
    .name:           _ZN7rocprim17ROCPRIM_400000_NS6detail17trampoline_kernelINS0_14default_configENS1_27lower_bound_config_selectorIilEEZNS1_14transform_implILb0ES3_S5_N6thrust23THRUST_200600_302600_NS17counting_iteratorIiNS8_11use_defaultESA_SA_EEPlZNS1_13binary_searchIS3_S5_PiSB_SC_NS1_21lower_bound_search_opENS8_6detail16wrapped_functionI11custom_lessbEEEE10hipError_tPvRmT1_T2_T3_mmT4_T5_P12ihipStream_tbEUlRKiE_EESK_SO_SP_mSQ_ST_bEUlT_E_NS1_11comp_targetILNS1_3genE8ELNS1_11target_archE1030ELNS1_3gpuE2ELNS1_3repE0EEENS1_30default_config_static_selectorELNS0_4arch9wavefront6targetE1EEEvSN_
    .private_segment_fixed_size: 0
    .sgpr_count:     4
    .sgpr_spill_count: 0
    .symbol:         _ZN7rocprim17ROCPRIM_400000_NS6detail17trampoline_kernelINS0_14default_configENS1_27lower_bound_config_selectorIilEEZNS1_14transform_implILb0ES3_S5_N6thrust23THRUST_200600_302600_NS17counting_iteratorIiNS8_11use_defaultESA_SA_EEPlZNS1_13binary_searchIS3_S5_PiSB_SC_NS1_21lower_bound_search_opENS8_6detail16wrapped_functionI11custom_lessbEEEE10hipError_tPvRmT1_T2_T3_mmT4_T5_P12ihipStream_tbEUlRKiE_EESK_SO_SP_mSQ_ST_bEUlT_E_NS1_11comp_targetILNS1_3genE8ELNS1_11target_archE1030ELNS1_3gpuE2ELNS1_3repE0EEENS1_30default_config_static_selectorELNS0_4arch9wavefront6targetE1EEEvSN_.kd
    .uniform_work_group_size: 1
    .uses_dynamic_stack: false
    .vgpr_count:     0
    .vgpr_spill_count: 0
    .wavefront_size: 64
  - .agpr_count:     0
    .args:
      - .offset:         0
        .size:           16
        .value_kind:     by_value
      - .offset:         16
        .size:           8
        .value_kind:     by_value
      - .offset:         24
        .size:           8
        .value_kind:     by_value
    .group_segment_fixed_size: 0
    .kernarg_segment_align: 8
    .kernarg_segment_size: 32
    .language:       OpenCL C
    .language_version:
      - 2
      - 0
    .max_flat_workgroup_size: 256
    .name:           _ZN6thrust23THRUST_200600_302600_NS11hip_rocprim14__parallel_for6kernelILj256ENS1_20__uninitialized_fill7functorINS0_10device_ptrIsEEsEEmLj1EEEvT0_T1_SA_
    .private_segment_fixed_size: 0
    .sgpr_count:     16
    .sgpr_spill_count: 0
    .symbol:         _ZN6thrust23THRUST_200600_302600_NS11hip_rocprim14__parallel_for6kernelILj256ENS1_20__uninitialized_fill7functorINS0_10device_ptrIsEEsEEmLj1EEEvT0_T1_SA_.kd
    .uniform_work_group_size: 1
    .uses_dynamic_stack: false
    .vgpr_count:     4
    .vgpr_spill_count: 0
    .wavefront_size: 64
  - .agpr_count:     0
    .args:
      - .offset:         0
        .size:           8
        .value_kind:     by_value
      - .address_space:  global
        .offset:         8
        .size:           8
        .value_kind:     global_buffer
      - .address_space:  global
        .offset:         16
        .size:           8
        .value_kind:     global_buffer
    .group_segment_fixed_size: 0
    .kernarg_segment_align: 8
    .kernarg_segment_size: 24
    .language:       OpenCL C
    .language_version:
      - 2
      - 0
    .max_flat_workgroup_size: 256
    .name:           _Z18lower_bound_kernelIsEvmPT_Pl
    .private_segment_fixed_size: 0
    .sgpr_count:     23
    .sgpr_spill_count: 0
    .symbol:         _Z18lower_bound_kernelIsEvmPT_Pl.kd
    .uniform_work_group_size: 1
    .uses_dynamic_stack: false
    .vgpr_count:     4
    .vgpr_spill_count: 0
    .wavefront_size: 64
  - .agpr_count:     0
    .args:
      - .offset:         0
        .size:           56
        .value_kind:     by_value
    .group_segment_fixed_size: 0
    .kernarg_segment_align: 8
    .kernarg_segment_size: 56
    .language:       OpenCL C
    .language_version:
      - 2
      - 0
    .max_flat_workgroup_size: 256
    .name:           _ZN7rocprim17ROCPRIM_400000_NS6detail17trampoline_kernelINS0_14default_configENS1_27lower_bound_config_selectorIslEEZNS1_14transform_implILb0ES3_S5_N6thrust23THRUST_200600_302600_NS17counting_iteratorIsNS8_11use_defaultESA_SA_EEPlZNS1_13binary_searchIS3_S5_PsSB_SC_NS1_21lower_bound_search_opENS8_6detail16wrapped_functionI11custom_lessbEEEE10hipError_tPvRmT1_T2_T3_mmT4_T5_P12ihipStream_tbEUlRKsE_EESK_SO_SP_mSQ_ST_bEUlT_E_NS1_11comp_targetILNS1_3genE0ELNS1_11target_archE4294967295ELNS1_3gpuE0ELNS1_3repE0EEENS1_30default_config_static_selectorELNS0_4arch9wavefront6targetE1EEEvSN_
    .private_segment_fixed_size: 0
    .sgpr_count:     4
    .sgpr_spill_count: 0
    .symbol:         _ZN7rocprim17ROCPRIM_400000_NS6detail17trampoline_kernelINS0_14default_configENS1_27lower_bound_config_selectorIslEEZNS1_14transform_implILb0ES3_S5_N6thrust23THRUST_200600_302600_NS17counting_iteratorIsNS8_11use_defaultESA_SA_EEPlZNS1_13binary_searchIS3_S5_PsSB_SC_NS1_21lower_bound_search_opENS8_6detail16wrapped_functionI11custom_lessbEEEE10hipError_tPvRmT1_T2_T3_mmT4_T5_P12ihipStream_tbEUlRKsE_EESK_SO_SP_mSQ_ST_bEUlT_E_NS1_11comp_targetILNS1_3genE0ELNS1_11target_archE4294967295ELNS1_3gpuE0ELNS1_3repE0EEENS1_30default_config_static_selectorELNS0_4arch9wavefront6targetE1EEEvSN_.kd
    .uniform_work_group_size: 1
    .uses_dynamic_stack: false
    .vgpr_count:     0
    .vgpr_spill_count: 0
    .wavefront_size: 64
  - .agpr_count:     0
    .args:
      - .offset:         0
        .size:           56
        .value_kind:     by_value
    .group_segment_fixed_size: 0
    .kernarg_segment_align: 8
    .kernarg_segment_size: 56
    .language:       OpenCL C
    .language_version:
      - 2
      - 0
    .max_flat_workgroup_size: 256
    .name:           _ZN7rocprim17ROCPRIM_400000_NS6detail17trampoline_kernelINS0_14default_configENS1_27lower_bound_config_selectorIslEEZNS1_14transform_implILb0ES3_S5_N6thrust23THRUST_200600_302600_NS17counting_iteratorIsNS8_11use_defaultESA_SA_EEPlZNS1_13binary_searchIS3_S5_PsSB_SC_NS1_21lower_bound_search_opENS8_6detail16wrapped_functionI11custom_lessbEEEE10hipError_tPvRmT1_T2_T3_mmT4_T5_P12ihipStream_tbEUlRKsE_EESK_SO_SP_mSQ_ST_bEUlT_E_NS1_11comp_targetILNS1_3genE5ELNS1_11target_archE942ELNS1_3gpuE9ELNS1_3repE0EEENS1_30default_config_static_selectorELNS0_4arch9wavefront6targetE1EEEvSN_
    .private_segment_fixed_size: 0
    .sgpr_count:     4
    .sgpr_spill_count: 0
    .symbol:         _ZN7rocprim17ROCPRIM_400000_NS6detail17trampoline_kernelINS0_14default_configENS1_27lower_bound_config_selectorIslEEZNS1_14transform_implILb0ES3_S5_N6thrust23THRUST_200600_302600_NS17counting_iteratorIsNS8_11use_defaultESA_SA_EEPlZNS1_13binary_searchIS3_S5_PsSB_SC_NS1_21lower_bound_search_opENS8_6detail16wrapped_functionI11custom_lessbEEEE10hipError_tPvRmT1_T2_T3_mmT4_T5_P12ihipStream_tbEUlRKsE_EESK_SO_SP_mSQ_ST_bEUlT_E_NS1_11comp_targetILNS1_3genE5ELNS1_11target_archE942ELNS1_3gpuE9ELNS1_3repE0EEENS1_30default_config_static_selectorELNS0_4arch9wavefront6targetE1EEEvSN_.kd
    .uniform_work_group_size: 1
    .uses_dynamic_stack: false
    .vgpr_count:     0
    .vgpr_spill_count: 0
    .wavefront_size: 64
  - .agpr_count:     0
    .args:
      - .offset:         0
        .size:           56
        .value_kind:     by_value
      - .offset:         56
        .size:           4
        .value_kind:     hidden_block_count_x
      - .offset:         60
        .size:           4
        .value_kind:     hidden_block_count_y
      - .offset:         64
        .size:           4
        .value_kind:     hidden_block_count_z
      - .offset:         68
        .size:           2
        .value_kind:     hidden_group_size_x
      - .offset:         70
        .size:           2
        .value_kind:     hidden_group_size_y
      - .offset:         72
        .size:           2
        .value_kind:     hidden_group_size_z
      - .offset:         74
        .size:           2
        .value_kind:     hidden_remainder_x
      - .offset:         76
        .size:           2
        .value_kind:     hidden_remainder_y
      - .offset:         78
        .size:           2
        .value_kind:     hidden_remainder_z
      - .offset:         96
        .size:           8
        .value_kind:     hidden_global_offset_x
      - .offset:         104
        .size:           8
        .value_kind:     hidden_global_offset_y
      - .offset:         112
        .size:           8
        .value_kind:     hidden_global_offset_z
      - .offset:         120
        .size:           2
        .value_kind:     hidden_grid_dims
    .group_segment_fixed_size: 0
    .kernarg_segment_align: 8
    .kernarg_segment_size: 312
    .language:       OpenCL C
    .language_version:
      - 2
      - 0
    .max_flat_workgroup_size: 256
    .name:           _ZN7rocprim17ROCPRIM_400000_NS6detail17trampoline_kernelINS0_14default_configENS1_27lower_bound_config_selectorIslEEZNS1_14transform_implILb0ES3_S5_N6thrust23THRUST_200600_302600_NS17counting_iteratorIsNS8_11use_defaultESA_SA_EEPlZNS1_13binary_searchIS3_S5_PsSB_SC_NS1_21lower_bound_search_opENS8_6detail16wrapped_functionI11custom_lessbEEEE10hipError_tPvRmT1_T2_T3_mmT4_T5_P12ihipStream_tbEUlRKsE_EESK_SO_SP_mSQ_ST_bEUlT_E_NS1_11comp_targetILNS1_3genE4ELNS1_11target_archE910ELNS1_3gpuE8ELNS1_3repE0EEENS1_30default_config_static_selectorELNS0_4arch9wavefront6targetE1EEEvSN_
    .private_segment_fixed_size: 0
    .sgpr_count:     21
    .sgpr_spill_count: 0
    .symbol:         _ZN7rocprim17ROCPRIM_400000_NS6detail17trampoline_kernelINS0_14default_configENS1_27lower_bound_config_selectorIslEEZNS1_14transform_implILb0ES3_S5_N6thrust23THRUST_200600_302600_NS17counting_iteratorIsNS8_11use_defaultESA_SA_EEPlZNS1_13binary_searchIS3_S5_PsSB_SC_NS1_21lower_bound_search_opENS8_6detail16wrapped_functionI11custom_lessbEEEE10hipError_tPvRmT1_T2_T3_mmT4_T5_P12ihipStream_tbEUlRKsE_EESK_SO_SP_mSQ_ST_bEUlT_E_NS1_11comp_targetILNS1_3genE4ELNS1_11target_archE910ELNS1_3gpuE8ELNS1_3repE0EEENS1_30default_config_static_selectorELNS0_4arch9wavefront6targetE1EEEvSN_.kd
    .uniform_work_group_size: 1
    .uses_dynamic_stack: false
    .vgpr_count:     12
    .vgpr_spill_count: 0
    .wavefront_size: 64
  - .agpr_count:     0
    .args:
      - .offset:         0
        .size:           56
        .value_kind:     by_value
    .group_segment_fixed_size: 0
    .kernarg_segment_align: 8
    .kernarg_segment_size: 56
    .language:       OpenCL C
    .language_version:
      - 2
      - 0
    .max_flat_workgroup_size: 256
    .name:           _ZN7rocprim17ROCPRIM_400000_NS6detail17trampoline_kernelINS0_14default_configENS1_27lower_bound_config_selectorIslEEZNS1_14transform_implILb0ES3_S5_N6thrust23THRUST_200600_302600_NS17counting_iteratorIsNS8_11use_defaultESA_SA_EEPlZNS1_13binary_searchIS3_S5_PsSB_SC_NS1_21lower_bound_search_opENS8_6detail16wrapped_functionI11custom_lessbEEEE10hipError_tPvRmT1_T2_T3_mmT4_T5_P12ihipStream_tbEUlRKsE_EESK_SO_SP_mSQ_ST_bEUlT_E_NS1_11comp_targetILNS1_3genE3ELNS1_11target_archE908ELNS1_3gpuE7ELNS1_3repE0EEENS1_30default_config_static_selectorELNS0_4arch9wavefront6targetE1EEEvSN_
    .private_segment_fixed_size: 0
    .sgpr_count:     4
    .sgpr_spill_count: 0
    .symbol:         _ZN7rocprim17ROCPRIM_400000_NS6detail17trampoline_kernelINS0_14default_configENS1_27lower_bound_config_selectorIslEEZNS1_14transform_implILb0ES3_S5_N6thrust23THRUST_200600_302600_NS17counting_iteratorIsNS8_11use_defaultESA_SA_EEPlZNS1_13binary_searchIS3_S5_PsSB_SC_NS1_21lower_bound_search_opENS8_6detail16wrapped_functionI11custom_lessbEEEE10hipError_tPvRmT1_T2_T3_mmT4_T5_P12ihipStream_tbEUlRKsE_EESK_SO_SP_mSQ_ST_bEUlT_E_NS1_11comp_targetILNS1_3genE3ELNS1_11target_archE908ELNS1_3gpuE7ELNS1_3repE0EEENS1_30default_config_static_selectorELNS0_4arch9wavefront6targetE1EEEvSN_.kd
    .uniform_work_group_size: 1
    .uses_dynamic_stack: false
    .vgpr_count:     0
    .vgpr_spill_count: 0
    .wavefront_size: 64
  - .agpr_count:     0
    .args:
      - .offset:         0
        .size:           56
        .value_kind:     by_value
    .group_segment_fixed_size: 0
    .kernarg_segment_align: 8
    .kernarg_segment_size: 56
    .language:       OpenCL C
    .language_version:
      - 2
      - 0
    .max_flat_workgroup_size: 256
    .name:           _ZN7rocprim17ROCPRIM_400000_NS6detail17trampoline_kernelINS0_14default_configENS1_27lower_bound_config_selectorIslEEZNS1_14transform_implILb0ES3_S5_N6thrust23THRUST_200600_302600_NS17counting_iteratorIsNS8_11use_defaultESA_SA_EEPlZNS1_13binary_searchIS3_S5_PsSB_SC_NS1_21lower_bound_search_opENS8_6detail16wrapped_functionI11custom_lessbEEEE10hipError_tPvRmT1_T2_T3_mmT4_T5_P12ihipStream_tbEUlRKsE_EESK_SO_SP_mSQ_ST_bEUlT_E_NS1_11comp_targetILNS1_3genE2ELNS1_11target_archE906ELNS1_3gpuE6ELNS1_3repE0EEENS1_30default_config_static_selectorELNS0_4arch9wavefront6targetE1EEEvSN_
    .private_segment_fixed_size: 0
    .sgpr_count:     4
    .sgpr_spill_count: 0
    .symbol:         _ZN7rocprim17ROCPRIM_400000_NS6detail17trampoline_kernelINS0_14default_configENS1_27lower_bound_config_selectorIslEEZNS1_14transform_implILb0ES3_S5_N6thrust23THRUST_200600_302600_NS17counting_iteratorIsNS8_11use_defaultESA_SA_EEPlZNS1_13binary_searchIS3_S5_PsSB_SC_NS1_21lower_bound_search_opENS8_6detail16wrapped_functionI11custom_lessbEEEE10hipError_tPvRmT1_T2_T3_mmT4_T5_P12ihipStream_tbEUlRKsE_EESK_SO_SP_mSQ_ST_bEUlT_E_NS1_11comp_targetILNS1_3genE2ELNS1_11target_archE906ELNS1_3gpuE6ELNS1_3repE0EEENS1_30default_config_static_selectorELNS0_4arch9wavefront6targetE1EEEvSN_.kd
    .uniform_work_group_size: 1
    .uses_dynamic_stack: false
    .vgpr_count:     0
    .vgpr_spill_count: 0
    .wavefront_size: 64
  - .agpr_count:     0
    .args:
      - .offset:         0
        .size:           56
        .value_kind:     by_value
    .group_segment_fixed_size: 0
    .kernarg_segment_align: 8
    .kernarg_segment_size: 56
    .language:       OpenCL C
    .language_version:
      - 2
      - 0
    .max_flat_workgroup_size: 256
    .name:           _ZN7rocprim17ROCPRIM_400000_NS6detail17trampoline_kernelINS0_14default_configENS1_27lower_bound_config_selectorIslEEZNS1_14transform_implILb0ES3_S5_N6thrust23THRUST_200600_302600_NS17counting_iteratorIsNS8_11use_defaultESA_SA_EEPlZNS1_13binary_searchIS3_S5_PsSB_SC_NS1_21lower_bound_search_opENS8_6detail16wrapped_functionI11custom_lessbEEEE10hipError_tPvRmT1_T2_T3_mmT4_T5_P12ihipStream_tbEUlRKsE_EESK_SO_SP_mSQ_ST_bEUlT_E_NS1_11comp_targetILNS1_3genE10ELNS1_11target_archE1201ELNS1_3gpuE5ELNS1_3repE0EEENS1_30default_config_static_selectorELNS0_4arch9wavefront6targetE1EEEvSN_
    .private_segment_fixed_size: 0
    .sgpr_count:     4
    .sgpr_spill_count: 0
    .symbol:         _ZN7rocprim17ROCPRIM_400000_NS6detail17trampoline_kernelINS0_14default_configENS1_27lower_bound_config_selectorIslEEZNS1_14transform_implILb0ES3_S5_N6thrust23THRUST_200600_302600_NS17counting_iteratorIsNS8_11use_defaultESA_SA_EEPlZNS1_13binary_searchIS3_S5_PsSB_SC_NS1_21lower_bound_search_opENS8_6detail16wrapped_functionI11custom_lessbEEEE10hipError_tPvRmT1_T2_T3_mmT4_T5_P12ihipStream_tbEUlRKsE_EESK_SO_SP_mSQ_ST_bEUlT_E_NS1_11comp_targetILNS1_3genE10ELNS1_11target_archE1201ELNS1_3gpuE5ELNS1_3repE0EEENS1_30default_config_static_selectorELNS0_4arch9wavefront6targetE1EEEvSN_.kd
    .uniform_work_group_size: 1
    .uses_dynamic_stack: false
    .vgpr_count:     0
    .vgpr_spill_count: 0
    .wavefront_size: 64
  - .agpr_count:     0
    .args:
      - .offset:         0
        .size:           56
        .value_kind:     by_value
    .group_segment_fixed_size: 0
    .kernarg_segment_align: 8
    .kernarg_segment_size: 56
    .language:       OpenCL C
    .language_version:
      - 2
      - 0
    .max_flat_workgroup_size: 256
    .name:           _ZN7rocprim17ROCPRIM_400000_NS6detail17trampoline_kernelINS0_14default_configENS1_27lower_bound_config_selectorIslEEZNS1_14transform_implILb0ES3_S5_N6thrust23THRUST_200600_302600_NS17counting_iteratorIsNS8_11use_defaultESA_SA_EEPlZNS1_13binary_searchIS3_S5_PsSB_SC_NS1_21lower_bound_search_opENS8_6detail16wrapped_functionI11custom_lessbEEEE10hipError_tPvRmT1_T2_T3_mmT4_T5_P12ihipStream_tbEUlRKsE_EESK_SO_SP_mSQ_ST_bEUlT_E_NS1_11comp_targetILNS1_3genE10ELNS1_11target_archE1200ELNS1_3gpuE4ELNS1_3repE0EEENS1_30default_config_static_selectorELNS0_4arch9wavefront6targetE1EEEvSN_
    .private_segment_fixed_size: 0
    .sgpr_count:     4
    .sgpr_spill_count: 0
    .symbol:         _ZN7rocprim17ROCPRIM_400000_NS6detail17trampoline_kernelINS0_14default_configENS1_27lower_bound_config_selectorIslEEZNS1_14transform_implILb0ES3_S5_N6thrust23THRUST_200600_302600_NS17counting_iteratorIsNS8_11use_defaultESA_SA_EEPlZNS1_13binary_searchIS3_S5_PsSB_SC_NS1_21lower_bound_search_opENS8_6detail16wrapped_functionI11custom_lessbEEEE10hipError_tPvRmT1_T2_T3_mmT4_T5_P12ihipStream_tbEUlRKsE_EESK_SO_SP_mSQ_ST_bEUlT_E_NS1_11comp_targetILNS1_3genE10ELNS1_11target_archE1200ELNS1_3gpuE4ELNS1_3repE0EEENS1_30default_config_static_selectorELNS0_4arch9wavefront6targetE1EEEvSN_.kd
    .uniform_work_group_size: 1
    .uses_dynamic_stack: false
    .vgpr_count:     0
    .vgpr_spill_count: 0
    .wavefront_size: 64
  - .agpr_count:     0
    .args:
      - .offset:         0
        .size:           56
        .value_kind:     by_value
    .group_segment_fixed_size: 0
    .kernarg_segment_align: 8
    .kernarg_segment_size: 56
    .language:       OpenCL C
    .language_version:
      - 2
      - 0
    .max_flat_workgroup_size: 64
    .name:           _ZN7rocprim17ROCPRIM_400000_NS6detail17trampoline_kernelINS0_14default_configENS1_27lower_bound_config_selectorIslEEZNS1_14transform_implILb0ES3_S5_N6thrust23THRUST_200600_302600_NS17counting_iteratorIsNS8_11use_defaultESA_SA_EEPlZNS1_13binary_searchIS3_S5_PsSB_SC_NS1_21lower_bound_search_opENS8_6detail16wrapped_functionI11custom_lessbEEEE10hipError_tPvRmT1_T2_T3_mmT4_T5_P12ihipStream_tbEUlRKsE_EESK_SO_SP_mSQ_ST_bEUlT_E_NS1_11comp_targetILNS1_3genE9ELNS1_11target_archE1100ELNS1_3gpuE3ELNS1_3repE0EEENS1_30default_config_static_selectorELNS0_4arch9wavefront6targetE1EEEvSN_
    .private_segment_fixed_size: 0
    .sgpr_count:     4
    .sgpr_spill_count: 0
    .symbol:         _ZN7rocprim17ROCPRIM_400000_NS6detail17trampoline_kernelINS0_14default_configENS1_27lower_bound_config_selectorIslEEZNS1_14transform_implILb0ES3_S5_N6thrust23THRUST_200600_302600_NS17counting_iteratorIsNS8_11use_defaultESA_SA_EEPlZNS1_13binary_searchIS3_S5_PsSB_SC_NS1_21lower_bound_search_opENS8_6detail16wrapped_functionI11custom_lessbEEEE10hipError_tPvRmT1_T2_T3_mmT4_T5_P12ihipStream_tbEUlRKsE_EESK_SO_SP_mSQ_ST_bEUlT_E_NS1_11comp_targetILNS1_3genE9ELNS1_11target_archE1100ELNS1_3gpuE3ELNS1_3repE0EEENS1_30default_config_static_selectorELNS0_4arch9wavefront6targetE1EEEvSN_.kd
    .uniform_work_group_size: 1
    .uses_dynamic_stack: false
    .vgpr_count:     0
    .vgpr_spill_count: 0
    .wavefront_size: 64
  - .agpr_count:     0
    .args:
      - .offset:         0
        .size:           56
        .value_kind:     by_value
    .group_segment_fixed_size: 0
    .kernarg_segment_align: 8
    .kernarg_segment_size: 56
    .language:       OpenCL C
    .language_version:
      - 2
      - 0
    .max_flat_workgroup_size: 128
    .name:           _ZN7rocprim17ROCPRIM_400000_NS6detail17trampoline_kernelINS0_14default_configENS1_27lower_bound_config_selectorIslEEZNS1_14transform_implILb0ES3_S5_N6thrust23THRUST_200600_302600_NS17counting_iteratorIsNS8_11use_defaultESA_SA_EEPlZNS1_13binary_searchIS3_S5_PsSB_SC_NS1_21lower_bound_search_opENS8_6detail16wrapped_functionI11custom_lessbEEEE10hipError_tPvRmT1_T2_T3_mmT4_T5_P12ihipStream_tbEUlRKsE_EESK_SO_SP_mSQ_ST_bEUlT_E_NS1_11comp_targetILNS1_3genE8ELNS1_11target_archE1030ELNS1_3gpuE2ELNS1_3repE0EEENS1_30default_config_static_selectorELNS0_4arch9wavefront6targetE1EEEvSN_
    .private_segment_fixed_size: 0
    .sgpr_count:     4
    .sgpr_spill_count: 0
    .symbol:         _ZN7rocprim17ROCPRIM_400000_NS6detail17trampoline_kernelINS0_14default_configENS1_27lower_bound_config_selectorIslEEZNS1_14transform_implILb0ES3_S5_N6thrust23THRUST_200600_302600_NS17counting_iteratorIsNS8_11use_defaultESA_SA_EEPlZNS1_13binary_searchIS3_S5_PsSB_SC_NS1_21lower_bound_search_opENS8_6detail16wrapped_functionI11custom_lessbEEEE10hipError_tPvRmT1_T2_T3_mmT4_T5_P12ihipStream_tbEUlRKsE_EESK_SO_SP_mSQ_ST_bEUlT_E_NS1_11comp_targetILNS1_3genE8ELNS1_11target_archE1030ELNS1_3gpuE2ELNS1_3repE0EEENS1_30default_config_static_selectorELNS0_4arch9wavefront6targetE1EEEvSN_.kd
    .uniform_work_group_size: 1
    .uses_dynamic_stack: false
    .vgpr_count:     0
    .vgpr_spill_count: 0
    .wavefront_size: 64
  - .agpr_count:     0
    .args:
      - .offset:         0
        .size:           8
        .value_kind:     by_value
      - .address_space:  global
        .offset:         8
        .size:           8
        .value_kind:     global_buffer
      - .address_space:  global
        .offset:         16
        .size:           8
        .value_kind:     global_buffer
    .group_segment_fixed_size: 0
    .kernarg_segment_align: 8
    .kernarg_segment_size: 24
    .language:       OpenCL C
    .language_version:
      - 2
      - 0
    .max_flat_workgroup_size: 256
    .name:           _Z18upper_bound_kernelIdEvmPT_Pl
    .private_segment_fixed_size: 0
    .sgpr_count:     25
    .sgpr_spill_count: 0
    .symbol:         _Z18upper_bound_kernelIdEvmPT_Pl.kd
    .uniform_work_group_size: 1
    .uses_dynamic_stack: false
    .vgpr_count:     8
    .vgpr_spill_count: 0
    .wavefront_size: 64
  - .agpr_count:     0
    .args:
      - .offset:         0
        .size:           56
        .value_kind:     by_value
    .group_segment_fixed_size: 0
    .kernarg_segment_align: 8
    .kernarg_segment_size: 56
    .language:       OpenCL C
    .language_version:
      - 2
      - 0
    .max_flat_workgroup_size: 256
    .name:           _ZN7rocprim17ROCPRIM_400000_NS6detail17trampoline_kernelINS0_14default_configENS1_27upper_bound_config_selectorIdlEEZNS1_14transform_implILb0ES3_S5_N6thrust23THRUST_200600_302600_NS17counting_iteratorIdNS8_11use_defaultESA_SA_EEPlZNS1_13binary_searchIS3_S5_PdSB_SC_NS1_21upper_bound_search_opENS8_6detail16wrapped_functionINS0_4lessIvEEbEEEE10hipError_tPvRmT1_T2_T3_mmT4_T5_P12ihipStream_tbEUlRKdE_EESL_SP_SQ_mSR_SU_bEUlT_E_NS1_11comp_targetILNS1_3genE0ELNS1_11target_archE4294967295ELNS1_3gpuE0ELNS1_3repE0EEENS1_30default_config_static_selectorELNS0_4arch9wavefront6targetE1EEEvSO_
    .private_segment_fixed_size: 0
    .sgpr_count:     4
    .sgpr_spill_count: 0
    .symbol:         _ZN7rocprim17ROCPRIM_400000_NS6detail17trampoline_kernelINS0_14default_configENS1_27upper_bound_config_selectorIdlEEZNS1_14transform_implILb0ES3_S5_N6thrust23THRUST_200600_302600_NS17counting_iteratorIdNS8_11use_defaultESA_SA_EEPlZNS1_13binary_searchIS3_S5_PdSB_SC_NS1_21upper_bound_search_opENS8_6detail16wrapped_functionINS0_4lessIvEEbEEEE10hipError_tPvRmT1_T2_T3_mmT4_T5_P12ihipStream_tbEUlRKdE_EESL_SP_SQ_mSR_SU_bEUlT_E_NS1_11comp_targetILNS1_3genE0ELNS1_11target_archE4294967295ELNS1_3gpuE0ELNS1_3repE0EEENS1_30default_config_static_selectorELNS0_4arch9wavefront6targetE1EEEvSO_.kd
    .uniform_work_group_size: 1
    .uses_dynamic_stack: false
    .vgpr_count:     0
    .vgpr_spill_count: 0
    .wavefront_size: 64
  - .agpr_count:     0
    .args:
      - .offset:         0
        .size:           56
        .value_kind:     by_value
    .group_segment_fixed_size: 0
    .kernarg_segment_align: 8
    .kernarg_segment_size: 56
    .language:       OpenCL C
    .language_version:
      - 2
      - 0
    .max_flat_workgroup_size: 64
    .name:           _ZN7rocprim17ROCPRIM_400000_NS6detail17trampoline_kernelINS0_14default_configENS1_27upper_bound_config_selectorIdlEEZNS1_14transform_implILb0ES3_S5_N6thrust23THRUST_200600_302600_NS17counting_iteratorIdNS8_11use_defaultESA_SA_EEPlZNS1_13binary_searchIS3_S5_PdSB_SC_NS1_21upper_bound_search_opENS8_6detail16wrapped_functionINS0_4lessIvEEbEEEE10hipError_tPvRmT1_T2_T3_mmT4_T5_P12ihipStream_tbEUlRKdE_EESL_SP_SQ_mSR_SU_bEUlT_E_NS1_11comp_targetILNS1_3genE5ELNS1_11target_archE942ELNS1_3gpuE9ELNS1_3repE0EEENS1_30default_config_static_selectorELNS0_4arch9wavefront6targetE1EEEvSO_
    .private_segment_fixed_size: 0
    .sgpr_count:     4
    .sgpr_spill_count: 0
    .symbol:         _ZN7rocprim17ROCPRIM_400000_NS6detail17trampoline_kernelINS0_14default_configENS1_27upper_bound_config_selectorIdlEEZNS1_14transform_implILb0ES3_S5_N6thrust23THRUST_200600_302600_NS17counting_iteratorIdNS8_11use_defaultESA_SA_EEPlZNS1_13binary_searchIS3_S5_PdSB_SC_NS1_21upper_bound_search_opENS8_6detail16wrapped_functionINS0_4lessIvEEbEEEE10hipError_tPvRmT1_T2_T3_mmT4_T5_P12ihipStream_tbEUlRKdE_EESL_SP_SQ_mSR_SU_bEUlT_E_NS1_11comp_targetILNS1_3genE5ELNS1_11target_archE942ELNS1_3gpuE9ELNS1_3repE0EEENS1_30default_config_static_selectorELNS0_4arch9wavefront6targetE1EEEvSO_.kd
    .uniform_work_group_size: 1
    .uses_dynamic_stack: false
    .vgpr_count:     0
    .vgpr_spill_count: 0
    .wavefront_size: 64
  - .agpr_count:     0
    .args:
      - .offset:         0
        .size:           56
        .value_kind:     by_value
      - .offset:         56
        .size:           4
        .value_kind:     hidden_block_count_x
      - .offset:         60
        .size:           4
        .value_kind:     hidden_block_count_y
      - .offset:         64
        .size:           4
        .value_kind:     hidden_block_count_z
      - .offset:         68
        .size:           2
        .value_kind:     hidden_group_size_x
      - .offset:         70
        .size:           2
        .value_kind:     hidden_group_size_y
      - .offset:         72
        .size:           2
        .value_kind:     hidden_group_size_z
      - .offset:         74
        .size:           2
        .value_kind:     hidden_remainder_x
      - .offset:         76
        .size:           2
        .value_kind:     hidden_remainder_y
      - .offset:         78
        .size:           2
        .value_kind:     hidden_remainder_z
      - .offset:         96
        .size:           8
        .value_kind:     hidden_global_offset_x
      - .offset:         104
        .size:           8
        .value_kind:     hidden_global_offset_y
      - .offset:         112
        .size:           8
        .value_kind:     hidden_global_offset_z
      - .offset:         120
        .size:           2
        .value_kind:     hidden_grid_dims
    .group_segment_fixed_size: 0
    .kernarg_segment_align: 8
    .kernarg_segment_size: 312
    .language:       OpenCL C
    .language_version:
      - 2
      - 0
    .max_flat_workgroup_size: 64
    .name:           _ZN7rocprim17ROCPRIM_400000_NS6detail17trampoline_kernelINS0_14default_configENS1_27upper_bound_config_selectorIdlEEZNS1_14transform_implILb0ES3_S5_N6thrust23THRUST_200600_302600_NS17counting_iteratorIdNS8_11use_defaultESA_SA_EEPlZNS1_13binary_searchIS3_S5_PdSB_SC_NS1_21upper_bound_search_opENS8_6detail16wrapped_functionINS0_4lessIvEEbEEEE10hipError_tPvRmT1_T2_T3_mmT4_T5_P12ihipStream_tbEUlRKdE_EESL_SP_SQ_mSR_SU_bEUlT_E_NS1_11comp_targetILNS1_3genE4ELNS1_11target_archE910ELNS1_3gpuE8ELNS1_3repE0EEENS1_30default_config_static_selectorELNS0_4arch9wavefront6targetE1EEEvSO_
    .private_segment_fixed_size: 0
    .sgpr_count:     20
    .sgpr_spill_count: 0
    .symbol:         _ZN7rocprim17ROCPRIM_400000_NS6detail17trampoline_kernelINS0_14default_configENS1_27upper_bound_config_selectorIdlEEZNS1_14transform_implILb0ES3_S5_N6thrust23THRUST_200600_302600_NS17counting_iteratorIdNS8_11use_defaultESA_SA_EEPlZNS1_13binary_searchIS3_S5_PdSB_SC_NS1_21upper_bound_search_opENS8_6detail16wrapped_functionINS0_4lessIvEEbEEEE10hipError_tPvRmT1_T2_T3_mmT4_T5_P12ihipStream_tbEUlRKdE_EESL_SP_SQ_mSR_SU_bEUlT_E_NS1_11comp_targetILNS1_3genE4ELNS1_11target_archE910ELNS1_3gpuE8ELNS1_3repE0EEENS1_30default_config_static_selectorELNS0_4arch9wavefront6targetE1EEEvSO_.kd
    .uniform_work_group_size: 1
    .uses_dynamic_stack: false
    .vgpr_count:     16
    .vgpr_spill_count: 0
    .wavefront_size: 64
  - .agpr_count:     0
    .args:
      - .offset:         0
        .size:           56
        .value_kind:     by_value
    .group_segment_fixed_size: 0
    .kernarg_segment_align: 8
    .kernarg_segment_size: 56
    .language:       OpenCL C
    .language_version:
      - 2
      - 0
    .max_flat_workgroup_size: 256
    .name:           _ZN7rocprim17ROCPRIM_400000_NS6detail17trampoline_kernelINS0_14default_configENS1_27upper_bound_config_selectorIdlEEZNS1_14transform_implILb0ES3_S5_N6thrust23THRUST_200600_302600_NS17counting_iteratorIdNS8_11use_defaultESA_SA_EEPlZNS1_13binary_searchIS3_S5_PdSB_SC_NS1_21upper_bound_search_opENS8_6detail16wrapped_functionINS0_4lessIvEEbEEEE10hipError_tPvRmT1_T2_T3_mmT4_T5_P12ihipStream_tbEUlRKdE_EESL_SP_SQ_mSR_SU_bEUlT_E_NS1_11comp_targetILNS1_3genE3ELNS1_11target_archE908ELNS1_3gpuE7ELNS1_3repE0EEENS1_30default_config_static_selectorELNS0_4arch9wavefront6targetE1EEEvSO_
    .private_segment_fixed_size: 0
    .sgpr_count:     4
    .sgpr_spill_count: 0
    .symbol:         _ZN7rocprim17ROCPRIM_400000_NS6detail17trampoline_kernelINS0_14default_configENS1_27upper_bound_config_selectorIdlEEZNS1_14transform_implILb0ES3_S5_N6thrust23THRUST_200600_302600_NS17counting_iteratorIdNS8_11use_defaultESA_SA_EEPlZNS1_13binary_searchIS3_S5_PdSB_SC_NS1_21upper_bound_search_opENS8_6detail16wrapped_functionINS0_4lessIvEEbEEEE10hipError_tPvRmT1_T2_T3_mmT4_T5_P12ihipStream_tbEUlRKdE_EESL_SP_SQ_mSR_SU_bEUlT_E_NS1_11comp_targetILNS1_3genE3ELNS1_11target_archE908ELNS1_3gpuE7ELNS1_3repE0EEENS1_30default_config_static_selectorELNS0_4arch9wavefront6targetE1EEEvSO_.kd
    .uniform_work_group_size: 1
    .uses_dynamic_stack: false
    .vgpr_count:     0
    .vgpr_spill_count: 0
    .wavefront_size: 64
  - .agpr_count:     0
    .args:
      - .offset:         0
        .size:           56
        .value_kind:     by_value
    .group_segment_fixed_size: 0
    .kernarg_segment_align: 8
    .kernarg_segment_size: 56
    .language:       OpenCL C
    .language_version:
      - 2
      - 0
    .max_flat_workgroup_size: 256
    .name:           _ZN7rocprim17ROCPRIM_400000_NS6detail17trampoline_kernelINS0_14default_configENS1_27upper_bound_config_selectorIdlEEZNS1_14transform_implILb0ES3_S5_N6thrust23THRUST_200600_302600_NS17counting_iteratorIdNS8_11use_defaultESA_SA_EEPlZNS1_13binary_searchIS3_S5_PdSB_SC_NS1_21upper_bound_search_opENS8_6detail16wrapped_functionINS0_4lessIvEEbEEEE10hipError_tPvRmT1_T2_T3_mmT4_T5_P12ihipStream_tbEUlRKdE_EESL_SP_SQ_mSR_SU_bEUlT_E_NS1_11comp_targetILNS1_3genE2ELNS1_11target_archE906ELNS1_3gpuE6ELNS1_3repE0EEENS1_30default_config_static_selectorELNS0_4arch9wavefront6targetE1EEEvSO_
    .private_segment_fixed_size: 0
    .sgpr_count:     4
    .sgpr_spill_count: 0
    .symbol:         _ZN7rocprim17ROCPRIM_400000_NS6detail17trampoline_kernelINS0_14default_configENS1_27upper_bound_config_selectorIdlEEZNS1_14transform_implILb0ES3_S5_N6thrust23THRUST_200600_302600_NS17counting_iteratorIdNS8_11use_defaultESA_SA_EEPlZNS1_13binary_searchIS3_S5_PdSB_SC_NS1_21upper_bound_search_opENS8_6detail16wrapped_functionINS0_4lessIvEEbEEEE10hipError_tPvRmT1_T2_T3_mmT4_T5_P12ihipStream_tbEUlRKdE_EESL_SP_SQ_mSR_SU_bEUlT_E_NS1_11comp_targetILNS1_3genE2ELNS1_11target_archE906ELNS1_3gpuE6ELNS1_3repE0EEENS1_30default_config_static_selectorELNS0_4arch9wavefront6targetE1EEEvSO_.kd
    .uniform_work_group_size: 1
    .uses_dynamic_stack: false
    .vgpr_count:     0
    .vgpr_spill_count: 0
    .wavefront_size: 64
  - .agpr_count:     0
    .args:
      - .offset:         0
        .size:           56
        .value_kind:     by_value
    .group_segment_fixed_size: 0
    .kernarg_segment_align: 8
    .kernarg_segment_size: 56
    .language:       OpenCL C
    .language_version:
      - 2
      - 0
    .max_flat_workgroup_size: 128
    .name:           _ZN7rocprim17ROCPRIM_400000_NS6detail17trampoline_kernelINS0_14default_configENS1_27upper_bound_config_selectorIdlEEZNS1_14transform_implILb0ES3_S5_N6thrust23THRUST_200600_302600_NS17counting_iteratorIdNS8_11use_defaultESA_SA_EEPlZNS1_13binary_searchIS3_S5_PdSB_SC_NS1_21upper_bound_search_opENS8_6detail16wrapped_functionINS0_4lessIvEEbEEEE10hipError_tPvRmT1_T2_T3_mmT4_T5_P12ihipStream_tbEUlRKdE_EESL_SP_SQ_mSR_SU_bEUlT_E_NS1_11comp_targetILNS1_3genE10ELNS1_11target_archE1201ELNS1_3gpuE5ELNS1_3repE0EEENS1_30default_config_static_selectorELNS0_4arch9wavefront6targetE1EEEvSO_
    .private_segment_fixed_size: 0
    .sgpr_count:     4
    .sgpr_spill_count: 0
    .symbol:         _ZN7rocprim17ROCPRIM_400000_NS6detail17trampoline_kernelINS0_14default_configENS1_27upper_bound_config_selectorIdlEEZNS1_14transform_implILb0ES3_S5_N6thrust23THRUST_200600_302600_NS17counting_iteratorIdNS8_11use_defaultESA_SA_EEPlZNS1_13binary_searchIS3_S5_PdSB_SC_NS1_21upper_bound_search_opENS8_6detail16wrapped_functionINS0_4lessIvEEbEEEE10hipError_tPvRmT1_T2_T3_mmT4_T5_P12ihipStream_tbEUlRKdE_EESL_SP_SQ_mSR_SU_bEUlT_E_NS1_11comp_targetILNS1_3genE10ELNS1_11target_archE1201ELNS1_3gpuE5ELNS1_3repE0EEENS1_30default_config_static_selectorELNS0_4arch9wavefront6targetE1EEEvSO_.kd
    .uniform_work_group_size: 1
    .uses_dynamic_stack: false
    .vgpr_count:     0
    .vgpr_spill_count: 0
    .wavefront_size: 64
  - .agpr_count:     0
    .args:
      - .offset:         0
        .size:           56
        .value_kind:     by_value
    .group_segment_fixed_size: 0
    .kernarg_segment_align: 8
    .kernarg_segment_size: 56
    .language:       OpenCL C
    .language_version:
      - 2
      - 0
    .max_flat_workgroup_size: 128
    .name:           _ZN7rocprim17ROCPRIM_400000_NS6detail17trampoline_kernelINS0_14default_configENS1_27upper_bound_config_selectorIdlEEZNS1_14transform_implILb0ES3_S5_N6thrust23THRUST_200600_302600_NS17counting_iteratorIdNS8_11use_defaultESA_SA_EEPlZNS1_13binary_searchIS3_S5_PdSB_SC_NS1_21upper_bound_search_opENS8_6detail16wrapped_functionINS0_4lessIvEEbEEEE10hipError_tPvRmT1_T2_T3_mmT4_T5_P12ihipStream_tbEUlRKdE_EESL_SP_SQ_mSR_SU_bEUlT_E_NS1_11comp_targetILNS1_3genE10ELNS1_11target_archE1200ELNS1_3gpuE4ELNS1_3repE0EEENS1_30default_config_static_selectorELNS0_4arch9wavefront6targetE1EEEvSO_
    .private_segment_fixed_size: 0
    .sgpr_count:     4
    .sgpr_spill_count: 0
    .symbol:         _ZN7rocprim17ROCPRIM_400000_NS6detail17trampoline_kernelINS0_14default_configENS1_27upper_bound_config_selectorIdlEEZNS1_14transform_implILb0ES3_S5_N6thrust23THRUST_200600_302600_NS17counting_iteratorIdNS8_11use_defaultESA_SA_EEPlZNS1_13binary_searchIS3_S5_PdSB_SC_NS1_21upper_bound_search_opENS8_6detail16wrapped_functionINS0_4lessIvEEbEEEE10hipError_tPvRmT1_T2_T3_mmT4_T5_P12ihipStream_tbEUlRKdE_EESL_SP_SQ_mSR_SU_bEUlT_E_NS1_11comp_targetILNS1_3genE10ELNS1_11target_archE1200ELNS1_3gpuE4ELNS1_3repE0EEENS1_30default_config_static_selectorELNS0_4arch9wavefront6targetE1EEEvSO_.kd
    .uniform_work_group_size: 1
    .uses_dynamic_stack: false
    .vgpr_count:     0
    .vgpr_spill_count: 0
    .wavefront_size: 64
  - .agpr_count:     0
    .args:
      - .offset:         0
        .size:           56
        .value_kind:     by_value
    .group_segment_fixed_size: 0
    .kernarg_segment_align: 8
    .kernarg_segment_size: 56
    .language:       OpenCL C
    .language_version:
      - 2
      - 0
    .max_flat_workgroup_size: 256
    .name:           _ZN7rocprim17ROCPRIM_400000_NS6detail17trampoline_kernelINS0_14default_configENS1_27upper_bound_config_selectorIdlEEZNS1_14transform_implILb0ES3_S5_N6thrust23THRUST_200600_302600_NS17counting_iteratorIdNS8_11use_defaultESA_SA_EEPlZNS1_13binary_searchIS3_S5_PdSB_SC_NS1_21upper_bound_search_opENS8_6detail16wrapped_functionINS0_4lessIvEEbEEEE10hipError_tPvRmT1_T2_T3_mmT4_T5_P12ihipStream_tbEUlRKdE_EESL_SP_SQ_mSR_SU_bEUlT_E_NS1_11comp_targetILNS1_3genE9ELNS1_11target_archE1100ELNS1_3gpuE3ELNS1_3repE0EEENS1_30default_config_static_selectorELNS0_4arch9wavefront6targetE1EEEvSO_
    .private_segment_fixed_size: 0
    .sgpr_count:     4
    .sgpr_spill_count: 0
    .symbol:         _ZN7rocprim17ROCPRIM_400000_NS6detail17trampoline_kernelINS0_14default_configENS1_27upper_bound_config_selectorIdlEEZNS1_14transform_implILb0ES3_S5_N6thrust23THRUST_200600_302600_NS17counting_iteratorIdNS8_11use_defaultESA_SA_EEPlZNS1_13binary_searchIS3_S5_PdSB_SC_NS1_21upper_bound_search_opENS8_6detail16wrapped_functionINS0_4lessIvEEbEEEE10hipError_tPvRmT1_T2_T3_mmT4_T5_P12ihipStream_tbEUlRKdE_EESL_SP_SQ_mSR_SU_bEUlT_E_NS1_11comp_targetILNS1_3genE9ELNS1_11target_archE1100ELNS1_3gpuE3ELNS1_3repE0EEENS1_30default_config_static_selectorELNS0_4arch9wavefront6targetE1EEEvSO_.kd
    .uniform_work_group_size: 1
    .uses_dynamic_stack: false
    .vgpr_count:     0
    .vgpr_spill_count: 0
    .wavefront_size: 64
  - .agpr_count:     0
    .args:
      - .offset:         0
        .size:           56
        .value_kind:     by_value
    .group_segment_fixed_size: 0
    .kernarg_segment_align: 8
    .kernarg_segment_size: 56
    .language:       OpenCL C
    .language_version:
      - 2
      - 0
    .max_flat_workgroup_size: 256
    .name:           _ZN7rocprim17ROCPRIM_400000_NS6detail17trampoline_kernelINS0_14default_configENS1_27upper_bound_config_selectorIdlEEZNS1_14transform_implILb0ES3_S5_N6thrust23THRUST_200600_302600_NS17counting_iteratorIdNS8_11use_defaultESA_SA_EEPlZNS1_13binary_searchIS3_S5_PdSB_SC_NS1_21upper_bound_search_opENS8_6detail16wrapped_functionINS0_4lessIvEEbEEEE10hipError_tPvRmT1_T2_T3_mmT4_T5_P12ihipStream_tbEUlRKdE_EESL_SP_SQ_mSR_SU_bEUlT_E_NS1_11comp_targetILNS1_3genE8ELNS1_11target_archE1030ELNS1_3gpuE2ELNS1_3repE0EEENS1_30default_config_static_selectorELNS0_4arch9wavefront6targetE1EEEvSO_
    .private_segment_fixed_size: 0
    .sgpr_count:     4
    .sgpr_spill_count: 0
    .symbol:         _ZN7rocprim17ROCPRIM_400000_NS6detail17trampoline_kernelINS0_14default_configENS1_27upper_bound_config_selectorIdlEEZNS1_14transform_implILb0ES3_S5_N6thrust23THRUST_200600_302600_NS17counting_iteratorIdNS8_11use_defaultESA_SA_EEPlZNS1_13binary_searchIS3_S5_PdSB_SC_NS1_21upper_bound_search_opENS8_6detail16wrapped_functionINS0_4lessIvEEbEEEE10hipError_tPvRmT1_T2_T3_mmT4_T5_P12ihipStream_tbEUlRKdE_EESL_SP_SQ_mSR_SU_bEUlT_E_NS1_11comp_targetILNS1_3genE8ELNS1_11target_archE1030ELNS1_3gpuE2ELNS1_3repE0EEENS1_30default_config_static_selectorELNS0_4arch9wavefront6targetE1EEEvSO_.kd
    .uniform_work_group_size: 1
    .uses_dynamic_stack: false
    .vgpr_count:     0
    .vgpr_spill_count: 0
    .wavefront_size: 64
  - .agpr_count:     0
    .args:
      - .offset:         0
        .size:           8
        .value_kind:     by_value
      - .address_space:  global
        .offset:         8
        .size:           8
        .value_kind:     global_buffer
      - .address_space:  global
        .offset:         16
        .size:           8
        .value_kind:     global_buffer
    .group_segment_fixed_size: 0
    .kernarg_segment_align: 8
    .kernarg_segment_size: 24
    .language:       OpenCL C
    .language_version:
      - 2
      - 0
    .max_flat_workgroup_size: 256
    .name:           _Z18upper_bound_kernelIfEvmPT_Pl
    .private_segment_fixed_size: 0
    .sgpr_count:     24
    .sgpr_spill_count: 0
    .symbol:         _Z18upper_bound_kernelIfEvmPT_Pl.kd
    .uniform_work_group_size: 1
    .uses_dynamic_stack: false
    .vgpr_count:     6
    .vgpr_spill_count: 0
    .wavefront_size: 64
  - .agpr_count:     0
    .args:
      - .offset:         0
        .size:           56
        .value_kind:     by_value
    .group_segment_fixed_size: 0
    .kernarg_segment_align: 8
    .kernarg_segment_size: 56
    .language:       OpenCL C
    .language_version:
      - 2
      - 0
    .max_flat_workgroup_size: 256
    .name:           _ZN7rocprim17ROCPRIM_400000_NS6detail17trampoline_kernelINS0_14default_configENS1_27upper_bound_config_selectorIflEEZNS1_14transform_implILb0ES3_S5_N6thrust23THRUST_200600_302600_NS17counting_iteratorIfNS8_11use_defaultESA_SA_EEPlZNS1_13binary_searchIS3_S5_PfSB_SC_NS1_21upper_bound_search_opENS8_6detail16wrapped_functionINS0_4lessIvEEbEEEE10hipError_tPvRmT1_T2_T3_mmT4_T5_P12ihipStream_tbEUlRKfE_EESL_SP_SQ_mSR_SU_bEUlT_E_NS1_11comp_targetILNS1_3genE0ELNS1_11target_archE4294967295ELNS1_3gpuE0ELNS1_3repE0EEENS1_30default_config_static_selectorELNS0_4arch9wavefront6targetE1EEEvSO_
    .private_segment_fixed_size: 0
    .sgpr_count:     4
    .sgpr_spill_count: 0
    .symbol:         _ZN7rocprim17ROCPRIM_400000_NS6detail17trampoline_kernelINS0_14default_configENS1_27upper_bound_config_selectorIflEEZNS1_14transform_implILb0ES3_S5_N6thrust23THRUST_200600_302600_NS17counting_iteratorIfNS8_11use_defaultESA_SA_EEPlZNS1_13binary_searchIS3_S5_PfSB_SC_NS1_21upper_bound_search_opENS8_6detail16wrapped_functionINS0_4lessIvEEbEEEE10hipError_tPvRmT1_T2_T3_mmT4_T5_P12ihipStream_tbEUlRKfE_EESL_SP_SQ_mSR_SU_bEUlT_E_NS1_11comp_targetILNS1_3genE0ELNS1_11target_archE4294967295ELNS1_3gpuE0ELNS1_3repE0EEENS1_30default_config_static_selectorELNS0_4arch9wavefront6targetE1EEEvSO_.kd
    .uniform_work_group_size: 1
    .uses_dynamic_stack: false
    .vgpr_count:     0
    .vgpr_spill_count: 0
    .wavefront_size: 64
  - .agpr_count:     0
    .args:
      - .offset:         0
        .size:           56
        .value_kind:     by_value
    .group_segment_fixed_size: 0
    .kernarg_segment_align: 8
    .kernarg_segment_size: 56
    .language:       OpenCL C
    .language_version:
      - 2
      - 0
    .max_flat_workgroup_size: 256
    .name:           _ZN7rocprim17ROCPRIM_400000_NS6detail17trampoline_kernelINS0_14default_configENS1_27upper_bound_config_selectorIflEEZNS1_14transform_implILb0ES3_S5_N6thrust23THRUST_200600_302600_NS17counting_iteratorIfNS8_11use_defaultESA_SA_EEPlZNS1_13binary_searchIS3_S5_PfSB_SC_NS1_21upper_bound_search_opENS8_6detail16wrapped_functionINS0_4lessIvEEbEEEE10hipError_tPvRmT1_T2_T3_mmT4_T5_P12ihipStream_tbEUlRKfE_EESL_SP_SQ_mSR_SU_bEUlT_E_NS1_11comp_targetILNS1_3genE5ELNS1_11target_archE942ELNS1_3gpuE9ELNS1_3repE0EEENS1_30default_config_static_selectorELNS0_4arch9wavefront6targetE1EEEvSO_
    .private_segment_fixed_size: 0
    .sgpr_count:     4
    .sgpr_spill_count: 0
    .symbol:         _ZN7rocprim17ROCPRIM_400000_NS6detail17trampoline_kernelINS0_14default_configENS1_27upper_bound_config_selectorIflEEZNS1_14transform_implILb0ES3_S5_N6thrust23THRUST_200600_302600_NS17counting_iteratorIfNS8_11use_defaultESA_SA_EEPlZNS1_13binary_searchIS3_S5_PfSB_SC_NS1_21upper_bound_search_opENS8_6detail16wrapped_functionINS0_4lessIvEEbEEEE10hipError_tPvRmT1_T2_T3_mmT4_T5_P12ihipStream_tbEUlRKfE_EESL_SP_SQ_mSR_SU_bEUlT_E_NS1_11comp_targetILNS1_3genE5ELNS1_11target_archE942ELNS1_3gpuE9ELNS1_3repE0EEENS1_30default_config_static_selectorELNS0_4arch9wavefront6targetE1EEEvSO_.kd
    .uniform_work_group_size: 1
    .uses_dynamic_stack: false
    .vgpr_count:     0
    .vgpr_spill_count: 0
    .wavefront_size: 64
  - .agpr_count:     0
    .args:
      - .offset:         0
        .size:           56
        .value_kind:     by_value
      - .offset:         56
        .size:           4
        .value_kind:     hidden_block_count_x
      - .offset:         60
        .size:           4
        .value_kind:     hidden_block_count_y
      - .offset:         64
        .size:           4
        .value_kind:     hidden_block_count_z
      - .offset:         68
        .size:           2
        .value_kind:     hidden_group_size_x
      - .offset:         70
        .size:           2
        .value_kind:     hidden_group_size_y
      - .offset:         72
        .size:           2
        .value_kind:     hidden_group_size_z
      - .offset:         74
        .size:           2
        .value_kind:     hidden_remainder_x
      - .offset:         76
        .size:           2
        .value_kind:     hidden_remainder_y
      - .offset:         78
        .size:           2
        .value_kind:     hidden_remainder_z
      - .offset:         96
        .size:           8
        .value_kind:     hidden_global_offset_x
      - .offset:         104
        .size:           8
        .value_kind:     hidden_global_offset_y
      - .offset:         112
        .size:           8
        .value_kind:     hidden_global_offset_z
      - .offset:         120
        .size:           2
        .value_kind:     hidden_grid_dims
    .group_segment_fixed_size: 0
    .kernarg_segment_align: 8
    .kernarg_segment_size: 312
    .language:       OpenCL C
    .language_version:
      - 2
      - 0
    .max_flat_workgroup_size: 256
    .name:           _ZN7rocprim17ROCPRIM_400000_NS6detail17trampoline_kernelINS0_14default_configENS1_27upper_bound_config_selectorIflEEZNS1_14transform_implILb0ES3_S5_N6thrust23THRUST_200600_302600_NS17counting_iteratorIfNS8_11use_defaultESA_SA_EEPlZNS1_13binary_searchIS3_S5_PfSB_SC_NS1_21upper_bound_search_opENS8_6detail16wrapped_functionINS0_4lessIvEEbEEEE10hipError_tPvRmT1_T2_T3_mmT4_T5_P12ihipStream_tbEUlRKfE_EESL_SP_SQ_mSR_SU_bEUlT_E_NS1_11comp_targetILNS1_3genE4ELNS1_11target_archE910ELNS1_3gpuE8ELNS1_3repE0EEENS1_30default_config_static_selectorELNS0_4arch9wavefront6targetE1EEEvSO_
    .private_segment_fixed_size: 0
    .sgpr_count:     20
    .sgpr_spill_count: 0
    .symbol:         _ZN7rocprim17ROCPRIM_400000_NS6detail17trampoline_kernelINS0_14default_configENS1_27upper_bound_config_selectorIflEEZNS1_14transform_implILb0ES3_S5_N6thrust23THRUST_200600_302600_NS17counting_iteratorIfNS8_11use_defaultESA_SA_EEPlZNS1_13binary_searchIS3_S5_PfSB_SC_NS1_21upper_bound_search_opENS8_6detail16wrapped_functionINS0_4lessIvEEbEEEE10hipError_tPvRmT1_T2_T3_mmT4_T5_P12ihipStream_tbEUlRKfE_EESL_SP_SQ_mSR_SU_bEUlT_E_NS1_11comp_targetILNS1_3genE4ELNS1_11target_archE910ELNS1_3gpuE8ELNS1_3repE0EEENS1_30default_config_static_selectorELNS0_4arch9wavefront6targetE1EEEvSO_.kd
    .uniform_work_group_size: 1
    .uses_dynamic_stack: false
    .vgpr_count:     13
    .vgpr_spill_count: 0
    .wavefront_size: 64
  - .agpr_count:     0
    .args:
      - .offset:         0
        .size:           56
        .value_kind:     by_value
    .group_segment_fixed_size: 0
    .kernarg_segment_align: 8
    .kernarg_segment_size: 56
    .language:       OpenCL C
    .language_version:
      - 2
      - 0
    .max_flat_workgroup_size: 256
    .name:           _ZN7rocprim17ROCPRIM_400000_NS6detail17trampoline_kernelINS0_14default_configENS1_27upper_bound_config_selectorIflEEZNS1_14transform_implILb0ES3_S5_N6thrust23THRUST_200600_302600_NS17counting_iteratorIfNS8_11use_defaultESA_SA_EEPlZNS1_13binary_searchIS3_S5_PfSB_SC_NS1_21upper_bound_search_opENS8_6detail16wrapped_functionINS0_4lessIvEEbEEEE10hipError_tPvRmT1_T2_T3_mmT4_T5_P12ihipStream_tbEUlRKfE_EESL_SP_SQ_mSR_SU_bEUlT_E_NS1_11comp_targetILNS1_3genE3ELNS1_11target_archE908ELNS1_3gpuE7ELNS1_3repE0EEENS1_30default_config_static_selectorELNS0_4arch9wavefront6targetE1EEEvSO_
    .private_segment_fixed_size: 0
    .sgpr_count:     4
    .sgpr_spill_count: 0
    .symbol:         _ZN7rocprim17ROCPRIM_400000_NS6detail17trampoline_kernelINS0_14default_configENS1_27upper_bound_config_selectorIflEEZNS1_14transform_implILb0ES3_S5_N6thrust23THRUST_200600_302600_NS17counting_iteratorIfNS8_11use_defaultESA_SA_EEPlZNS1_13binary_searchIS3_S5_PfSB_SC_NS1_21upper_bound_search_opENS8_6detail16wrapped_functionINS0_4lessIvEEbEEEE10hipError_tPvRmT1_T2_T3_mmT4_T5_P12ihipStream_tbEUlRKfE_EESL_SP_SQ_mSR_SU_bEUlT_E_NS1_11comp_targetILNS1_3genE3ELNS1_11target_archE908ELNS1_3gpuE7ELNS1_3repE0EEENS1_30default_config_static_selectorELNS0_4arch9wavefront6targetE1EEEvSO_.kd
    .uniform_work_group_size: 1
    .uses_dynamic_stack: false
    .vgpr_count:     0
    .vgpr_spill_count: 0
    .wavefront_size: 64
  - .agpr_count:     0
    .args:
      - .offset:         0
        .size:           56
        .value_kind:     by_value
    .group_segment_fixed_size: 0
    .kernarg_segment_align: 8
    .kernarg_segment_size: 56
    .language:       OpenCL C
    .language_version:
      - 2
      - 0
    .max_flat_workgroup_size: 256
    .name:           _ZN7rocprim17ROCPRIM_400000_NS6detail17trampoline_kernelINS0_14default_configENS1_27upper_bound_config_selectorIflEEZNS1_14transform_implILb0ES3_S5_N6thrust23THRUST_200600_302600_NS17counting_iteratorIfNS8_11use_defaultESA_SA_EEPlZNS1_13binary_searchIS3_S5_PfSB_SC_NS1_21upper_bound_search_opENS8_6detail16wrapped_functionINS0_4lessIvEEbEEEE10hipError_tPvRmT1_T2_T3_mmT4_T5_P12ihipStream_tbEUlRKfE_EESL_SP_SQ_mSR_SU_bEUlT_E_NS1_11comp_targetILNS1_3genE2ELNS1_11target_archE906ELNS1_3gpuE6ELNS1_3repE0EEENS1_30default_config_static_selectorELNS0_4arch9wavefront6targetE1EEEvSO_
    .private_segment_fixed_size: 0
    .sgpr_count:     4
    .sgpr_spill_count: 0
    .symbol:         _ZN7rocprim17ROCPRIM_400000_NS6detail17trampoline_kernelINS0_14default_configENS1_27upper_bound_config_selectorIflEEZNS1_14transform_implILb0ES3_S5_N6thrust23THRUST_200600_302600_NS17counting_iteratorIfNS8_11use_defaultESA_SA_EEPlZNS1_13binary_searchIS3_S5_PfSB_SC_NS1_21upper_bound_search_opENS8_6detail16wrapped_functionINS0_4lessIvEEbEEEE10hipError_tPvRmT1_T2_T3_mmT4_T5_P12ihipStream_tbEUlRKfE_EESL_SP_SQ_mSR_SU_bEUlT_E_NS1_11comp_targetILNS1_3genE2ELNS1_11target_archE906ELNS1_3gpuE6ELNS1_3repE0EEENS1_30default_config_static_selectorELNS0_4arch9wavefront6targetE1EEEvSO_.kd
    .uniform_work_group_size: 1
    .uses_dynamic_stack: false
    .vgpr_count:     0
    .vgpr_spill_count: 0
    .wavefront_size: 64
  - .agpr_count:     0
    .args:
      - .offset:         0
        .size:           56
        .value_kind:     by_value
    .group_segment_fixed_size: 0
    .kernarg_segment_align: 8
    .kernarg_segment_size: 56
    .language:       OpenCL C
    .language_version:
      - 2
      - 0
    .max_flat_workgroup_size: 128
    .name:           _ZN7rocprim17ROCPRIM_400000_NS6detail17trampoline_kernelINS0_14default_configENS1_27upper_bound_config_selectorIflEEZNS1_14transform_implILb0ES3_S5_N6thrust23THRUST_200600_302600_NS17counting_iteratorIfNS8_11use_defaultESA_SA_EEPlZNS1_13binary_searchIS3_S5_PfSB_SC_NS1_21upper_bound_search_opENS8_6detail16wrapped_functionINS0_4lessIvEEbEEEE10hipError_tPvRmT1_T2_T3_mmT4_T5_P12ihipStream_tbEUlRKfE_EESL_SP_SQ_mSR_SU_bEUlT_E_NS1_11comp_targetILNS1_3genE10ELNS1_11target_archE1201ELNS1_3gpuE5ELNS1_3repE0EEENS1_30default_config_static_selectorELNS0_4arch9wavefront6targetE1EEEvSO_
    .private_segment_fixed_size: 0
    .sgpr_count:     4
    .sgpr_spill_count: 0
    .symbol:         _ZN7rocprim17ROCPRIM_400000_NS6detail17trampoline_kernelINS0_14default_configENS1_27upper_bound_config_selectorIflEEZNS1_14transform_implILb0ES3_S5_N6thrust23THRUST_200600_302600_NS17counting_iteratorIfNS8_11use_defaultESA_SA_EEPlZNS1_13binary_searchIS3_S5_PfSB_SC_NS1_21upper_bound_search_opENS8_6detail16wrapped_functionINS0_4lessIvEEbEEEE10hipError_tPvRmT1_T2_T3_mmT4_T5_P12ihipStream_tbEUlRKfE_EESL_SP_SQ_mSR_SU_bEUlT_E_NS1_11comp_targetILNS1_3genE10ELNS1_11target_archE1201ELNS1_3gpuE5ELNS1_3repE0EEENS1_30default_config_static_selectorELNS0_4arch9wavefront6targetE1EEEvSO_.kd
    .uniform_work_group_size: 1
    .uses_dynamic_stack: false
    .vgpr_count:     0
    .vgpr_spill_count: 0
    .wavefront_size: 64
  - .agpr_count:     0
    .args:
      - .offset:         0
        .size:           56
        .value_kind:     by_value
    .group_segment_fixed_size: 0
    .kernarg_segment_align: 8
    .kernarg_segment_size: 56
    .language:       OpenCL C
    .language_version:
      - 2
      - 0
    .max_flat_workgroup_size: 128
    .name:           _ZN7rocprim17ROCPRIM_400000_NS6detail17trampoline_kernelINS0_14default_configENS1_27upper_bound_config_selectorIflEEZNS1_14transform_implILb0ES3_S5_N6thrust23THRUST_200600_302600_NS17counting_iteratorIfNS8_11use_defaultESA_SA_EEPlZNS1_13binary_searchIS3_S5_PfSB_SC_NS1_21upper_bound_search_opENS8_6detail16wrapped_functionINS0_4lessIvEEbEEEE10hipError_tPvRmT1_T2_T3_mmT4_T5_P12ihipStream_tbEUlRKfE_EESL_SP_SQ_mSR_SU_bEUlT_E_NS1_11comp_targetILNS1_3genE10ELNS1_11target_archE1200ELNS1_3gpuE4ELNS1_3repE0EEENS1_30default_config_static_selectorELNS0_4arch9wavefront6targetE1EEEvSO_
    .private_segment_fixed_size: 0
    .sgpr_count:     4
    .sgpr_spill_count: 0
    .symbol:         _ZN7rocprim17ROCPRIM_400000_NS6detail17trampoline_kernelINS0_14default_configENS1_27upper_bound_config_selectorIflEEZNS1_14transform_implILb0ES3_S5_N6thrust23THRUST_200600_302600_NS17counting_iteratorIfNS8_11use_defaultESA_SA_EEPlZNS1_13binary_searchIS3_S5_PfSB_SC_NS1_21upper_bound_search_opENS8_6detail16wrapped_functionINS0_4lessIvEEbEEEE10hipError_tPvRmT1_T2_T3_mmT4_T5_P12ihipStream_tbEUlRKfE_EESL_SP_SQ_mSR_SU_bEUlT_E_NS1_11comp_targetILNS1_3genE10ELNS1_11target_archE1200ELNS1_3gpuE4ELNS1_3repE0EEENS1_30default_config_static_selectorELNS0_4arch9wavefront6targetE1EEEvSO_.kd
    .uniform_work_group_size: 1
    .uses_dynamic_stack: false
    .vgpr_count:     0
    .vgpr_spill_count: 0
    .wavefront_size: 64
  - .agpr_count:     0
    .args:
      - .offset:         0
        .size:           56
        .value_kind:     by_value
    .group_segment_fixed_size: 0
    .kernarg_segment_align: 8
    .kernarg_segment_size: 56
    .language:       OpenCL C
    .language_version:
      - 2
      - 0
    .max_flat_workgroup_size: 256
    .name:           _ZN7rocprim17ROCPRIM_400000_NS6detail17trampoline_kernelINS0_14default_configENS1_27upper_bound_config_selectorIflEEZNS1_14transform_implILb0ES3_S5_N6thrust23THRUST_200600_302600_NS17counting_iteratorIfNS8_11use_defaultESA_SA_EEPlZNS1_13binary_searchIS3_S5_PfSB_SC_NS1_21upper_bound_search_opENS8_6detail16wrapped_functionINS0_4lessIvEEbEEEE10hipError_tPvRmT1_T2_T3_mmT4_T5_P12ihipStream_tbEUlRKfE_EESL_SP_SQ_mSR_SU_bEUlT_E_NS1_11comp_targetILNS1_3genE9ELNS1_11target_archE1100ELNS1_3gpuE3ELNS1_3repE0EEENS1_30default_config_static_selectorELNS0_4arch9wavefront6targetE1EEEvSO_
    .private_segment_fixed_size: 0
    .sgpr_count:     4
    .sgpr_spill_count: 0
    .symbol:         _ZN7rocprim17ROCPRIM_400000_NS6detail17trampoline_kernelINS0_14default_configENS1_27upper_bound_config_selectorIflEEZNS1_14transform_implILb0ES3_S5_N6thrust23THRUST_200600_302600_NS17counting_iteratorIfNS8_11use_defaultESA_SA_EEPlZNS1_13binary_searchIS3_S5_PfSB_SC_NS1_21upper_bound_search_opENS8_6detail16wrapped_functionINS0_4lessIvEEbEEEE10hipError_tPvRmT1_T2_T3_mmT4_T5_P12ihipStream_tbEUlRKfE_EESL_SP_SQ_mSR_SU_bEUlT_E_NS1_11comp_targetILNS1_3genE9ELNS1_11target_archE1100ELNS1_3gpuE3ELNS1_3repE0EEENS1_30default_config_static_selectorELNS0_4arch9wavefront6targetE1EEEvSO_.kd
    .uniform_work_group_size: 1
    .uses_dynamic_stack: false
    .vgpr_count:     0
    .vgpr_spill_count: 0
    .wavefront_size: 64
  - .agpr_count:     0
    .args:
      - .offset:         0
        .size:           56
        .value_kind:     by_value
    .group_segment_fixed_size: 0
    .kernarg_segment_align: 8
    .kernarg_segment_size: 56
    .language:       OpenCL C
    .language_version:
      - 2
      - 0
    .max_flat_workgroup_size: 256
    .name:           _ZN7rocprim17ROCPRIM_400000_NS6detail17trampoline_kernelINS0_14default_configENS1_27upper_bound_config_selectorIflEEZNS1_14transform_implILb0ES3_S5_N6thrust23THRUST_200600_302600_NS17counting_iteratorIfNS8_11use_defaultESA_SA_EEPlZNS1_13binary_searchIS3_S5_PfSB_SC_NS1_21upper_bound_search_opENS8_6detail16wrapped_functionINS0_4lessIvEEbEEEE10hipError_tPvRmT1_T2_T3_mmT4_T5_P12ihipStream_tbEUlRKfE_EESL_SP_SQ_mSR_SU_bEUlT_E_NS1_11comp_targetILNS1_3genE8ELNS1_11target_archE1030ELNS1_3gpuE2ELNS1_3repE0EEENS1_30default_config_static_selectorELNS0_4arch9wavefront6targetE1EEEvSO_
    .private_segment_fixed_size: 0
    .sgpr_count:     4
    .sgpr_spill_count: 0
    .symbol:         _ZN7rocprim17ROCPRIM_400000_NS6detail17trampoline_kernelINS0_14default_configENS1_27upper_bound_config_selectorIflEEZNS1_14transform_implILb0ES3_S5_N6thrust23THRUST_200600_302600_NS17counting_iteratorIfNS8_11use_defaultESA_SA_EEPlZNS1_13binary_searchIS3_S5_PfSB_SC_NS1_21upper_bound_search_opENS8_6detail16wrapped_functionINS0_4lessIvEEbEEEE10hipError_tPvRmT1_T2_T3_mmT4_T5_P12ihipStream_tbEUlRKfE_EESL_SP_SQ_mSR_SU_bEUlT_E_NS1_11comp_targetILNS1_3genE8ELNS1_11target_archE1030ELNS1_3gpuE2ELNS1_3repE0EEENS1_30default_config_static_selectorELNS0_4arch9wavefront6targetE1EEEvSO_.kd
    .uniform_work_group_size: 1
    .uses_dynamic_stack: false
    .vgpr_count:     0
    .vgpr_spill_count: 0
    .wavefront_size: 64
  - .agpr_count:     0
    .args:
      - .offset:         0
        .size:           8
        .value_kind:     by_value
      - .address_space:  global
        .offset:         8
        .size:           8
        .value_kind:     global_buffer
      - .address_space:  global
        .offset:         16
        .size:           8
        .value_kind:     global_buffer
    .group_segment_fixed_size: 0
    .kernarg_segment_align: 8
    .kernarg_segment_size: 24
    .language:       OpenCL C
    .language_version:
      - 2
      - 0
    .max_flat_workgroup_size: 256
    .name:           _Z18upper_bound_kernelIyEvmPT_Pl
    .private_segment_fixed_size: 0
    .sgpr_count:     24
    .sgpr_spill_count: 0
    .symbol:         _Z18upper_bound_kernelIyEvmPT_Pl.kd
    .uniform_work_group_size: 1
    .uses_dynamic_stack: false
    .vgpr_count:     4
    .vgpr_spill_count: 0
    .wavefront_size: 64
  - .agpr_count:     0
    .args:
      - .offset:         0
        .size:           56
        .value_kind:     by_value
    .group_segment_fixed_size: 0
    .kernarg_segment_align: 8
    .kernarg_segment_size: 56
    .language:       OpenCL C
    .language_version:
      - 2
      - 0
    .max_flat_workgroup_size: 128
    .name:           _ZN7rocprim17ROCPRIM_400000_NS6detail17trampoline_kernelINS0_14default_configENS1_27upper_bound_config_selectorIylEEZNS1_14transform_implILb0ES3_S5_N6thrust23THRUST_200600_302600_NS17counting_iteratorIyNS8_11use_defaultESA_SA_EEPlZNS1_13binary_searchIS3_S5_PySB_SC_NS1_21upper_bound_search_opENS8_6detail16wrapped_functionINS0_4lessIvEEbEEEE10hipError_tPvRmT1_T2_T3_mmT4_T5_P12ihipStream_tbEUlRKyE_EESL_SP_SQ_mSR_SU_bEUlT_E_NS1_11comp_targetILNS1_3genE0ELNS1_11target_archE4294967295ELNS1_3gpuE0ELNS1_3repE0EEENS1_30default_config_static_selectorELNS0_4arch9wavefront6targetE1EEEvSO_
    .private_segment_fixed_size: 0
    .sgpr_count:     4
    .sgpr_spill_count: 0
    .symbol:         _ZN7rocprim17ROCPRIM_400000_NS6detail17trampoline_kernelINS0_14default_configENS1_27upper_bound_config_selectorIylEEZNS1_14transform_implILb0ES3_S5_N6thrust23THRUST_200600_302600_NS17counting_iteratorIyNS8_11use_defaultESA_SA_EEPlZNS1_13binary_searchIS3_S5_PySB_SC_NS1_21upper_bound_search_opENS8_6detail16wrapped_functionINS0_4lessIvEEbEEEE10hipError_tPvRmT1_T2_T3_mmT4_T5_P12ihipStream_tbEUlRKyE_EESL_SP_SQ_mSR_SU_bEUlT_E_NS1_11comp_targetILNS1_3genE0ELNS1_11target_archE4294967295ELNS1_3gpuE0ELNS1_3repE0EEENS1_30default_config_static_selectorELNS0_4arch9wavefront6targetE1EEEvSO_.kd
    .uniform_work_group_size: 1
    .uses_dynamic_stack: false
    .vgpr_count:     0
    .vgpr_spill_count: 0
    .wavefront_size: 64
  - .agpr_count:     0
    .args:
      - .offset:         0
        .size:           56
        .value_kind:     by_value
    .group_segment_fixed_size: 0
    .kernarg_segment_align: 8
    .kernarg_segment_size: 56
    .language:       OpenCL C
    .language_version:
      - 2
      - 0
    .max_flat_workgroup_size: 64
    .name:           _ZN7rocprim17ROCPRIM_400000_NS6detail17trampoline_kernelINS0_14default_configENS1_27upper_bound_config_selectorIylEEZNS1_14transform_implILb0ES3_S5_N6thrust23THRUST_200600_302600_NS17counting_iteratorIyNS8_11use_defaultESA_SA_EEPlZNS1_13binary_searchIS3_S5_PySB_SC_NS1_21upper_bound_search_opENS8_6detail16wrapped_functionINS0_4lessIvEEbEEEE10hipError_tPvRmT1_T2_T3_mmT4_T5_P12ihipStream_tbEUlRKyE_EESL_SP_SQ_mSR_SU_bEUlT_E_NS1_11comp_targetILNS1_3genE5ELNS1_11target_archE942ELNS1_3gpuE9ELNS1_3repE0EEENS1_30default_config_static_selectorELNS0_4arch9wavefront6targetE1EEEvSO_
    .private_segment_fixed_size: 0
    .sgpr_count:     4
    .sgpr_spill_count: 0
    .symbol:         _ZN7rocprim17ROCPRIM_400000_NS6detail17trampoline_kernelINS0_14default_configENS1_27upper_bound_config_selectorIylEEZNS1_14transform_implILb0ES3_S5_N6thrust23THRUST_200600_302600_NS17counting_iteratorIyNS8_11use_defaultESA_SA_EEPlZNS1_13binary_searchIS3_S5_PySB_SC_NS1_21upper_bound_search_opENS8_6detail16wrapped_functionINS0_4lessIvEEbEEEE10hipError_tPvRmT1_T2_T3_mmT4_T5_P12ihipStream_tbEUlRKyE_EESL_SP_SQ_mSR_SU_bEUlT_E_NS1_11comp_targetILNS1_3genE5ELNS1_11target_archE942ELNS1_3gpuE9ELNS1_3repE0EEENS1_30default_config_static_selectorELNS0_4arch9wavefront6targetE1EEEvSO_.kd
    .uniform_work_group_size: 1
    .uses_dynamic_stack: false
    .vgpr_count:     0
    .vgpr_spill_count: 0
    .wavefront_size: 64
  - .agpr_count:     0
    .args:
      - .offset:         0
        .size:           56
        .value_kind:     by_value
      - .offset:         56
        .size:           4
        .value_kind:     hidden_block_count_x
      - .offset:         60
        .size:           4
        .value_kind:     hidden_block_count_y
      - .offset:         64
        .size:           4
        .value_kind:     hidden_block_count_z
      - .offset:         68
        .size:           2
        .value_kind:     hidden_group_size_x
      - .offset:         70
        .size:           2
        .value_kind:     hidden_group_size_y
      - .offset:         72
        .size:           2
        .value_kind:     hidden_group_size_z
      - .offset:         74
        .size:           2
        .value_kind:     hidden_remainder_x
      - .offset:         76
        .size:           2
        .value_kind:     hidden_remainder_y
      - .offset:         78
        .size:           2
        .value_kind:     hidden_remainder_z
      - .offset:         96
        .size:           8
        .value_kind:     hidden_global_offset_x
      - .offset:         104
        .size:           8
        .value_kind:     hidden_global_offset_y
      - .offset:         112
        .size:           8
        .value_kind:     hidden_global_offset_z
      - .offset:         120
        .size:           2
        .value_kind:     hidden_grid_dims
    .group_segment_fixed_size: 0
    .kernarg_segment_align: 8
    .kernarg_segment_size: 312
    .language:       OpenCL C
    .language_version:
      - 2
      - 0
    .max_flat_workgroup_size: 64
    .name:           _ZN7rocprim17ROCPRIM_400000_NS6detail17trampoline_kernelINS0_14default_configENS1_27upper_bound_config_selectorIylEEZNS1_14transform_implILb0ES3_S5_N6thrust23THRUST_200600_302600_NS17counting_iteratorIyNS8_11use_defaultESA_SA_EEPlZNS1_13binary_searchIS3_S5_PySB_SC_NS1_21upper_bound_search_opENS8_6detail16wrapped_functionINS0_4lessIvEEbEEEE10hipError_tPvRmT1_T2_T3_mmT4_T5_P12ihipStream_tbEUlRKyE_EESL_SP_SQ_mSR_SU_bEUlT_E_NS1_11comp_targetILNS1_3genE4ELNS1_11target_archE910ELNS1_3gpuE8ELNS1_3repE0EEENS1_30default_config_static_selectorELNS0_4arch9wavefront6targetE1EEEvSO_
    .private_segment_fixed_size: 0
    .sgpr_count:     22
    .sgpr_spill_count: 0
    .symbol:         _ZN7rocprim17ROCPRIM_400000_NS6detail17trampoline_kernelINS0_14default_configENS1_27upper_bound_config_selectorIylEEZNS1_14transform_implILb0ES3_S5_N6thrust23THRUST_200600_302600_NS17counting_iteratorIyNS8_11use_defaultESA_SA_EEPlZNS1_13binary_searchIS3_S5_PySB_SC_NS1_21upper_bound_search_opENS8_6detail16wrapped_functionINS0_4lessIvEEbEEEE10hipError_tPvRmT1_T2_T3_mmT4_T5_P12ihipStream_tbEUlRKyE_EESL_SP_SQ_mSR_SU_bEUlT_E_NS1_11comp_targetILNS1_3genE4ELNS1_11target_archE910ELNS1_3gpuE8ELNS1_3repE0EEENS1_30default_config_static_selectorELNS0_4arch9wavefront6targetE1EEEvSO_.kd
    .uniform_work_group_size: 1
    .uses_dynamic_stack: false
    .vgpr_count:     15
    .vgpr_spill_count: 0
    .wavefront_size: 64
  - .agpr_count:     0
    .args:
      - .offset:         0
        .size:           56
        .value_kind:     by_value
    .group_segment_fixed_size: 0
    .kernarg_segment_align: 8
    .kernarg_segment_size: 56
    .language:       OpenCL C
    .language_version:
      - 2
      - 0
    .max_flat_workgroup_size: 128
    .name:           _ZN7rocprim17ROCPRIM_400000_NS6detail17trampoline_kernelINS0_14default_configENS1_27upper_bound_config_selectorIylEEZNS1_14transform_implILb0ES3_S5_N6thrust23THRUST_200600_302600_NS17counting_iteratorIyNS8_11use_defaultESA_SA_EEPlZNS1_13binary_searchIS3_S5_PySB_SC_NS1_21upper_bound_search_opENS8_6detail16wrapped_functionINS0_4lessIvEEbEEEE10hipError_tPvRmT1_T2_T3_mmT4_T5_P12ihipStream_tbEUlRKyE_EESL_SP_SQ_mSR_SU_bEUlT_E_NS1_11comp_targetILNS1_3genE3ELNS1_11target_archE908ELNS1_3gpuE7ELNS1_3repE0EEENS1_30default_config_static_selectorELNS0_4arch9wavefront6targetE1EEEvSO_
    .private_segment_fixed_size: 0
    .sgpr_count:     4
    .sgpr_spill_count: 0
    .symbol:         _ZN7rocprim17ROCPRIM_400000_NS6detail17trampoline_kernelINS0_14default_configENS1_27upper_bound_config_selectorIylEEZNS1_14transform_implILb0ES3_S5_N6thrust23THRUST_200600_302600_NS17counting_iteratorIyNS8_11use_defaultESA_SA_EEPlZNS1_13binary_searchIS3_S5_PySB_SC_NS1_21upper_bound_search_opENS8_6detail16wrapped_functionINS0_4lessIvEEbEEEE10hipError_tPvRmT1_T2_T3_mmT4_T5_P12ihipStream_tbEUlRKyE_EESL_SP_SQ_mSR_SU_bEUlT_E_NS1_11comp_targetILNS1_3genE3ELNS1_11target_archE908ELNS1_3gpuE7ELNS1_3repE0EEENS1_30default_config_static_selectorELNS0_4arch9wavefront6targetE1EEEvSO_.kd
    .uniform_work_group_size: 1
    .uses_dynamic_stack: false
    .vgpr_count:     0
    .vgpr_spill_count: 0
    .wavefront_size: 64
  - .agpr_count:     0
    .args:
      - .offset:         0
        .size:           56
        .value_kind:     by_value
    .group_segment_fixed_size: 0
    .kernarg_segment_align: 8
    .kernarg_segment_size: 56
    .language:       OpenCL C
    .language_version:
      - 2
      - 0
    .max_flat_workgroup_size: 256
    .name:           _ZN7rocprim17ROCPRIM_400000_NS6detail17trampoline_kernelINS0_14default_configENS1_27upper_bound_config_selectorIylEEZNS1_14transform_implILb0ES3_S5_N6thrust23THRUST_200600_302600_NS17counting_iteratorIyNS8_11use_defaultESA_SA_EEPlZNS1_13binary_searchIS3_S5_PySB_SC_NS1_21upper_bound_search_opENS8_6detail16wrapped_functionINS0_4lessIvEEbEEEE10hipError_tPvRmT1_T2_T3_mmT4_T5_P12ihipStream_tbEUlRKyE_EESL_SP_SQ_mSR_SU_bEUlT_E_NS1_11comp_targetILNS1_3genE2ELNS1_11target_archE906ELNS1_3gpuE6ELNS1_3repE0EEENS1_30default_config_static_selectorELNS0_4arch9wavefront6targetE1EEEvSO_
    .private_segment_fixed_size: 0
    .sgpr_count:     4
    .sgpr_spill_count: 0
    .symbol:         _ZN7rocprim17ROCPRIM_400000_NS6detail17trampoline_kernelINS0_14default_configENS1_27upper_bound_config_selectorIylEEZNS1_14transform_implILb0ES3_S5_N6thrust23THRUST_200600_302600_NS17counting_iteratorIyNS8_11use_defaultESA_SA_EEPlZNS1_13binary_searchIS3_S5_PySB_SC_NS1_21upper_bound_search_opENS8_6detail16wrapped_functionINS0_4lessIvEEbEEEE10hipError_tPvRmT1_T2_T3_mmT4_T5_P12ihipStream_tbEUlRKyE_EESL_SP_SQ_mSR_SU_bEUlT_E_NS1_11comp_targetILNS1_3genE2ELNS1_11target_archE906ELNS1_3gpuE6ELNS1_3repE0EEENS1_30default_config_static_selectorELNS0_4arch9wavefront6targetE1EEEvSO_.kd
    .uniform_work_group_size: 1
    .uses_dynamic_stack: false
    .vgpr_count:     0
    .vgpr_spill_count: 0
    .wavefront_size: 64
  - .agpr_count:     0
    .args:
      - .offset:         0
        .size:           56
        .value_kind:     by_value
    .group_segment_fixed_size: 0
    .kernarg_segment_align: 8
    .kernarg_segment_size: 56
    .language:       OpenCL C
    .language_version:
      - 2
      - 0
    .max_flat_workgroup_size: 128
    .name:           _ZN7rocprim17ROCPRIM_400000_NS6detail17trampoline_kernelINS0_14default_configENS1_27upper_bound_config_selectorIylEEZNS1_14transform_implILb0ES3_S5_N6thrust23THRUST_200600_302600_NS17counting_iteratorIyNS8_11use_defaultESA_SA_EEPlZNS1_13binary_searchIS3_S5_PySB_SC_NS1_21upper_bound_search_opENS8_6detail16wrapped_functionINS0_4lessIvEEbEEEE10hipError_tPvRmT1_T2_T3_mmT4_T5_P12ihipStream_tbEUlRKyE_EESL_SP_SQ_mSR_SU_bEUlT_E_NS1_11comp_targetILNS1_3genE10ELNS1_11target_archE1201ELNS1_3gpuE5ELNS1_3repE0EEENS1_30default_config_static_selectorELNS0_4arch9wavefront6targetE1EEEvSO_
    .private_segment_fixed_size: 0
    .sgpr_count:     4
    .sgpr_spill_count: 0
    .symbol:         _ZN7rocprim17ROCPRIM_400000_NS6detail17trampoline_kernelINS0_14default_configENS1_27upper_bound_config_selectorIylEEZNS1_14transform_implILb0ES3_S5_N6thrust23THRUST_200600_302600_NS17counting_iteratorIyNS8_11use_defaultESA_SA_EEPlZNS1_13binary_searchIS3_S5_PySB_SC_NS1_21upper_bound_search_opENS8_6detail16wrapped_functionINS0_4lessIvEEbEEEE10hipError_tPvRmT1_T2_T3_mmT4_T5_P12ihipStream_tbEUlRKyE_EESL_SP_SQ_mSR_SU_bEUlT_E_NS1_11comp_targetILNS1_3genE10ELNS1_11target_archE1201ELNS1_3gpuE5ELNS1_3repE0EEENS1_30default_config_static_selectorELNS0_4arch9wavefront6targetE1EEEvSO_.kd
    .uniform_work_group_size: 1
    .uses_dynamic_stack: false
    .vgpr_count:     0
    .vgpr_spill_count: 0
    .wavefront_size: 64
  - .agpr_count:     0
    .args:
      - .offset:         0
        .size:           56
        .value_kind:     by_value
    .group_segment_fixed_size: 0
    .kernarg_segment_align: 8
    .kernarg_segment_size: 56
    .language:       OpenCL C
    .language_version:
      - 2
      - 0
    .max_flat_workgroup_size: 128
    .name:           _ZN7rocprim17ROCPRIM_400000_NS6detail17trampoline_kernelINS0_14default_configENS1_27upper_bound_config_selectorIylEEZNS1_14transform_implILb0ES3_S5_N6thrust23THRUST_200600_302600_NS17counting_iteratorIyNS8_11use_defaultESA_SA_EEPlZNS1_13binary_searchIS3_S5_PySB_SC_NS1_21upper_bound_search_opENS8_6detail16wrapped_functionINS0_4lessIvEEbEEEE10hipError_tPvRmT1_T2_T3_mmT4_T5_P12ihipStream_tbEUlRKyE_EESL_SP_SQ_mSR_SU_bEUlT_E_NS1_11comp_targetILNS1_3genE10ELNS1_11target_archE1200ELNS1_3gpuE4ELNS1_3repE0EEENS1_30default_config_static_selectorELNS0_4arch9wavefront6targetE1EEEvSO_
    .private_segment_fixed_size: 0
    .sgpr_count:     4
    .sgpr_spill_count: 0
    .symbol:         _ZN7rocprim17ROCPRIM_400000_NS6detail17trampoline_kernelINS0_14default_configENS1_27upper_bound_config_selectorIylEEZNS1_14transform_implILb0ES3_S5_N6thrust23THRUST_200600_302600_NS17counting_iteratorIyNS8_11use_defaultESA_SA_EEPlZNS1_13binary_searchIS3_S5_PySB_SC_NS1_21upper_bound_search_opENS8_6detail16wrapped_functionINS0_4lessIvEEbEEEE10hipError_tPvRmT1_T2_T3_mmT4_T5_P12ihipStream_tbEUlRKyE_EESL_SP_SQ_mSR_SU_bEUlT_E_NS1_11comp_targetILNS1_3genE10ELNS1_11target_archE1200ELNS1_3gpuE4ELNS1_3repE0EEENS1_30default_config_static_selectorELNS0_4arch9wavefront6targetE1EEEvSO_.kd
    .uniform_work_group_size: 1
    .uses_dynamic_stack: false
    .vgpr_count:     0
    .vgpr_spill_count: 0
    .wavefront_size: 64
  - .agpr_count:     0
    .args:
      - .offset:         0
        .size:           56
        .value_kind:     by_value
    .group_segment_fixed_size: 0
    .kernarg_segment_align: 8
    .kernarg_segment_size: 56
    .language:       OpenCL C
    .language_version:
      - 2
      - 0
    .max_flat_workgroup_size: 256
    .name:           _ZN7rocprim17ROCPRIM_400000_NS6detail17trampoline_kernelINS0_14default_configENS1_27upper_bound_config_selectorIylEEZNS1_14transform_implILb0ES3_S5_N6thrust23THRUST_200600_302600_NS17counting_iteratorIyNS8_11use_defaultESA_SA_EEPlZNS1_13binary_searchIS3_S5_PySB_SC_NS1_21upper_bound_search_opENS8_6detail16wrapped_functionINS0_4lessIvEEbEEEE10hipError_tPvRmT1_T2_T3_mmT4_T5_P12ihipStream_tbEUlRKyE_EESL_SP_SQ_mSR_SU_bEUlT_E_NS1_11comp_targetILNS1_3genE9ELNS1_11target_archE1100ELNS1_3gpuE3ELNS1_3repE0EEENS1_30default_config_static_selectorELNS0_4arch9wavefront6targetE1EEEvSO_
    .private_segment_fixed_size: 0
    .sgpr_count:     4
    .sgpr_spill_count: 0
    .symbol:         _ZN7rocprim17ROCPRIM_400000_NS6detail17trampoline_kernelINS0_14default_configENS1_27upper_bound_config_selectorIylEEZNS1_14transform_implILb0ES3_S5_N6thrust23THRUST_200600_302600_NS17counting_iteratorIyNS8_11use_defaultESA_SA_EEPlZNS1_13binary_searchIS3_S5_PySB_SC_NS1_21upper_bound_search_opENS8_6detail16wrapped_functionINS0_4lessIvEEbEEEE10hipError_tPvRmT1_T2_T3_mmT4_T5_P12ihipStream_tbEUlRKyE_EESL_SP_SQ_mSR_SU_bEUlT_E_NS1_11comp_targetILNS1_3genE9ELNS1_11target_archE1100ELNS1_3gpuE3ELNS1_3repE0EEENS1_30default_config_static_selectorELNS0_4arch9wavefront6targetE1EEEvSO_.kd
    .uniform_work_group_size: 1
    .uses_dynamic_stack: false
    .vgpr_count:     0
    .vgpr_spill_count: 0
    .wavefront_size: 64
  - .agpr_count:     0
    .args:
      - .offset:         0
        .size:           56
        .value_kind:     by_value
    .group_segment_fixed_size: 0
    .kernarg_segment_align: 8
    .kernarg_segment_size: 56
    .language:       OpenCL C
    .language_version:
      - 2
      - 0
    .max_flat_workgroup_size: 256
    .name:           _ZN7rocprim17ROCPRIM_400000_NS6detail17trampoline_kernelINS0_14default_configENS1_27upper_bound_config_selectorIylEEZNS1_14transform_implILb0ES3_S5_N6thrust23THRUST_200600_302600_NS17counting_iteratorIyNS8_11use_defaultESA_SA_EEPlZNS1_13binary_searchIS3_S5_PySB_SC_NS1_21upper_bound_search_opENS8_6detail16wrapped_functionINS0_4lessIvEEbEEEE10hipError_tPvRmT1_T2_T3_mmT4_T5_P12ihipStream_tbEUlRKyE_EESL_SP_SQ_mSR_SU_bEUlT_E_NS1_11comp_targetILNS1_3genE8ELNS1_11target_archE1030ELNS1_3gpuE2ELNS1_3repE0EEENS1_30default_config_static_selectorELNS0_4arch9wavefront6targetE1EEEvSO_
    .private_segment_fixed_size: 0
    .sgpr_count:     4
    .sgpr_spill_count: 0
    .symbol:         _ZN7rocprim17ROCPRIM_400000_NS6detail17trampoline_kernelINS0_14default_configENS1_27upper_bound_config_selectorIylEEZNS1_14transform_implILb0ES3_S5_N6thrust23THRUST_200600_302600_NS17counting_iteratorIyNS8_11use_defaultESA_SA_EEPlZNS1_13binary_searchIS3_S5_PySB_SC_NS1_21upper_bound_search_opENS8_6detail16wrapped_functionINS0_4lessIvEEbEEEE10hipError_tPvRmT1_T2_T3_mmT4_T5_P12ihipStream_tbEUlRKyE_EESL_SP_SQ_mSR_SU_bEUlT_E_NS1_11comp_targetILNS1_3genE8ELNS1_11target_archE1030ELNS1_3gpuE2ELNS1_3repE0EEENS1_30default_config_static_selectorELNS0_4arch9wavefront6targetE1EEEvSO_.kd
    .uniform_work_group_size: 1
    .uses_dynamic_stack: false
    .vgpr_count:     0
    .vgpr_spill_count: 0
    .wavefront_size: 64
  - .agpr_count:     0
    .args:
      - .offset:         0
        .size:           8
        .value_kind:     by_value
      - .address_space:  global
        .offset:         8
        .size:           8
        .value_kind:     global_buffer
      - .address_space:  global
        .offset:         16
        .size:           8
        .value_kind:     global_buffer
    .group_segment_fixed_size: 0
    .kernarg_segment_align: 8
    .kernarg_segment_size: 24
    .language:       OpenCL C
    .language_version:
      - 2
      - 0
    .max_flat_workgroup_size: 256
    .name:           _Z18upper_bound_kernelIjEvmPT_Pl
    .private_segment_fixed_size: 0
    .sgpr_count:     23
    .sgpr_spill_count: 0
    .symbol:         _Z18upper_bound_kernelIjEvmPT_Pl.kd
    .uniform_work_group_size: 1
    .uses_dynamic_stack: false
    .vgpr_count:     4
    .vgpr_spill_count: 0
    .wavefront_size: 64
  - .agpr_count:     0
    .args:
      - .offset:         0
        .size:           56
        .value_kind:     by_value
    .group_segment_fixed_size: 0
    .kernarg_segment_align: 8
    .kernarg_segment_size: 56
    .language:       OpenCL C
    .language_version:
      - 2
      - 0
    .max_flat_workgroup_size: 256
    .name:           _ZN7rocprim17ROCPRIM_400000_NS6detail17trampoline_kernelINS0_14default_configENS1_27upper_bound_config_selectorIjlEEZNS1_14transform_implILb0ES3_S5_N6thrust23THRUST_200600_302600_NS17counting_iteratorIjNS8_11use_defaultESA_SA_EEPlZNS1_13binary_searchIS3_S5_PjSB_SC_NS1_21upper_bound_search_opENS8_6detail16wrapped_functionINS0_4lessIvEEbEEEE10hipError_tPvRmT1_T2_T3_mmT4_T5_P12ihipStream_tbEUlRKjE_EESL_SP_SQ_mSR_SU_bEUlT_E_NS1_11comp_targetILNS1_3genE0ELNS1_11target_archE4294967295ELNS1_3gpuE0ELNS1_3repE0EEENS1_30default_config_static_selectorELNS0_4arch9wavefront6targetE1EEEvSO_
    .private_segment_fixed_size: 0
    .sgpr_count:     4
    .sgpr_spill_count: 0
    .symbol:         _ZN7rocprim17ROCPRIM_400000_NS6detail17trampoline_kernelINS0_14default_configENS1_27upper_bound_config_selectorIjlEEZNS1_14transform_implILb0ES3_S5_N6thrust23THRUST_200600_302600_NS17counting_iteratorIjNS8_11use_defaultESA_SA_EEPlZNS1_13binary_searchIS3_S5_PjSB_SC_NS1_21upper_bound_search_opENS8_6detail16wrapped_functionINS0_4lessIvEEbEEEE10hipError_tPvRmT1_T2_T3_mmT4_T5_P12ihipStream_tbEUlRKjE_EESL_SP_SQ_mSR_SU_bEUlT_E_NS1_11comp_targetILNS1_3genE0ELNS1_11target_archE4294967295ELNS1_3gpuE0ELNS1_3repE0EEENS1_30default_config_static_selectorELNS0_4arch9wavefront6targetE1EEEvSO_.kd
    .uniform_work_group_size: 1
    .uses_dynamic_stack: false
    .vgpr_count:     0
    .vgpr_spill_count: 0
    .wavefront_size: 64
  - .agpr_count:     0
    .args:
      - .offset:         0
        .size:           56
        .value_kind:     by_value
    .group_segment_fixed_size: 0
    .kernarg_segment_align: 8
    .kernarg_segment_size: 56
    .language:       OpenCL C
    .language_version:
      - 2
      - 0
    .max_flat_workgroup_size: 256
    .name:           _ZN7rocprim17ROCPRIM_400000_NS6detail17trampoline_kernelINS0_14default_configENS1_27upper_bound_config_selectorIjlEEZNS1_14transform_implILb0ES3_S5_N6thrust23THRUST_200600_302600_NS17counting_iteratorIjNS8_11use_defaultESA_SA_EEPlZNS1_13binary_searchIS3_S5_PjSB_SC_NS1_21upper_bound_search_opENS8_6detail16wrapped_functionINS0_4lessIvEEbEEEE10hipError_tPvRmT1_T2_T3_mmT4_T5_P12ihipStream_tbEUlRKjE_EESL_SP_SQ_mSR_SU_bEUlT_E_NS1_11comp_targetILNS1_3genE5ELNS1_11target_archE942ELNS1_3gpuE9ELNS1_3repE0EEENS1_30default_config_static_selectorELNS0_4arch9wavefront6targetE1EEEvSO_
    .private_segment_fixed_size: 0
    .sgpr_count:     4
    .sgpr_spill_count: 0
    .symbol:         _ZN7rocprim17ROCPRIM_400000_NS6detail17trampoline_kernelINS0_14default_configENS1_27upper_bound_config_selectorIjlEEZNS1_14transform_implILb0ES3_S5_N6thrust23THRUST_200600_302600_NS17counting_iteratorIjNS8_11use_defaultESA_SA_EEPlZNS1_13binary_searchIS3_S5_PjSB_SC_NS1_21upper_bound_search_opENS8_6detail16wrapped_functionINS0_4lessIvEEbEEEE10hipError_tPvRmT1_T2_T3_mmT4_T5_P12ihipStream_tbEUlRKjE_EESL_SP_SQ_mSR_SU_bEUlT_E_NS1_11comp_targetILNS1_3genE5ELNS1_11target_archE942ELNS1_3gpuE9ELNS1_3repE0EEENS1_30default_config_static_selectorELNS0_4arch9wavefront6targetE1EEEvSO_.kd
    .uniform_work_group_size: 1
    .uses_dynamic_stack: false
    .vgpr_count:     0
    .vgpr_spill_count: 0
    .wavefront_size: 64
  - .agpr_count:     0
    .args:
      - .offset:         0
        .size:           56
        .value_kind:     by_value
      - .offset:         56
        .size:           4
        .value_kind:     hidden_block_count_x
      - .offset:         60
        .size:           4
        .value_kind:     hidden_block_count_y
      - .offset:         64
        .size:           4
        .value_kind:     hidden_block_count_z
      - .offset:         68
        .size:           2
        .value_kind:     hidden_group_size_x
      - .offset:         70
        .size:           2
        .value_kind:     hidden_group_size_y
      - .offset:         72
        .size:           2
        .value_kind:     hidden_group_size_z
      - .offset:         74
        .size:           2
        .value_kind:     hidden_remainder_x
      - .offset:         76
        .size:           2
        .value_kind:     hidden_remainder_y
      - .offset:         78
        .size:           2
        .value_kind:     hidden_remainder_z
      - .offset:         96
        .size:           8
        .value_kind:     hidden_global_offset_x
      - .offset:         104
        .size:           8
        .value_kind:     hidden_global_offset_y
      - .offset:         112
        .size:           8
        .value_kind:     hidden_global_offset_z
      - .offset:         120
        .size:           2
        .value_kind:     hidden_grid_dims
    .group_segment_fixed_size: 0
    .kernarg_segment_align: 8
    .kernarg_segment_size: 312
    .language:       OpenCL C
    .language_version:
      - 2
      - 0
    .max_flat_workgroup_size: 256
    .name:           _ZN7rocprim17ROCPRIM_400000_NS6detail17trampoline_kernelINS0_14default_configENS1_27upper_bound_config_selectorIjlEEZNS1_14transform_implILb0ES3_S5_N6thrust23THRUST_200600_302600_NS17counting_iteratorIjNS8_11use_defaultESA_SA_EEPlZNS1_13binary_searchIS3_S5_PjSB_SC_NS1_21upper_bound_search_opENS8_6detail16wrapped_functionINS0_4lessIvEEbEEEE10hipError_tPvRmT1_T2_T3_mmT4_T5_P12ihipStream_tbEUlRKjE_EESL_SP_SQ_mSR_SU_bEUlT_E_NS1_11comp_targetILNS1_3genE4ELNS1_11target_archE910ELNS1_3gpuE8ELNS1_3repE0EEENS1_30default_config_static_selectorELNS0_4arch9wavefront6targetE1EEEvSO_
    .private_segment_fixed_size: 0
    .sgpr_count:     21
    .sgpr_spill_count: 0
    .symbol:         _ZN7rocprim17ROCPRIM_400000_NS6detail17trampoline_kernelINS0_14default_configENS1_27upper_bound_config_selectorIjlEEZNS1_14transform_implILb0ES3_S5_N6thrust23THRUST_200600_302600_NS17counting_iteratorIjNS8_11use_defaultESA_SA_EEPlZNS1_13binary_searchIS3_S5_PjSB_SC_NS1_21upper_bound_search_opENS8_6detail16wrapped_functionINS0_4lessIvEEbEEEE10hipError_tPvRmT1_T2_T3_mmT4_T5_P12ihipStream_tbEUlRKjE_EESL_SP_SQ_mSR_SU_bEUlT_E_NS1_11comp_targetILNS1_3genE4ELNS1_11target_archE910ELNS1_3gpuE8ELNS1_3repE0EEENS1_30default_config_static_selectorELNS0_4arch9wavefront6targetE1EEEvSO_.kd
    .uniform_work_group_size: 1
    .uses_dynamic_stack: false
    .vgpr_count:     12
    .vgpr_spill_count: 0
    .wavefront_size: 64
  - .agpr_count:     0
    .args:
      - .offset:         0
        .size:           56
        .value_kind:     by_value
    .group_segment_fixed_size: 0
    .kernarg_segment_align: 8
    .kernarg_segment_size: 56
    .language:       OpenCL C
    .language_version:
      - 2
      - 0
    .max_flat_workgroup_size: 256
    .name:           _ZN7rocprim17ROCPRIM_400000_NS6detail17trampoline_kernelINS0_14default_configENS1_27upper_bound_config_selectorIjlEEZNS1_14transform_implILb0ES3_S5_N6thrust23THRUST_200600_302600_NS17counting_iteratorIjNS8_11use_defaultESA_SA_EEPlZNS1_13binary_searchIS3_S5_PjSB_SC_NS1_21upper_bound_search_opENS8_6detail16wrapped_functionINS0_4lessIvEEbEEEE10hipError_tPvRmT1_T2_T3_mmT4_T5_P12ihipStream_tbEUlRKjE_EESL_SP_SQ_mSR_SU_bEUlT_E_NS1_11comp_targetILNS1_3genE3ELNS1_11target_archE908ELNS1_3gpuE7ELNS1_3repE0EEENS1_30default_config_static_selectorELNS0_4arch9wavefront6targetE1EEEvSO_
    .private_segment_fixed_size: 0
    .sgpr_count:     4
    .sgpr_spill_count: 0
    .symbol:         _ZN7rocprim17ROCPRIM_400000_NS6detail17trampoline_kernelINS0_14default_configENS1_27upper_bound_config_selectorIjlEEZNS1_14transform_implILb0ES3_S5_N6thrust23THRUST_200600_302600_NS17counting_iteratorIjNS8_11use_defaultESA_SA_EEPlZNS1_13binary_searchIS3_S5_PjSB_SC_NS1_21upper_bound_search_opENS8_6detail16wrapped_functionINS0_4lessIvEEbEEEE10hipError_tPvRmT1_T2_T3_mmT4_T5_P12ihipStream_tbEUlRKjE_EESL_SP_SQ_mSR_SU_bEUlT_E_NS1_11comp_targetILNS1_3genE3ELNS1_11target_archE908ELNS1_3gpuE7ELNS1_3repE0EEENS1_30default_config_static_selectorELNS0_4arch9wavefront6targetE1EEEvSO_.kd
    .uniform_work_group_size: 1
    .uses_dynamic_stack: false
    .vgpr_count:     0
    .vgpr_spill_count: 0
    .wavefront_size: 64
  - .agpr_count:     0
    .args:
      - .offset:         0
        .size:           56
        .value_kind:     by_value
    .group_segment_fixed_size: 0
    .kernarg_segment_align: 8
    .kernarg_segment_size: 56
    .language:       OpenCL C
    .language_version:
      - 2
      - 0
    .max_flat_workgroup_size: 256
    .name:           _ZN7rocprim17ROCPRIM_400000_NS6detail17trampoline_kernelINS0_14default_configENS1_27upper_bound_config_selectorIjlEEZNS1_14transform_implILb0ES3_S5_N6thrust23THRUST_200600_302600_NS17counting_iteratorIjNS8_11use_defaultESA_SA_EEPlZNS1_13binary_searchIS3_S5_PjSB_SC_NS1_21upper_bound_search_opENS8_6detail16wrapped_functionINS0_4lessIvEEbEEEE10hipError_tPvRmT1_T2_T3_mmT4_T5_P12ihipStream_tbEUlRKjE_EESL_SP_SQ_mSR_SU_bEUlT_E_NS1_11comp_targetILNS1_3genE2ELNS1_11target_archE906ELNS1_3gpuE6ELNS1_3repE0EEENS1_30default_config_static_selectorELNS0_4arch9wavefront6targetE1EEEvSO_
    .private_segment_fixed_size: 0
    .sgpr_count:     4
    .sgpr_spill_count: 0
    .symbol:         _ZN7rocprim17ROCPRIM_400000_NS6detail17trampoline_kernelINS0_14default_configENS1_27upper_bound_config_selectorIjlEEZNS1_14transform_implILb0ES3_S5_N6thrust23THRUST_200600_302600_NS17counting_iteratorIjNS8_11use_defaultESA_SA_EEPlZNS1_13binary_searchIS3_S5_PjSB_SC_NS1_21upper_bound_search_opENS8_6detail16wrapped_functionINS0_4lessIvEEbEEEE10hipError_tPvRmT1_T2_T3_mmT4_T5_P12ihipStream_tbEUlRKjE_EESL_SP_SQ_mSR_SU_bEUlT_E_NS1_11comp_targetILNS1_3genE2ELNS1_11target_archE906ELNS1_3gpuE6ELNS1_3repE0EEENS1_30default_config_static_selectorELNS0_4arch9wavefront6targetE1EEEvSO_.kd
    .uniform_work_group_size: 1
    .uses_dynamic_stack: false
    .vgpr_count:     0
    .vgpr_spill_count: 0
    .wavefront_size: 64
  - .agpr_count:     0
    .args:
      - .offset:         0
        .size:           56
        .value_kind:     by_value
    .group_segment_fixed_size: 0
    .kernarg_segment_align: 8
    .kernarg_segment_size: 56
    .language:       OpenCL C
    .language_version:
      - 2
      - 0
    .max_flat_workgroup_size: 128
    .name:           _ZN7rocprim17ROCPRIM_400000_NS6detail17trampoline_kernelINS0_14default_configENS1_27upper_bound_config_selectorIjlEEZNS1_14transform_implILb0ES3_S5_N6thrust23THRUST_200600_302600_NS17counting_iteratorIjNS8_11use_defaultESA_SA_EEPlZNS1_13binary_searchIS3_S5_PjSB_SC_NS1_21upper_bound_search_opENS8_6detail16wrapped_functionINS0_4lessIvEEbEEEE10hipError_tPvRmT1_T2_T3_mmT4_T5_P12ihipStream_tbEUlRKjE_EESL_SP_SQ_mSR_SU_bEUlT_E_NS1_11comp_targetILNS1_3genE10ELNS1_11target_archE1201ELNS1_3gpuE5ELNS1_3repE0EEENS1_30default_config_static_selectorELNS0_4arch9wavefront6targetE1EEEvSO_
    .private_segment_fixed_size: 0
    .sgpr_count:     4
    .sgpr_spill_count: 0
    .symbol:         _ZN7rocprim17ROCPRIM_400000_NS6detail17trampoline_kernelINS0_14default_configENS1_27upper_bound_config_selectorIjlEEZNS1_14transform_implILb0ES3_S5_N6thrust23THRUST_200600_302600_NS17counting_iteratorIjNS8_11use_defaultESA_SA_EEPlZNS1_13binary_searchIS3_S5_PjSB_SC_NS1_21upper_bound_search_opENS8_6detail16wrapped_functionINS0_4lessIvEEbEEEE10hipError_tPvRmT1_T2_T3_mmT4_T5_P12ihipStream_tbEUlRKjE_EESL_SP_SQ_mSR_SU_bEUlT_E_NS1_11comp_targetILNS1_3genE10ELNS1_11target_archE1201ELNS1_3gpuE5ELNS1_3repE0EEENS1_30default_config_static_selectorELNS0_4arch9wavefront6targetE1EEEvSO_.kd
    .uniform_work_group_size: 1
    .uses_dynamic_stack: false
    .vgpr_count:     0
    .vgpr_spill_count: 0
    .wavefront_size: 64
  - .agpr_count:     0
    .args:
      - .offset:         0
        .size:           56
        .value_kind:     by_value
    .group_segment_fixed_size: 0
    .kernarg_segment_align: 8
    .kernarg_segment_size: 56
    .language:       OpenCL C
    .language_version:
      - 2
      - 0
    .max_flat_workgroup_size: 128
    .name:           _ZN7rocprim17ROCPRIM_400000_NS6detail17trampoline_kernelINS0_14default_configENS1_27upper_bound_config_selectorIjlEEZNS1_14transform_implILb0ES3_S5_N6thrust23THRUST_200600_302600_NS17counting_iteratorIjNS8_11use_defaultESA_SA_EEPlZNS1_13binary_searchIS3_S5_PjSB_SC_NS1_21upper_bound_search_opENS8_6detail16wrapped_functionINS0_4lessIvEEbEEEE10hipError_tPvRmT1_T2_T3_mmT4_T5_P12ihipStream_tbEUlRKjE_EESL_SP_SQ_mSR_SU_bEUlT_E_NS1_11comp_targetILNS1_3genE10ELNS1_11target_archE1200ELNS1_3gpuE4ELNS1_3repE0EEENS1_30default_config_static_selectorELNS0_4arch9wavefront6targetE1EEEvSO_
    .private_segment_fixed_size: 0
    .sgpr_count:     4
    .sgpr_spill_count: 0
    .symbol:         _ZN7rocprim17ROCPRIM_400000_NS6detail17trampoline_kernelINS0_14default_configENS1_27upper_bound_config_selectorIjlEEZNS1_14transform_implILb0ES3_S5_N6thrust23THRUST_200600_302600_NS17counting_iteratorIjNS8_11use_defaultESA_SA_EEPlZNS1_13binary_searchIS3_S5_PjSB_SC_NS1_21upper_bound_search_opENS8_6detail16wrapped_functionINS0_4lessIvEEbEEEE10hipError_tPvRmT1_T2_T3_mmT4_T5_P12ihipStream_tbEUlRKjE_EESL_SP_SQ_mSR_SU_bEUlT_E_NS1_11comp_targetILNS1_3genE10ELNS1_11target_archE1200ELNS1_3gpuE4ELNS1_3repE0EEENS1_30default_config_static_selectorELNS0_4arch9wavefront6targetE1EEEvSO_.kd
    .uniform_work_group_size: 1
    .uses_dynamic_stack: false
    .vgpr_count:     0
    .vgpr_spill_count: 0
    .wavefront_size: 64
  - .agpr_count:     0
    .args:
      - .offset:         0
        .size:           56
        .value_kind:     by_value
    .group_segment_fixed_size: 0
    .kernarg_segment_align: 8
    .kernarg_segment_size: 56
    .language:       OpenCL C
    .language_version:
      - 2
      - 0
    .max_flat_workgroup_size: 256
    .name:           _ZN7rocprim17ROCPRIM_400000_NS6detail17trampoline_kernelINS0_14default_configENS1_27upper_bound_config_selectorIjlEEZNS1_14transform_implILb0ES3_S5_N6thrust23THRUST_200600_302600_NS17counting_iteratorIjNS8_11use_defaultESA_SA_EEPlZNS1_13binary_searchIS3_S5_PjSB_SC_NS1_21upper_bound_search_opENS8_6detail16wrapped_functionINS0_4lessIvEEbEEEE10hipError_tPvRmT1_T2_T3_mmT4_T5_P12ihipStream_tbEUlRKjE_EESL_SP_SQ_mSR_SU_bEUlT_E_NS1_11comp_targetILNS1_3genE9ELNS1_11target_archE1100ELNS1_3gpuE3ELNS1_3repE0EEENS1_30default_config_static_selectorELNS0_4arch9wavefront6targetE1EEEvSO_
    .private_segment_fixed_size: 0
    .sgpr_count:     4
    .sgpr_spill_count: 0
    .symbol:         _ZN7rocprim17ROCPRIM_400000_NS6detail17trampoline_kernelINS0_14default_configENS1_27upper_bound_config_selectorIjlEEZNS1_14transform_implILb0ES3_S5_N6thrust23THRUST_200600_302600_NS17counting_iteratorIjNS8_11use_defaultESA_SA_EEPlZNS1_13binary_searchIS3_S5_PjSB_SC_NS1_21upper_bound_search_opENS8_6detail16wrapped_functionINS0_4lessIvEEbEEEE10hipError_tPvRmT1_T2_T3_mmT4_T5_P12ihipStream_tbEUlRKjE_EESL_SP_SQ_mSR_SU_bEUlT_E_NS1_11comp_targetILNS1_3genE9ELNS1_11target_archE1100ELNS1_3gpuE3ELNS1_3repE0EEENS1_30default_config_static_selectorELNS0_4arch9wavefront6targetE1EEEvSO_.kd
    .uniform_work_group_size: 1
    .uses_dynamic_stack: false
    .vgpr_count:     0
    .vgpr_spill_count: 0
    .wavefront_size: 64
  - .agpr_count:     0
    .args:
      - .offset:         0
        .size:           56
        .value_kind:     by_value
    .group_segment_fixed_size: 0
    .kernarg_segment_align: 8
    .kernarg_segment_size: 56
    .language:       OpenCL C
    .language_version:
      - 2
      - 0
    .max_flat_workgroup_size: 256
    .name:           _ZN7rocprim17ROCPRIM_400000_NS6detail17trampoline_kernelINS0_14default_configENS1_27upper_bound_config_selectorIjlEEZNS1_14transform_implILb0ES3_S5_N6thrust23THRUST_200600_302600_NS17counting_iteratorIjNS8_11use_defaultESA_SA_EEPlZNS1_13binary_searchIS3_S5_PjSB_SC_NS1_21upper_bound_search_opENS8_6detail16wrapped_functionINS0_4lessIvEEbEEEE10hipError_tPvRmT1_T2_T3_mmT4_T5_P12ihipStream_tbEUlRKjE_EESL_SP_SQ_mSR_SU_bEUlT_E_NS1_11comp_targetILNS1_3genE8ELNS1_11target_archE1030ELNS1_3gpuE2ELNS1_3repE0EEENS1_30default_config_static_selectorELNS0_4arch9wavefront6targetE1EEEvSO_
    .private_segment_fixed_size: 0
    .sgpr_count:     4
    .sgpr_spill_count: 0
    .symbol:         _ZN7rocprim17ROCPRIM_400000_NS6detail17trampoline_kernelINS0_14default_configENS1_27upper_bound_config_selectorIjlEEZNS1_14transform_implILb0ES3_S5_N6thrust23THRUST_200600_302600_NS17counting_iteratorIjNS8_11use_defaultESA_SA_EEPlZNS1_13binary_searchIS3_S5_PjSB_SC_NS1_21upper_bound_search_opENS8_6detail16wrapped_functionINS0_4lessIvEEbEEEE10hipError_tPvRmT1_T2_T3_mmT4_T5_P12ihipStream_tbEUlRKjE_EESL_SP_SQ_mSR_SU_bEUlT_E_NS1_11comp_targetILNS1_3genE8ELNS1_11target_archE1030ELNS1_3gpuE2ELNS1_3repE0EEENS1_30default_config_static_selectorELNS0_4arch9wavefront6targetE1EEEvSO_.kd
    .uniform_work_group_size: 1
    .uses_dynamic_stack: false
    .vgpr_count:     0
    .vgpr_spill_count: 0
    .wavefront_size: 64
  - .agpr_count:     0
    .args:
      - .offset:         0
        .size:           8
        .value_kind:     by_value
      - .address_space:  global
        .offset:         8
        .size:           8
        .value_kind:     global_buffer
      - .address_space:  global
        .offset:         16
        .size:           8
        .value_kind:     global_buffer
    .group_segment_fixed_size: 0
    .kernarg_segment_align: 8
    .kernarg_segment_size: 24
    .language:       OpenCL C
    .language_version:
      - 2
      - 0
    .max_flat_workgroup_size: 256
    .name:           _Z18upper_bound_kernelItEvmPT_Pl
    .private_segment_fixed_size: 0
    .sgpr_count:     24
    .sgpr_spill_count: 0
    .symbol:         _Z18upper_bound_kernelItEvmPT_Pl.kd
    .uniform_work_group_size: 1
    .uses_dynamic_stack: false
    .vgpr_count:     4
    .vgpr_spill_count: 0
    .wavefront_size: 64
  - .agpr_count:     0
    .args:
      - .offset:         0
        .size:           56
        .value_kind:     by_value
    .group_segment_fixed_size: 0
    .kernarg_segment_align: 8
    .kernarg_segment_size: 56
    .language:       OpenCL C
    .language_version:
      - 2
      - 0
    .max_flat_workgroup_size: 128
    .name:           _ZN7rocprim17ROCPRIM_400000_NS6detail17trampoline_kernelINS0_14default_configENS1_27upper_bound_config_selectorItlEEZNS1_14transform_implILb0ES3_S5_N6thrust23THRUST_200600_302600_NS17counting_iteratorItNS8_11use_defaultESA_SA_EEPlZNS1_13binary_searchIS3_S5_PtSB_SC_NS1_21upper_bound_search_opENS8_6detail16wrapped_functionINS0_4lessIvEEbEEEE10hipError_tPvRmT1_T2_T3_mmT4_T5_P12ihipStream_tbEUlRKtE_EESL_SP_SQ_mSR_SU_bEUlT_E_NS1_11comp_targetILNS1_3genE0ELNS1_11target_archE4294967295ELNS1_3gpuE0ELNS1_3repE0EEENS1_30default_config_static_selectorELNS0_4arch9wavefront6targetE1EEEvSO_
    .private_segment_fixed_size: 0
    .sgpr_count:     4
    .sgpr_spill_count: 0
    .symbol:         _ZN7rocprim17ROCPRIM_400000_NS6detail17trampoline_kernelINS0_14default_configENS1_27upper_bound_config_selectorItlEEZNS1_14transform_implILb0ES3_S5_N6thrust23THRUST_200600_302600_NS17counting_iteratorItNS8_11use_defaultESA_SA_EEPlZNS1_13binary_searchIS3_S5_PtSB_SC_NS1_21upper_bound_search_opENS8_6detail16wrapped_functionINS0_4lessIvEEbEEEE10hipError_tPvRmT1_T2_T3_mmT4_T5_P12ihipStream_tbEUlRKtE_EESL_SP_SQ_mSR_SU_bEUlT_E_NS1_11comp_targetILNS1_3genE0ELNS1_11target_archE4294967295ELNS1_3gpuE0ELNS1_3repE0EEENS1_30default_config_static_selectorELNS0_4arch9wavefront6targetE1EEEvSO_.kd
    .uniform_work_group_size: 1
    .uses_dynamic_stack: false
    .vgpr_count:     0
    .vgpr_spill_count: 0
    .wavefront_size: 64
  - .agpr_count:     0
    .args:
      - .offset:         0
        .size:           56
        .value_kind:     by_value
    .group_segment_fixed_size: 0
    .kernarg_segment_align: 8
    .kernarg_segment_size: 56
    .language:       OpenCL C
    .language_version:
      - 2
      - 0
    .max_flat_workgroup_size: 256
    .name:           _ZN7rocprim17ROCPRIM_400000_NS6detail17trampoline_kernelINS0_14default_configENS1_27upper_bound_config_selectorItlEEZNS1_14transform_implILb0ES3_S5_N6thrust23THRUST_200600_302600_NS17counting_iteratorItNS8_11use_defaultESA_SA_EEPlZNS1_13binary_searchIS3_S5_PtSB_SC_NS1_21upper_bound_search_opENS8_6detail16wrapped_functionINS0_4lessIvEEbEEEE10hipError_tPvRmT1_T2_T3_mmT4_T5_P12ihipStream_tbEUlRKtE_EESL_SP_SQ_mSR_SU_bEUlT_E_NS1_11comp_targetILNS1_3genE5ELNS1_11target_archE942ELNS1_3gpuE9ELNS1_3repE0EEENS1_30default_config_static_selectorELNS0_4arch9wavefront6targetE1EEEvSO_
    .private_segment_fixed_size: 0
    .sgpr_count:     4
    .sgpr_spill_count: 0
    .symbol:         _ZN7rocprim17ROCPRIM_400000_NS6detail17trampoline_kernelINS0_14default_configENS1_27upper_bound_config_selectorItlEEZNS1_14transform_implILb0ES3_S5_N6thrust23THRUST_200600_302600_NS17counting_iteratorItNS8_11use_defaultESA_SA_EEPlZNS1_13binary_searchIS3_S5_PtSB_SC_NS1_21upper_bound_search_opENS8_6detail16wrapped_functionINS0_4lessIvEEbEEEE10hipError_tPvRmT1_T2_T3_mmT4_T5_P12ihipStream_tbEUlRKtE_EESL_SP_SQ_mSR_SU_bEUlT_E_NS1_11comp_targetILNS1_3genE5ELNS1_11target_archE942ELNS1_3gpuE9ELNS1_3repE0EEENS1_30default_config_static_selectorELNS0_4arch9wavefront6targetE1EEEvSO_.kd
    .uniform_work_group_size: 1
    .uses_dynamic_stack: false
    .vgpr_count:     0
    .vgpr_spill_count: 0
    .wavefront_size: 64
  - .agpr_count:     0
    .args:
      - .offset:         0
        .size:           56
        .value_kind:     by_value
      - .offset:         56
        .size:           4
        .value_kind:     hidden_block_count_x
      - .offset:         60
        .size:           4
        .value_kind:     hidden_block_count_y
      - .offset:         64
        .size:           4
        .value_kind:     hidden_block_count_z
      - .offset:         68
        .size:           2
        .value_kind:     hidden_group_size_x
      - .offset:         70
        .size:           2
        .value_kind:     hidden_group_size_y
      - .offset:         72
        .size:           2
        .value_kind:     hidden_group_size_z
      - .offset:         74
        .size:           2
        .value_kind:     hidden_remainder_x
      - .offset:         76
        .size:           2
        .value_kind:     hidden_remainder_y
      - .offset:         78
        .size:           2
        .value_kind:     hidden_remainder_z
      - .offset:         96
        .size:           8
        .value_kind:     hidden_global_offset_x
      - .offset:         104
        .size:           8
        .value_kind:     hidden_global_offset_y
      - .offset:         112
        .size:           8
        .value_kind:     hidden_global_offset_z
      - .offset:         120
        .size:           2
        .value_kind:     hidden_grid_dims
    .group_segment_fixed_size: 0
    .kernarg_segment_align: 8
    .kernarg_segment_size: 312
    .language:       OpenCL C
    .language_version:
      - 2
      - 0
    .max_flat_workgroup_size: 256
    .name:           _ZN7rocprim17ROCPRIM_400000_NS6detail17trampoline_kernelINS0_14default_configENS1_27upper_bound_config_selectorItlEEZNS1_14transform_implILb0ES3_S5_N6thrust23THRUST_200600_302600_NS17counting_iteratorItNS8_11use_defaultESA_SA_EEPlZNS1_13binary_searchIS3_S5_PtSB_SC_NS1_21upper_bound_search_opENS8_6detail16wrapped_functionINS0_4lessIvEEbEEEE10hipError_tPvRmT1_T2_T3_mmT4_T5_P12ihipStream_tbEUlRKtE_EESL_SP_SQ_mSR_SU_bEUlT_E_NS1_11comp_targetILNS1_3genE4ELNS1_11target_archE910ELNS1_3gpuE8ELNS1_3repE0EEENS1_30default_config_static_selectorELNS0_4arch9wavefront6targetE1EEEvSO_
    .private_segment_fixed_size: 0
    .sgpr_count:     21
    .sgpr_spill_count: 0
    .symbol:         _ZN7rocprim17ROCPRIM_400000_NS6detail17trampoline_kernelINS0_14default_configENS1_27upper_bound_config_selectorItlEEZNS1_14transform_implILb0ES3_S5_N6thrust23THRUST_200600_302600_NS17counting_iteratorItNS8_11use_defaultESA_SA_EEPlZNS1_13binary_searchIS3_S5_PtSB_SC_NS1_21upper_bound_search_opENS8_6detail16wrapped_functionINS0_4lessIvEEbEEEE10hipError_tPvRmT1_T2_T3_mmT4_T5_P12ihipStream_tbEUlRKtE_EESL_SP_SQ_mSR_SU_bEUlT_E_NS1_11comp_targetILNS1_3genE4ELNS1_11target_archE910ELNS1_3gpuE8ELNS1_3repE0EEENS1_30default_config_static_selectorELNS0_4arch9wavefront6targetE1EEEvSO_.kd
    .uniform_work_group_size: 1
    .uses_dynamic_stack: false
    .vgpr_count:     12
    .vgpr_spill_count: 0
    .wavefront_size: 64
  - .agpr_count:     0
    .args:
      - .offset:         0
        .size:           56
        .value_kind:     by_value
    .group_segment_fixed_size: 0
    .kernarg_segment_align: 8
    .kernarg_segment_size: 56
    .language:       OpenCL C
    .language_version:
      - 2
      - 0
    .max_flat_workgroup_size: 128
    .name:           _ZN7rocprim17ROCPRIM_400000_NS6detail17trampoline_kernelINS0_14default_configENS1_27upper_bound_config_selectorItlEEZNS1_14transform_implILb0ES3_S5_N6thrust23THRUST_200600_302600_NS17counting_iteratorItNS8_11use_defaultESA_SA_EEPlZNS1_13binary_searchIS3_S5_PtSB_SC_NS1_21upper_bound_search_opENS8_6detail16wrapped_functionINS0_4lessIvEEbEEEE10hipError_tPvRmT1_T2_T3_mmT4_T5_P12ihipStream_tbEUlRKtE_EESL_SP_SQ_mSR_SU_bEUlT_E_NS1_11comp_targetILNS1_3genE3ELNS1_11target_archE908ELNS1_3gpuE7ELNS1_3repE0EEENS1_30default_config_static_selectorELNS0_4arch9wavefront6targetE1EEEvSO_
    .private_segment_fixed_size: 0
    .sgpr_count:     4
    .sgpr_spill_count: 0
    .symbol:         _ZN7rocprim17ROCPRIM_400000_NS6detail17trampoline_kernelINS0_14default_configENS1_27upper_bound_config_selectorItlEEZNS1_14transform_implILb0ES3_S5_N6thrust23THRUST_200600_302600_NS17counting_iteratorItNS8_11use_defaultESA_SA_EEPlZNS1_13binary_searchIS3_S5_PtSB_SC_NS1_21upper_bound_search_opENS8_6detail16wrapped_functionINS0_4lessIvEEbEEEE10hipError_tPvRmT1_T2_T3_mmT4_T5_P12ihipStream_tbEUlRKtE_EESL_SP_SQ_mSR_SU_bEUlT_E_NS1_11comp_targetILNS1_3genE3ELNS1_11target_archE908ELNS1_3gpuE7ELNS1_3repE0EEENS1_30default_config_static_selectorELNS0_4arch9wavefront6targetE1EEEvSO_.kd
    .uniform_work_group_size: 1
    .uses_dynamic_stack: false
    .vgpr_count:     0
    .vgpr_spill_count: 0
    .wavefront_size: 64
  - .agpr_count:     0
    .args:
      - .offset:         0
        .size:           56
        .value_kind:     by_value
    .group_segment_fixed_size: 0
    .kernarg_segment_align: 8
    .kernarg_segment_size: 56
    .language:       OpenCL C
    .language_version:
      - 2
      - 0
    .max_flat_workgroup_size: 256
    .name:           _ZN7rocprim17ROCPRIM_400000_NS6detail17trampoline_kernelINS0_14default_configENS1_27upper_bound_config_selectorItlEEZNS1_14transform_implILb0ES3_S5_N6thrust23THRUST_200600_302600_NS17counting_iteratorItNS8_11use_defaultESA_SA_EEPlZNS1_13binary_searchIS3_S5_PtSB_SC_NS1_21upper_bound_search_opENS8_6detail16wrapped_functionINS0_4lessIvEEbEEEE10hipError_tPvRmT1_T2_T3_mmT4_T5_P12ihipStream_tbEUlRKtE_EESL_SP_SQ_mSR_SU_bEUlT_E_NS1_11comp_targetILNS1_3genE2ELNS1_11target_archE906ELNS1_3gpuE6ELNS1_3repE0EEENS1_30default_config_static_selectorELNS0_4arch9wavefront6targetE1EEEvSO_
    .private_segment_fixed_size: 0
    .sgpr_count:     4
    .sgpr_spill_count: 0
    .symbol:         _ZN7rocprim17ROCPRIM_400000_NS6detail17trampoline_kernelINS0_14default_configENS1_27upper_bound_config_selectorItlEEZNS1_14transform_implILb0ES3_S5_N6thrust23THRUST_200600_302600_NS17counting_iteratorItNS8_11use_defaultESA_SA_EEPlZNS1_13binary_searchIS3_S5_PtSB_SC_NS1_21upper_bound_search_opENS8_6detail16wrapped_functionINS0_4lessIvEEbEEEE10hipError_tPvRmT1_T2_T3_mmT4_T5_P12ihipStream_tbEUlRKtE_EESL_SP_SQ_mSR_SU_bEUlT_E_NS1_11comp_targetILNS1_3genE2ELNS1_11target_archE906ELNS1_3gpuE6ELNS1_3repE0EEENS1_30default_config_static_selectorELNS0_4arch9wavefront6targetE1EEEvSO_.kd
    .uniform_work_group_size: 1
    .uses_dynamic_stack: false
    .vgpr_count:     0
    .vgpr_spill_count: 0
    .wavefront_size: 64
  - .agpr_count:     0
    .args:
      - .offset:         0
        .size:           56
        .value_kind:     by_value
    .group_segment_fixed_size: 0
    .kernarg_segment_align: 8
    .kernarg_segment_size: 56
    .language:       OpenCL C
    .language_version:
      - 2
      - 0
    .max_flat_workgroup_size: 256
    .name:           _ZN7rocprim17ROCPRIM_400000_NS6detail17trampoline_kernelINS0_14default_configENS1_27upper_bound_config_selectorItlEEZNS1_14transform_implILb0ES3_S5_N6thrust23THRUST_200600_302600_NS17counting_iteratorItNS8_11use_defaultESA_SA_EEPlZNS1_13binary_searchIS3_S5_PtSB_SC_NS1_21upper_bound_search_opENS8_6detail16wrapped_functionINS0_4lessIvEEbEEEE10hipError_tPvRmT1_T2_T3_mmT4_T5_P12ihipStream_tbEUlRKtE_EESL_SP_SQ_mSR_SU_bEUlT_E_NS1_11comp_targetILNS1_3genE10ELNS1_11target_archE1201ELNS1_3gpuE5ELNS1_3repE0EEENS1_30default_config_static_selectorELNS0_4arch9wavefront6targetE1EEEvSO_
    .private_segment_fixed_size: 0
    .sgpr_count:     4
    .sgpr_spill_count: 0
    .symbol:         _ZN7rocprim17ROCPRIM_400000_NS6detail17trampoline_kernelINS0_14default_configENS1_27upper_bound_config_selectorItlEEZNS1_14transform_implILb0ES3_S5_N6thrust23THRUST_200600_302600_NS17counting_iteratorItNS8_11use_defaultESA_SA_EEPlZNS1_13binary_searchIS3_S5_PtSB_SC_NS1_21upper_bound_search_opENS8_6detail16wrapped_functionINS0_4lessIvEEbEEEE10hipError_tPvRmT1_T2_T3_mmT4_T5_P12ihipStream_tbEUlRKtE_EESL_SP_SQ_mSR_SU_bEUlT_E_NS1_11comp_targetILNS1_3genE10ELNS1_11target_archE1201ELNS1_3gpuE5ELNS1_3repE0EEENS1_30default_config_static_selectorELNS0_4arch9wavefront6targetE1EEEvSO_.kd
    .uniform_work_group_size: 1
    .uses_dynamic_stack: false
    .vgpr_count:     0
    .vgpr_spill_count: 0
    .wavefront_size: 64
  - .agpr_count:     0
    .args:
      - .offset:         0
        .size:           56
        .value_kind:     by_value
    .group_segment_fixed_size: 0
    .kernarg_segment_align: 8
    .kernarg_segment_size: 56
    .language:       OpenCL C
    .language_version:
      - 2
      - 0
    .max_flat_workgroup_size: 256
    .name:           _ZN7rocprim17ROCPRIM_400000_NS6detail17trampoline_kernelINS0_14default_configENS1_27upper_bound_config_selectorItlEEZNS1_14transform_implILb0ES3_S5_N6thrust23THRUST_200600_302600_NS17counting_iteratorItNS8_11use_defaultESA_SA_EEPlZNS1_13binary_searchIS3_S5_PtSB_SC_NS1_21upper_bound_search_opENS8_6detail16wrapped_functionINS0_4lessIvEEbEEEE10hipError_tPvRmT1_T2_T3_mmT4_T5_P12ihipStream_tbEUlRKtE_EESL_SP_SQ_mSR_SU_bEUlT_E_NS1_11comp_targetILNS1_3genE10ELNS1_11target_archE1200ELNS1_3gpuE4ELNS1_3repE0EEENS1_30default_config_static_selectorELNS0_4arch9wavefront6targetE1EEEvSO_
    .private_segment_fixed_size: 0
    .sgpr_count:     4
    .sgpr_spill_count: 0
    .symbol:         _ZN7rocprim17ROCPRIM_400000_NS6detail17trampoline_kernelINS0_14default_configENS1_27upper_bound_config_selectorItlEEZNS1_14transform_implILb0ES3_S5_N6thrust23THRUST_200600_302600_NS17counting_iteratorItNS8_11use_defaultESA_SA_EEPlZNS1_13binary_searchIS3_S5_PtSB_SC_NS1_21upper_bound_search_opENS8_6detail16wrapped_functionINS0_4lessIvEEbEEEE10hipError_tPvRmT1_T2_T3_mmT4_T5_P12ihipStream_tbEUlRKtE_EESL_SP_SQ_mSR_SU_bEUlT_E_NS1_11comp_targetILNS1_3genE10ELNS1_11target_archE1200ELNS1_3gpuE4ELNS1_3repE0EEENS1_30default_config_static_selectorELNS0_4arch9wavefront6targetE1EEEvSO_.kd
    .uniform_work_group_size: 1
    .uses_dynamic_stack: false
    .vgpr_count:     0
    .vgpr_spill_count: 0
    .wavefront_size: 64
  - .agpr_count:     0
    .args:
      - .offset:         0
        .size:           56
        .value_kind:     by_value
    .group_segment_fixed_size: 0
    .kernarg_segment_align: 8
    .kernarg_segment_size: 56
    .language:       OpenCL C
    .language_version:
      - 2
      - 0
    .max_flat_workgroup_size: 64
    .name:           _ZN7rocprim17ROCPRIM_400000_NS6detail17trampoline_kernelINS0_14default_configENS1_27upper_bound_config_selectorItlEEZNS1_14transform_implILb0ES3_S5_N6thrust23THRUST_200600_302600_NS17counting_iteratorItNS8_11use_defaultESA_SA_EEPlZNS1_13binary_searchIS3_S5_PtSB_SC_NS1_21upper_bound_search_opENS8_6detail16wrapped_functionINS0_4lessIvEEbEEEE10hipError_tPvRmT1_T2_T3_mmT4_T5_P12ihipStream_tbEUlRKtE_EESL_SP_SQ_mSR_SU_bEUlT_E_NS1_11comp_targetILNS1_3genE9ELNS1_11target_archE1100ELNS1_3gpuE3ELNS1_3repE0EEENS1_30default_config_static_selectorELNS0_4arch9wavefront6targetE1EEEvSO_
    .private_segment_fixed_size: 0
    .sgpr_count:     4
    .sgpr_spill_count: 0
    .symbol:         _ZN7rocprim17ROCPRIM_400000_NS6detail17trampoline_kernelINS0_14default_configENS1_27upper_bound_config_selectorItlEEZNS1_14transform_implILb0ES3_S5_N6thrust23THRUST_200600_302600_NS17counting_iteratorItNS8_11use_defaultESA_SA_EEPlZNS1_13binary_searchIS3_S5_PtSB_SC_NS1_21upper_bound_search_opENS8_6detail16wrapped_functionINS0_4lessIvEEbEEEE10hipError_tPvRmT1_T2_T3_mmT4_T5_P12ihipStream_tbEUlRKtE_EESL_SP_SQ_mSR_SU_bEUlT_E_NS1_11comp_targetILNS1_3genE9ELNS1_11target_archE1100ELNS1_3gpuE3ELNS1_3repE0EEENS1_30default_config_static_selectorELNS0_4arch9wavefront6targetE1EEEvSO_.kd
    .uniform_work_group_size: 1
    .uses_dynamic_stack: false
    .vgpr_count:     0
    .vgpr_spill_count: 0
    .wavefront_size: 64
  - .agpr_count:     0
    .args:
      - .offset:         0
        .size:           56
        .value_kind:     by_value
    .group_segment_fixed_size: 0
    .kernarg_segment_align: 8
    .kernarg_segment_size: 56
    .language:       OpenCL C
    .language_version:
      - 2
      - 0
    .max_flat_workgroup_size: 128
    .name:           _ZN7rocprim17ROCPRIM_400000_NS6detail17trampoline_kernelINS0_14default_configENS1_27upper_bound_config_selectorItlEEZNS1_14transform_implILb0ES3_S5_N6thrust23THRUST_200600_302600_NS17counting_iteratorItNS8_11use_defaultESA_SA_EEPlZNS1_13binary_searchIS3_S5_PtSB_SC_NS1_21upper_bound_search_opENS8_6detail16wrapped_functionINS0_4lessIvEEbEEEE10hipError_tPvRmT1_T2_T3_mmT4_T5_P12ihipStream_tbEUlRKtE_EESL_SP_SQ_mSR_SU_bEUlT_E_NS1_11comp_targetILNS1_3genE8ELNS1_11target_archE1030ELNS1_3gpuE2ELNS1_3repE0EEENS1_30default_config_static_selectorELNS0_4arch9wavefront6targetE1EEEvSO_
    .private_segment_fixed_size: 0
    .sgpr_count:     4
    .sgpr_spill_count: 0
    .symbol:         _ZN7rocprim17ROCPRIM_400000_NS6detail17trampoline_kernelINS0_14default_configENS1_27upper_bound_config_selectorItlEEZNS1_14transform_implILb0ES3_S5_N6thrust23THRUST_200600_302600_NS17counting_iteratorItNS8_11use_defaultESA_SA_EEPlZNS1_13binary_searchIS3_S5_PtSB_SC_NS1_21upper_bound_search_opENS8_6detail16wrapped_functionINS0_4lessIvEEbEEEE10hipError_tPvRmT1_T2_T3_mmT4_T5_P12ihipStream_tbEUlRKtE_EESL_SP_SQ_mSR_SU_bEUlT_E_NS1_11comp_targetILNS1_3genE8ELNS1_11target_archE1030ELNS1_3gpuE2ELNS1_3repE0EEENS1_30default_config_static_selectorELNS0_4arch9wavefront6targetE1EEEvSO_.kd
    .uniform_work_group_size: 1
    .uses_dynamic_stack: false
    .vgpr_count:     0
    .vgpr_spill_count: 0
    .wavefront_size: 64
  - .agpr_count:     0
    .args:
      - .offset:         0
        .size:           8
        .value_kind:     by_value
      - .address_space:  global
        .offset:         8
        .size:           8
        .value_kind:     global_buffer
      - .address_space:  global
        .offset:         16
        .size:           8
        .value_kind:     global_buffer
    .group_segment_fixed_size: 0
    .kernarg_segment_align: 8
    .kernarg_segment_size: 24
    .language:       OpenCL C
    .language_version:
      - 2
      - 0
    .max_flat_workgroup_size: 256
    .name:           _Z18upper_bound_kernelIxEvmPT_Pl
    .private_segment_fixed_size: 0
    .sgpr_count:     24
    .sgpr_spill_count: 0
    .symbol:         _Z18upper_bound_kernelIxEvmPT_Pl.kd
    .uniform_work_group_size: 1
    .uses_dynamic_stack: false
    .vgpr_count:     4
    .vgpr_spill_count: 0
    .wavefront_size: 64
  - .agpr_count:     0
    .args:
      - .offset:         0
        .size:           56
        .value_kind:     by_value
    .group_segment_fixed_size: 0
    .kernarg_segment_align: 8
    .kernarg_segment_size: 56
    .language:       OpenCL C
    .language_version:
      - 2
      - 0
    .max_flat_workgroup_size: 128
    .name:           _ZN7rocprim17ROCPRIM_400000_NS6detail17trampoline_kernelINS0_14default_configENS1_27upper_bound_config_selectorIxlEEZNS1_14transform_implILb0ES3_S5_N6thrust23THRUST_200600_302600_NS17counting_iteratorIxNS8_11use_defaultESA_SA_EEPlZNS1_13binary_searchIS3_S5_PxSB_SC_NS1_21upper_bound_search_opENS8_6detail16wrapped_functionINS0_4lessIvEEbEEEE10hipError_tPvRmT1_T2_T3_mmT4_T5_P12ihipStream_tbEUlRKxE_EESL_SP_SQ_mSR_SU_bEUlT_E_NS1_11comp_targetILNS1_3genE0ELNS1_11target_archE4294967295ELNS1_3gpuE0ELNS1_3repE0EEENS1_30default_config_static_selectorELNS0_4arch9wavefront6targetE1EEEvSO_
    .private_segment_fixed_size: 0
    .sgpr_count:     4
    .sgpr_spill_count: 0
    .symbol:         _ZN7rocprim17ROCPRIM_400000_NS6detail17trampoline_kernelINS0_14default_configENS1_27upper_bound_config_selectorIxlEEZNS1_14transform_implILb0ES3_S5_N6thrust23THRUST_200600_302600_NS17counting_iteratorIxNS8_11use_defaultESA_SA_EEPlZNS1_13binary_searchIS3_S5_PxSB_SC_NS1_21upper_bound_search_opENS8_6detail16wrapped_functionINS0_4lessIvEEbEEEE10hipError_tPvRmT1_T2_T3_mmT4_T5_P12ihipStream_tbEUlRKxE_EESL_SP_SQ_mSR_SU_bEUlT_E_NS1_11comp_targetILNS1_3genE0ELNS1_11target_archE4294967295ELNS1_3gpuE0ELNS1_3repE0EEENS1_30default_config_static_selectorELNS0_4arch9wavefront6targetE1EEEvSO_.kd
    .uniform_work_group_size: 1
    .uses_dynamic_stack: false
    .vgpr_count:     0
    .vgpr_spill_count: 0
    .wavefront_size: 64
  - .agpr_count:     0
    .args:
      - .offset:         0
        .size:           56
        .value_kind:     by_value
    .group_segment_fixed_size: 0
    .kernarg_segment_align: 8
    .kernarg_segment_size: 56
    .language:       OpenCL C
    .language_version:
      - 2
      - 0
    .max_flat_workgroup_size: 64
    .name:           _ZN7rocprim17ROCPRIM_400000_NS6detail17trampoline_kernelINS0_14default_configENS1_27upper_bound_config_selectorIxlEEZNS1_14transform_implILb0ES3_S5_N6thrust23THRUST_200600_302600_NS17counting_iteratorIxNS8_11use_defaultESA_SA_EEPlZNS1_13binary_searchIS3_S5_PxSB_SC_NS1_21upper_bound_search_opENS8_6detail16wrapped_functionINS0_4lessIvEEbEEEE10hipError_tPvRmT1_T2_T3_mmT4_T5_P12ihipStream_tbEUlRKxE_EESL_SP_SQ_mSR_SU_bEUlT_E_NS1_11comp_targetILNS1_3genE5ELNS1_11target_archE942ELNS1_3gpuE9ELNS1_3repE0EEENS1_30default_config_static_selectorELNS0_4arch9wavefront6targetE1EEEvSO_
    .private_segment_fixed_size: 0
    .sgpr_count:     4
    .sgpr_spill_count: 0
    .symbol:         _ZN7rocprim17ROCPRIM_400000_NS6detail17trampoline_kernelINS0_14default_configENS1_27upper_bound_config_selectorIxlEEZNS1_14transform_implILb0ES3_S5_N6thrust23THRUST_200600_302600_NS17counting_iteratorIxNS8_11use_defaultESA_SA_EEPlZNS1_13binary_searchIS3_S5_PxSB_SC_NS1_21upper_bound_search_opENS8_6detail16wrapped_functionINS0_4lessIvEEbEEEE10hipError_tPvRmT1_T2_T3_mmT4_T5_P12ihipStream_tbEUlRKxE_EESL_SP_SQ_mSR_SU_bEUlT_E_NS1_11comp_targetILNS1_3genE5ELNS1_11target_archE942ELNS1_3gpuE9ELNS1_3repE0EEENS1_30default_config_static_selectorELNS0_4arch9wavefront6targetE1EEEvSO_.kd
    .uniform_work_group_size: 1
    .uses_dynamic_stack: false
    .vgpr_count:     0
    .vgpr_spill_count: 0
    .wavefront_size: 64
  - .agpr_count:     0
    .args:
      - .offset:         0
        .size:           56
        .value_kind:     by_value
      - .offset:         56
        .size:           4
        .value_kind:     hidden_block_count_x
      - .offset:         60
        .size:           4
        .value_kind:     hidden_block_count_y
      - .offset:         64
        .size:           4
        .value_kind:     hidden_block_count_z
      - .offset:         68
        .size:           2
        .value_kind:     hidden_group_size_x
      - .offset:         70
        .size:           2
        .value_kind:     hidden_group_size_y
      - .offset:         72
        .size:           2
        .value_kind:     hidden_group_size_z
      - .offset:         74
        .size:           2
        .value_kind:     hidden_remainder_x
      - .offset:         76
        .size:           2
        .value_kind:     hidden_remainder_y
      - .offset:         78
        .size:           2
        .value_kind:     hidden_remainder_z
      - .offset:         96
        .size:           8
        .value_kind:     hidden_global_offset_x
      - .offset:         104
        .size:           8
        .value_kind:     hidden_global_offset_y
      - .offset:         112
        .size:           8
        .value_kind:     hidden_global_offset_z
      - .offset:         120
        .size:           2
        .value_kind:     hidden_grid_dims
    .group_segment_fixed_size: 0
    .kernarg_segment_align: 8
    .kernarg_segment_size: 312
    .language:       OpenCL C
    .language_version:
      - 2
      - 0
    .max_flat_workgroup_size: 64
    .name:           _ZN7rocprim17ROCPRIM_400000_NS6detail17trampoline_kernelINS0_14default_configENS1_27upper_bound_config_selectorIxlEEZNS1_14transform_implILb0ES3_S5_N6thrust23THRUST_200600_302600_NS17counting_iteratorIxNS8_11use_defaultESA_SA_EEPlZNS1_13binary_searchIS3_S5_PxSB_SC_NS1_21upper_bound_search_opENS8_6detail16wrapped_functionINS0_4lessIvEEbEEEE10hipError_tPvRmT1_T2_T3_mmT4_T5_P12ihipStream_tbEUlRKxE_EESL_SP_SQ_mSR_SU_bEUlT_E_NS1_11comp_targetILNS1_3genE4ELNS1_11target_archE910ELNS1_3gpuE8ELNS1_3repE0EEENS1_30default_config_static_selectorELNS0_4arch9wavefront6targetE1EEEvSO_
    .private_segment_fixed_size: 0
    .sgpr_count:     22
    .sgpr_spill_count: 0
    .symbol:         _ZN7rocprim17ROCPRIM_400000_NS6detail17trampoline_kernelINS0_14default_configENS1_27upper_bound_config_selectorIxlEEZNS1_14transform_implILb0ES3_S5_N6thrust23THRUST_200600_302600_NS17counting_iteratorIxNS8_11use_defaultESA_SA_EEPlZNS1_13binary_searchIS3_S5_PxSB_SC_NS1_21upper_bound_search_opENS8_6detail16wrapped_functionINS0_4lessIvEEbEEEE10hipError_tPvRmT1_T2_T3_mmT4_T5_P12ihipStream_tbEUlRKxE_EESL_SP_SQ_mSR_SU_bEUlT_E_NS1_11comp_targetILNS1_3genE4ELNS1_11target_archE910ELNS1_3gpuE8ELNS1_3repE0EEENS1_30default_config_static_selectorELNS0_4arch9wavefront6targetE1EEEvSO_.kd
    .uniform_work_group_size: 1
    .uses_dynamic_stack: false
    .vgpr_count:     15
    .vgpr_spill_count: 0
    .wavefront_size: 64
  - .agpr_count:     0
    .args:
      - .offset:         0
        .size:           56
        .value_kind:     by_value
    .group_segment_fixed_size: 0
    .kernarg_segment_align: 8
    .kernarg_segment_size: 56
    .language:       OpenCL C
    .language_version:
      - 2
      - 0
    .max_flat_workgroup_size: 128
    .name:           _ZN7rocprim17ROCPRIM_400000_NS6detail17trampoline_kernelINS0_14default_configENS1_27upper_bound_config_selectorIxlEEZNS1_14transform_implILb0ES3_S5_N6thrust23THRUST_200600_302600_NS17counting_iteratorIxNS8_11use_defaultESA_SA_EEPlZNS1_13binary_searchIS3_S5_PxSB_SC_NS1_21upper_bound_search_opENS8_6detail16wrapped_functionINS0_4lessIvEEbEEEE10hipError_tPvRmT1_T2_T3_mmT4_T5_P12ihipStream_tbEUlRKxE_EESL_SP_SQ_mSR_SU_bEUlT_E_NS1_11comp_targetILNS1_3genE3ELNS1_11target_archE908ELNS1_3gpuE7ELNS1_3repE0EEENS1_30default_config_static_selectorELNS0_4arch9wavefront6targetE1EEEvSO_
    .private_segment_fixed_size: 0
    .sgpr_count:     4
    .sgpr_spill_count: 0
    .symbol:         _ZN7rocprim17ROCPRIM_400000_NS6detail17trampoline_kernelINS0_14default_configENS1_27upper_bound_config_selectorIxlEEZNS1_14transform_implILb0ES3_S5_N6thrust23THRUST_200600_302600_NS17counting_iteratorIxNS8_11use_defaultESA_SA_EEPlZNS1_13binary_searchIS3_S5_PxSB_SC_NS1_21upper_bound_search_opENS8_6detail16wrapped_functionINS0_4lessIvEEbEEEE10hipError_tPvRmT1_T2_T3_mmT4_T5_P12ihipStream_tbEUlRKxE_EESL_SP_SQ_mSR_SU_bEUlT_E_NS1_11comp_targetILNS1_3genE3ELNS1_11target_archE908ELNS1_3gpuE7ELNS1_3repE0EEENS1_30default_config_static_selectorELNS0_4arch9wavefront6targetE1EEEvSO_.kd
    .uniform_work_group_size: 1
    .uses_dynamic_stack: false
    .vgpr_count:     0
    .vgpr_spill_count: 0
    .wavefront_size: 64
  - .agpr_count:     0
    .args:
      - .offset:         0
        .size:           56
        .value_kind:     by_value
    .group_segment_fixed_size: 0
    .kernarg_segment_align: 8
    .kernarg_segment_size: 56
    .language:       OpenCL C
    .language_version:
      - 2
      - 0
    .max_flat_workgroup_size: 256
    .name:           _ZN7rocprim17ROCPRIM_400000_NS6detail17trampoline_kernelINS0_14default_configENS1_27upper_bound_config_selectorIxlEEZNS1_14transform_implILb0ES3_S5_N6thrust23THRUST_200600_302600_NS17counting_iteratorIxNS8_11use_defaultESA_SA_EEPlZNS1_13binary_searchIS3_S5_PxSB_SC_NS1_21upper_bound_search_opENS8_6detail16wrapped_functionINS0_4lessIvEEbEEEE10hipError_tPvRmT1_T2_T3_mmT4_T5_P12ihipStream_tbEUlRKxE_EESL_SP_SQ_mSR_SU_bEUlT_E_NS1_11comp_targetILNS1_3genE2ELNS1_11target_archE906ELNS1_3gpuE6ELNS1_3repE0EEENS1_30default_config_static_selectorELNS0_4arch9wavefront6targetE1EEEvSO_
    .private_segment_fixed_size: 0
    .sgpr_count:     4
    .sgpr_spill_count: 0
    .symbol:         _ZN7rocprim17ROCPRIM_400000_NS6detail17trampoline_kernelINS0_14default_configENS1_27upper_bound_config_selectorIxlEEZNS1_14transform_implILb0ES3_S5_N6thrust23THRUST_200600_302600_NS17counting_iteratorIxNS8_11use_defaultESA_SA_EEPlZNS1_13binary_searchIS3_S5_PxSB_SC_NS1_21upper_bound_search_opENS8_6detail16wrapped_functionINS0_4lessIvEEbEEEE10hipError_tPvRmT1_T2_T3_mmT4_T5_P12ihipStream_tbEUlRKxE_EESL_SP_SQ_mSR_SU_bEUlT_E_NS1_11comp_targetILNS1_3genE2ELNS1_11target_archE906ELNS1_3gpuE6ELNS1_3repE0EEENS1_30default_config_static_selectorELNS0_4arch9wavefront6targetE1EEEvSO_.kd
    .uniform_work_group_size: 1
    .uses_dynamic_stack: false
    .vgpr_count:     0
    .vgpr_spill_count: 0
    .wavefront_size: 64
  - .agpr_count:     0
    .args:
      - .offset:         0
        .size:           56
        .value_kind:     by_value
    .group_segment_fixed_size: 0
    .kernarg_segment_align: 8
    .kernarg_segment_size: 56
    .language:       OpenCL C
    .language_version:
      - 2
      - 0
    .max_flat_workgroup_size: 128
    .name:           _ZN7rocprim17ROCPRIM_400000_NS6detail17trampoline_kernelINS0_14default_configENS1_27upper_bound_config_selectorIxlEEZNS1_14transform_implILb0ES3_S5_N6thrust23THRUST_200600_302600_NS17counting_iteratorIxNS8_11use_defaultESA_SA_EEPlZNS1_13binary_searchIS3_S5_PxSB_SC_NS1_21upper_bound_search_opENS8_6detail16wrapped_functionINS0_4lessIvEEbEEEE10hipError_tPvRmT1_T2_T3_mmT4_T5_P12ihipStream_tbEUlRKxE_EESL_SP_SQ_mSR_SU_bEUlT_E_NS1_11comp_targetILNS1_3genE10ELNS1_11target_archE1201ELNS1_3gpuE5ELNS1_3repE0EEENS1_30default_config_static_selectorELNS0_4arch9wavefront6targetE1EEEvSO_
    .private_segment_fixed_size: 0
    .sgpr_count:     4
    .sgpr_spill_count: 0
    .symbol:         _ZN7rocprim17ROCPRIM_400000_NS6detail17trampoline_kernelINS0_14default_configENS1_27upper_bound_config_selectorIxlEEZNS1_14transform_implILb0ES3_S5_N6thrust23THRUST_200600_302600_NS17counting_iteratorIxNS8_11use_defaultESA_SA_EEPlZNS1_13binary_searchIS3_S5_PxSB_SC_NS1_21upper_bound_search_opENS8_6detail16wrapped_functionINS0_4lessIvEEbEEEE10hipError_tPvRmT1_T2_T3_mmT4_T5_P12ihipStream_tbEUlRKxE_EESL_SP_SQ_mSR_SU_bEUlT_E_NS1_11comp_targetILNS1_3genE10ELNS1_11target_archE1201ELNS1_3gpuE5ELNS1_3repE0EEENS1_30default_config_static_selectorELNS0_4arch9wavefront6targetE1EEEvSO_.kd
    .uniform_work_group_size: 1
    .uses_dynamic_stack: false
    .vgpr_count:     0
    .vgpr_spill_count: 0
    .wavefront_size: 64
  - .agpr_count:     0
    .args:
      - .offset:         0
        .size:           56
        .value_kind:     by_value
    .group_segment_fixed_size: 0
    .kernarg_segment_align: 8
    .kernarg_segment_size: 56
    .language:       OpenCL C
    .language_version:
      - 2
      - 0
    .max_flat_workgroup_size: 128
    .name:           _ZN7rocprim17ROCPRIM_400000_NS6detail17trampoline_kernelINS0_14default_configENS1_27upper_bound_config_selectorIxlEEZNS1_14transform_implILb0ES3_S5_N6thrust23THRUST_200600_302600_NS17counting_iteratorIxNS8_11use_defaultESA_SA_EEPlZNS1_13binary_searchIS3_S5_PxSB_SC_NS1_21upper_bound_search_opENS8_6detail16wrapped_functionINS0_4lessIvEEbEEEE10hipError_tPvRmT1_T2_T3_mmT4_T5_P12ihipStream_tbEUlRKxE_EESL_SP_SQ_mSR_SU_bEUlT_E_NS1_11comp_targetILNS1_3genE10ELNS1_11target_archE1200ELNS1_3gpuE4ELNS1_3repE0EEENS1_30default_config_static_selectorELNS0_4arch9wavefront6targetE1EEEvSO_
    .private_segment_fixed_size: 0
    .sgpr_count:     4
    .sgpr_spill_count: 0
    .symbol:         _ZN7rocprim17ROCPRIM_400000_NS6detail17trampoline_kernelINS0_14default_configENS1_27upper_bound_config_selectorIxlEEZNS1_14transform_implILb0ES3_S5_N6thrust23THRUST_200600_302600_NS17counting_iteratorIxNS8_11use_defaultESA_SA_EEPlZNS1_13binary_searchIS3_S5_PxSB_SC_NS1_21upper_bound_search_opENS8_6detail16wrapped_functionINS0_4lessIvEEbEEEE10hipError_tPvRmT1_T2_T3_mmT4_T5_P12ihipStream_tbEUlRKxE_EESL_SP_SQ_mSR_SU_bEUlT_E_NS1_11comp_targetILNS1_3genE10ELNS1_11target_archE1200ELNS1_3gpuE4ELNS1_3repE0EEENS1_30default_config_static_selectorELNS0_4arch9wavefront6targetE1EEEvSO_.kd
    .uniform_work_group_size: 1
    .uses_dynamic_stack: false
    .vgpr_count:     0
    .vgpr_spill_count: 0
    .wavefront_size: 64
  - .agpr_count:     0
    .args:
      - .offset:         0
        .size:           56
        .value_kind:     by_value
    .group_segment_fixed_size: 0
    .kernarg_segment_align: 8
    .kernarg_segment_size: 56
    .language:       OpenCL C
    .language_version:
      - 2
      - 0
    .max_flat_workgroup_size: 256
    .name:           _ZN7rocprim17ROCPRIM_400000_NS6detail17trampoline_kernelINS0_14default_configENS1_27upper_bound_config_selectorIxlEEZNS1_14transform_implILb0ES3_S5_N6thrust23THRUST_200600_302600_NS17counting_iteratorIxNS8_11use_defaultESA_SA_EEPlZNS1_13binary_searchIS3_S5_PxSB_SC_NS1_21upper_bound_search_opENS8_6detail16wrapped_functionINS0_4lessIvEEbEEEE10hipError_tPvRmT1_T2_T3_mmT4_T5_P12ihipStream_tbEUlRKxE_EESL_SP_SQ_mSR_SU_bEUlT_E_NS1_11comp_targetILNS1_3genE9ELNS1_11target_archE1100ELNS1_3gpuE3ELNS1_3repE0EEENS1_30default_config_static_selectorELNS0_4arch9wavefront6targetE1EEEvSO_
    .private_segment_fixed_size: 0
    .sgpr_count:     4
    .sgpr_spill_count: 0
    .symbol:         _ZN7rocprim17ROCPRIM_400000_NS6detail17trampoline_kernelINS0_14default_configENS1_27upper_bound_config_selectorIxlEEZNS1_14transform_implILb0ES3_S5_N6thrust23THRUST_200600_302600_NS17counting_iteratorIxNS8_11use_defaultESA_SA_EEPlZNS1_13binary_searchIS3_S5_PxSB_SC_NS1_21upper_bound_search_opENS8_6detail16wrapped_functionINS0_4lessIvEEbEEEE10hipError_tPvRmT1_T2_T3_mmT4_T5_P12ihipStream_tbEUlRKxE_EESL_SP_SQ_mSR_SU_bEUlT_E_NS1_11comp_targetILNS1_3genE9ELNS1_11target_archE1100ELNS1_3gpuE3ELNS1_3repE0EEENS1_30default_config_static_selectorELNS0_4arch9wavefront6targetE1EEEvSO_.kd
    .uniform_work_group_size: 1
    .uses_dynamic_stack: false
    .vgpr_count:     0
    .vgpr_spill_count: 0
    .wavefront_size: 64
  - .agpr_count:     0
    .args:
      - .offset:         0
        .size:           56
        .value_kind:     by_value
    .group_segment_fixed_size: 0
    .kernarg_segment_align: 8
    .kernarg_segment_size: 56
    .language:       OpenCL C
    .language_version:
      - 2
      - 0
    .max_flat_workgroup_size: 256
    .name:           _ZN7rocprim17ROCPRIM_400000_NS6detail17trampoline_kernelINS0_14default_configENS1_27upper_bound_config_selectorIxlEEZNS1_14transform_implILb0ES3_S5_N6thrust23THRUST_200600_302600_NS17counting_iteratorIxNS8_11use_defaultESA_SA_EEPlZNS1_13binary_searchIS3_S5_PxSB_SC_NS1_21upper_bound_search_opENS8_6detail16wrapped_functionINS0_4lessIvEEbEEEE10hipError_tPvRmT1_T2_T3_mmT4_T5_P12ihipStream_tbEUlRKxE_EESL_SP_SQ_mSR_SU_bEUlT_E_NS1_11comp_targetILNS1_3genE8ELNS1_11target_archE1030ELNS1_3gpuE2ELNS1_3repE0EEENS1_30default_config_static_selectorELNS0_4arch9wavefront6targetE1EEEvSO_
    .private_segment_fixed_size: 0
    .sgpr_count:     4
    .sgpr_spill_count: 0
    .symbol:         _ZN7rocprim17ROCPRIM_400000_NS6detail17trampoline_kernelINS0_14default_configENS1_27upper_bound_config_selectorIxlEEZNS1_14transform_implILb0ES3_S5_N6thrust23THRUST_200600_302600_NS17counting_iteratorIxNS8_11use_defaultESA_SA_EEPlZNS1_13binary_searchIS3_S5_PxSB_SC_NS1_21upper_bound_search_opENS8_6detail16wrapped_functionINS0_4lessIvEEbEEEE10hipError_tPvRmT1_T2_T3_mmT4_T5_P12ihipStream_tbEUlRKxE_EESL_SP_SQ_mSR_SU_bEUlT_E_NS1_11comp_targetILNS1_3genE8ELNS1_11target_archE1030ELNS1_3gpuE2ELNS1_3repE0EEENS1_30default_config_static_selectorELNS0_4arch9wavefront6targetE1EEEvSO_.kd
    .uniform_work_group_size: 1
    .uses_dynamic_stack: false
    .vgpr_count:     0
    .vgpr_spill_count: 0
    .wavefront_size: 64
  - .agpr_count:     0
    .args:
      - .offset:         0
        .size:           8
        .value_kind:     by_value
      - .address_space:  global
        .offset:         8
        .size:           8
        .value_kind:     global_buffer
      - .address_space:  global
        .offset:         16
        .size:           8
        .value_kind:     global_buffer
    .group_segment_fixed_size: 0
    .kernarg_segment_align: 8
    .kernarg_segment_size: 24
    .language:       OpenCL C
    .language_version:
      - 2
      - 0
    .max_flat_workgroup_size: 256
    .name:           _Z18upper_bound_kernelIiEvmPT_Pl
    .private_segment_fixed_size: 0
    .sgpr_count:     23
    .sgpr_spill_count: 0
    .symbol:         _Z18upper_bound_kernelIiEvmPT_Pl.kd
    .uniform_work_group_size: 1
    .uses_dynamic_stack: false
    .vgpr_count:     4
    .vgpr_spill_count: 0
    .wavefront_size: 64
  - .agpr_count:     0
    .args:
      - .offset:         0
        .size:           56
        .value_kind:     by_value
    .group_segment_fixed_size: 0
    .kernarg_segment_align: 8
    .kernarg_segment_size: 56
    .language:       OpenCL C
    .language_version:
      - 2
      - 0
    .max_flat_workgroup_size: 256
    .name:           _ZN7rocprim17ROCPRIM_400000_NS6detail17trampoline_kernelINS0_14default_configENS1_27upper_bound_config_selectorIilEEZNS1_14transform_implILb0ES3_S5_N6thrust23THRUST_200600_302600_NS17counting_iteratorIiNS8_11use_defaultESA_SA_EEPlZNS1_13binary_searchIS3_S5_PiSB_SC_NS1_21upper_bound_search_opENS8_6detail16wrapped_functionINS0_4lessIvEEbEEEE10hipError_tPvRmT1_T2_T3_mmT4_T5_P12ihipStream_tbEUlRKiE_EESL_SP_SQ_mSR_SU_bEUlT_E_NS1_11comp_targetILNS1_3genE0ELNS1_11target_archE4294967295ELNS1_3gpuE0ELNS1_3repE0EEENS1_30default_config_static_selectorELNS0_4arch9wavefront6targetE1EEEvSO_
    .private_segment_fixed_size: 0
    .sgpr_count:     4
    .sgpr_spill_count: 0
    .symbol:         _ZN7rocprim17ROCPRIM_400000_NS6detail17trampoline_kernelINS0_14default_configENS1_27upper_bound_config_selectorIilEEZNS1_14transform_implILb0ES3_S5_N6thrust23THRUST_200600_302600_NS17counting_iteratorIiNS8_11use_defaultESA_SA_EEPlZNS1_13binary_searchIS3_S5_PiSB_SC_NS1_21upper_bound_search_opENS8_6detail16wrapped_functionINS0_4lessIvEEbEEEE10hipError_tPvRmT1_T2_T3_mmT4_T5_P12ihipStream_tbEUlRKiE_EESL_SP_SQ_mSR_SU_bEUlT_E_NS1_11comp_targetILNS1_3genE0ELNS1_11target_archE4294967295ELNS1_3gpuE0ELNS1_3repE0EEENS1_30default_config_static_selectorELNS0_4arch9wavefront6targetE1EEEvSO_.kd
    .uniform_work_group_size: 1
    .uses_dynamic_stack: false
    .vgpr_count:     0
    .vgpr_spill_count: 0
    .wavefront_size: 64
  - .agpr_count:     0
    .args:
      - .offset:         0
        .size:           56
        .value_kind:     by_value
    .group_segment_fixed_size: 0
    .kernarg_segment_align: 8
    .kernarg_segment_size: 56
    .language:       OpenCL C
    .language_version:
      - 2
      - 0
    .max_flat_workgroup_size: 256
    .name:           _ZN7rocprim17ROCPRIM_400000_NS6detail17trampoline_kernelINS0_14default_configENS1_27upper_bound_config_selectorIilEEZNS1_14transform_implILb0ES3_S5_N6thrust23THRUST_200600_302600_NS17counting_iteratorIiNS8_11use_defaultESA_SA_EEPlZNS1_13binary_searchIS3_S5_PiSB_SC_NS1_21upper_bound_search_opENS8_6detail16wrapped_functionINS0_4lessIvEEbEEEE10hipError_tPvRmT1_T2_T3_mmT4_T5_P12ihipStream_tbEUlRKiE_EESL_SP_SQ_mSR_SU_bEUlT_E_NS1_11comp_targetILNS1_3genE5ELNS1_11target_archE942ELNS1_3gpuE9ELNS1_3repE0EEENS1_30default_config_static_selectorELNS0_4arch9wavefront6targetE1EEEvSO_
    .private_segment_fixed_size: 0
    .sgpr_count:     4
    .sgpr_spill_count: 0
    .symbol:         _ZN7rocprim17ROCPRIM_400000_NS6detail17trampoline_kernelINS0_14default_configENS1_27upper_bound_config_selectorIilEEZNS1_14transform_implILb0ES3_S5_N6thrust23THRUST_200600_302600_NS17counting_iteratorIiNS8_11use_defaultESA_SA_EEPlZNS1_13binary_searchIS3_S5_PiSB_SC_NS1_21upper_bound_search_opENS8_6detail16wrapped_functionINS0_4lessIvEEbEEEE10hipError_tPvRmT1_T2_T3_mmT4_T5_P12ihipStream_tbEUlRKiE_EESL_SP_SQ_mSR_SU_bEUlT_E_NS1_11comp_targetILNS1_3genE5ELNS1_11target_archE942ELNS1_3gpuE9ELNS1_3repE0EEENS1_30default_config_static_selectorELNS0_4arch9wavefront6targetE1EEEvSO_.kd
    .uniform_work_group_size: 1
    .uses_dynamic_stack: false
    .vgpr_count:     0
    .vgpr_spill_count: 0
    .wavefront_size: 64
  - .agpr_count:     0
    .args:
      - .offset:         0
        .size:           56
        .value_kind:     by_value
      - .offset:         56
        .size:           4
        .value_kind:     hidden_block_count_x
      - .offset:         60
        .size:           4
        .value_kind:     hidden_block_count_y
      - .offset:         64
        .size:           4
        .value_kind:     hidden_block_count_z
      - .offset:         68
        .size:           2
        .value_kind:     hidden_group_size_x
      - .offset:         70
        .size:           2
        .value_kind:     hidden_group_size_y
      - .offset:         72
        .size:           2
        .value_kind:     hidden_group_size_z
      - .offset:         74
        .size:           2
        .value_kind:     hidden_remainder_x
      - .offset:         76
        .size:           2
        .value_kind:     hidden_remainder_y
      - .offset:         78
        .size:           2
        .value_kind:     hidden_remainder_z
      - .offset:         96
        .size:           8
        .value_kind:     hidden_global_offset_x
      - .offset:         104
        .size:           8
        .value_kind:     hidden_global_offset_y
      - .offset:         112
        .size:           8
        .value_kind:     hidden_global_offset_z
      - .offset:         120
        .size:           2
        .value_kind:     hidden_grid_dims
    .group_segment_fixed_size: 0
    .kernarg_segment_align: 8
    .kernarg_segment_size: 312
    .language:       OpenCL C
    .language_version:
      - 2
      - 0
    .max_flat_workgroup_size: 256
    .name:           _ZN7rocprim17ROCPRIM_400000_NS6detail17trampoline_kernelINS0_14default_configENS1_27upper_bound_config_selectorIilEEZNS1_14transform_implILb0ES3_S5_N6thrust23THRUST_200600_302600_NS17counting_iteratorIiNS8_11use_defaultESA_SA_EEPlZNS1_13binary_searchIS3_S5_PiSB_SC_NS1_21upper_bound_search_opENS8_6detail16wrapped_functionINS0_4lessIvEEbEEEE10hipError_tPvRmT1_T2_T3_mmT4_T5_P12ihipStream_tbEUlRKiE_EESL_SP_SQ_mSR_SU_bEUlT_E_NS1_11comp_targetILNS1_3genE4ELNS1_11target_archE910ELNS1_3gpuE8ELNS1_3repE0EEENS1_30default_config_static_selectorELNS0_4arch9wavefront6targetE1EEEvSO_
    .private_segment_fixed_size: 0
    .sgpr_count:     21
    .sgpr_spill_count: 0
    .symbol:         _ZN7rocprim17ROCPRIM_400000_NS6detail17trampoline_kernelINS0_14default_configENS1_27upper_bound_config_selectorIilEEZNS1_14transform_implILb0ES3_S5_N6thrust23THRUST_200600_302600_NS17counting_iteratorIiNS8_11use_defaultESA_SA_EEPlZNS1_13binary_searchIS3_S5_PiSB_SC_NS1_21upper_bound_search_opENS8_6detail16wrapped_functionINS0_4lessIvEEbEEEE10hipError_tPvRmT1_T2_T3_mmT4_T5_P12ihipStream_tbEUlRKiE_EESL_SP_SQ_mSR_SU_bEUlT_E_NS1_11comp_targetILNS1_3genE4ELNS1_11target_archE910ELNS1_3gpuE8ELNS1_3repE0EEENS1_30default_config_static_selectorELNS0_4arch9wavefront6targetE1EEEvSO_.kd
    .uniform_work_group_size: 1
    .uses_dynamic_stack: false
    .vgpr_count:     12
    .vgpr_spill_count: 0
    .wavefront_size: 64
  - .agpr_count:     0
    .args:
      - .offset:         0
        .size:           56
        .value_kind:     by_value
    .group_segment_fixed_size: 0
    .kernarg_segment_align: 8
    .kernarg_segment_size: 56
    .language:       OpenCL C
    .language_version:
      - 2
      - 0
    .max_flat_workgroup_size: 256
    .name:           _ZN7rocprim17ROCPRIM_400000_NS6detail17trampoline_kernelINS0_14default_configENS1_27upper_bound_config_selectorIilEEZNS1_14transform_implILb0ES3_S5_N6thrust23THRUST_200600_302600_NS17counting_iteratorIiNS8_11use_defaultESA_SA_EEPlZNS1_13binary_searchIS3_S5_PiSB_SC_NS1_21upper_bound_search_opENS8_6detail16wrapped_functionINS0_4lessIvEEbEEEE10hipError_tPvRmT1_T2_T3_mmT4_T5_P12ihipStream_tbEUlRKiE_EESL_SP_SQ_mSR_SU_bEUlT_E_NS1_11comp_targetILNS1_3genE3ELNS1_11target_archE908ELNS1_3gpuE7ELNS1_3repE0EEENS1_30default_config_static_selectorELNS0_4arch9wavefront6targetE1EEEvSO_
    .private_segment_fixed_size: 0
    .sgpr_count:     4
    .sgpr_spill_count: 0
    .symbol:         _ZN7rocprim17ROCPRIM_400000_NS6detail17trampoline_kernelINS0_14default_configENS1_27upper_bound_config_selectorIilEEZNS1_14transform_implILb0ES3_S5_N6thrust23THRUST_200600_302600_NS17counting_iteratorIiNS8_11use_defaultESA_SA_EEPlZNS1_13binary_searchIS3_S5_PiSB_SC_NS1_21upper_bound_search_opENS8_6detail16wrapped_functionINS0_4lessIvEEbEEEE10hipError_tPvRmT1_T2_T3_mmT4_T5_P12ihipStream_tbEUlRKiE_EESL_SP_SQ_mSR_SU_bEUlT_E_NS1_11comp_targetILNS1_3genE3ELNS1_11target_archE908ELNS1_3gpuE7ELNS1_3repE0EEENS1_30default_config_static_selectorELNS0_4arch9wavefront6targetE1EEEvSO_.kd
    .uniform_work_group_size: 1
    .uses_dynamic_stack: false
    .vgpr_count:     0
    .vgpr_spill_count: 0
    .wavefront_size: 64
  - .agpr_count:     0
    .args:
      - .offset:         0
        .size:           56
        .value_kind:     by_value
    .group_segment_fixed_size: 0
    .kernarg_segment_align: 8
    .kernarg_segment_size: 56
    .language:       OpenCL C
    .language_version:
      - 2
      - 0
    .max_flat_workgroup_size: 256
    .name:           _ZN7rocprim17ROCPRIM_400000_NS6detail17trampoline_kernelINS0_14default_configENS1_27upper_bound_config_selectorIilEEZNS1_14transform_implILb0ES3_S5_N6thrust23THRUST_200600_302600_NS17counting_iteratorIiNS8_11use_defaultESA_SA_EEPlZNS1_13binary_searchIS3_S5_PiSB_SC_NS1_21upper_bound_search_opENS8_6detail16wrapped_functionINS0_4lessIvEEbEEEE10hipError_tPvRmT1_T2_T3_mmT4_T5_P12ihipStream_tbEUlRKiE_EESL_SP_SQ_mSR_SU_bEUlT_E_NS1_11comp_targetILNS1_3genE2ELNS1_11target_archE906ELNS1_3gpuE6ELNS1_3repE0EEENS1_30default_config_static_selectorELNS0_4arch9wavefront6targetE1EEEvSO_
    .private_segment_fixed_size: 0
    .sgpr_count:     4
    .sgpr_spill_count: 0
    .symbol:         _ZN7rocprim17ROCPRIM_400000_NS6detail17trampoline_kernelINS0_14default_configENS1_27upper_bound_config_selectorIilEEZNS1_14transform_implILb0ES3_S5_N6thrust23THRUST_200600_302600_NS17counting_iteratorIiNS8_11use_defaultESA_SA_EEPlZNS1_13binary_searchIS3_S5_PiSB_SC_NS1_21upper_bound_search_opENS8_6detail16wrapped_functionINS0_4lessIvEEbEEEE10hipError_tPvRmT1_T2_T3_mmT4_T5_P12ihipStream_tbEUlRKiE_EESL_SP_SQ_mSR_SU_bEUlT_E_NS1_11comp_targetILNS1_3genE2ELNS1_11target_archE906ELNS1_3gpuE6ELNS1_3repE0EEENS1_30default_config_static_selectorELNS0_4arch9wavefront6targetE1EEEvSO_.kd
    .uniform_work_group_size: 1
    .uses_dynamic_stack: false
    .vgpr_count:     0
    .vgpr_spill_count: 0
    .wavefront_size: 64
  - .agpr_count:     0
    .args:
      - .offset:         0
        .size:           56
        .value_kind:     by_value
    .group_segment_fixed_size: 0
    .kernarg_segment_align: 8
    .kernarg_segment_size: 56
    .language:       OpenCL C
    .language_version:
      - 2
      - 0
    .max_flat_workgroup_size: 128
    .name:           _ZN7rocprim17ROCPRIM_400000_NS6detail17trampoline_kernelINS0_14default_configENS1_27upper_bound_config_selectorIilEEZNS1_14transform_implILb0ES3_S5_N6thrust23THRUST_200600_302600_NS17counting_iteratorIiNS8_11use_defaultESA_SA_EEPlZNS1_13binary_searchIS3_S5_PiSB_SC_NS1_21upper_bound_search_opENS8_6detail16wrapped_functionINS0_4lessIvEEbEEEE10hipError_tPvRmT1_T2_T3_mmT4_T5_P12ihipStream_tbEUlRKiE_EESL_SP_SQ_mSR_SU_bEUlT_E_NS1_11comp_targetILNS1_3genE10ELNS1_11target_archE1201ELNS1_3gpuE5ELNS1_3repE0EEENS1_30default_config_static_selectorELNS0_4arch9wavefront6targetE1EEEvSO_
    .private_segment_fixed_size: 0
    .sgpr_count:     4
    .sgpr_spill_count: 0
    .symbol:         _ZN7rocprim17ROCPRIM_400000_NS6detail17trampoline_kernelINS0_14default_configENS1_27upper_bound_config_selectorIilEEZNS1_14transform_implILb0ES3_S5_N6thrust23THRUST_200600_302600_NS17counting_iteratorIiNS8_11use_defaultESA_SA_EEPlZNS1_13binary_searchIS3_S5_PiSB_SC_NS1_21upper_bound_search_opENS8_6detail16wrapped_functionINS0_4lessIvEEbEEEE10hipError_tPvRmT1_T2_T3_mmT4_T5_P12ihipStream_tbEUlRKiE_EESL_SP_SQ_mSR_SU_bEUlT_E_NS1_11comp_targetILNS1_3genE10ELNS1_11target_archE1201ELNS1_3gpuE5ELNS1_3repE0EEENS1_30default_config_static_selectorELNS0_4arch9wavefront6targetE1EEEvSO_.kd
    .uniform_work_group_size: 1
    .uses_dynamic_stack: false
    .vgpr_count:     0
    .vgpr_spill_count: 0
    .wavefront_size: 64
  - .agpr_count:     0
    .args:
      - .offset:         0
        .size:           56
        .value_kind:     by_value
    .group_segment_fixed_size: 0
    .kernarg_segment_align: 8
    .kernarg_segment_size: 56
    .language:       OpenCL C
    .language_version:
      - 2
      - 0
    .max_flat_workgroup_size: 128
    .name:           _ZN7rocprim17ROCPRIM_400000_NS6detail17trampoline_kernelINS0_14default_configENS1_27upper_bound_config_selectorIilEEZNS1_14transform_implILb0ES3_S5_N6thrust23THRUST_200600_302600_NS17counting_iteratorIiNS8_11use_defaultESA_SA_EEPlZNS1_13binary_searchIS3_S5_PiSB_SC_NS1_21upper_bound_search_opENS8_6detail16wrapped_functionINS0_4lessIvEEbEEEE10hipError_tPvRmT1_T2_T3_mmT4_T5_P12ihipStream_tbEUlRKiE_EESL_SP_SQ_mSR_SU_bEUlT_E_NS1_11comp_targetILNS1_3genE10ELNS1_11target_archE1200ELNS1_3gpuE4ELNS1_3repE0EEENS1_30default_config_static_selectorELNS0_4arch9wavefront6targetE1EEEvSO_
    .private_segment_fixed_size: 0
    .sgpr_count:     4
    .sgpr_spill_count: 0
    .symbol:         _ZN7rocprim17ROCPRIM_400000_NS6detail17trampoline_kernelINS0_14default_configENS1_27upper_bound_config_selectorIilEEZNS1_14transform_implILb0ES3_S5_N6thrust23THRUST_200600_302600_NS17counting_iteratorIiNS8_11use_defaultESA_SA_EEPlZNS1_13binary_searchIS3_S5_PiSB_SC_NS1_21upper_bound_search_opENS8_6detail16wrapped_functionINS0_4lessIvEEbEEEE10hipError_tPvRmT1_T2_T3_mmT4_T5_P12ihipStream_tbEUlRKiE_EESL_SP_SQ_mSR_SU_bEUlT_E_NS1_11comp_targetILNS1_3genE10ELNS1_11target_archE1200ELNS1_3gpuE4ELNS1_3repE0EEENS1_30default_config_static_selectorELNS0_4arch9wavefront6targetE1EEEvSO_.kd
    .uniform_work_group_size: 1
    .uses_dynamic_stack: false
    .vgpr_count:     0
    .vgpr_spill_count: 0
    .wavefront_size: 64
  - .agpr_count:     0
    .args:
      - .offset:         0
        .size:           56
        .value_kind:     by_value
    .group_segment_fixed_size: 0
    .kernarg_segment_align: 8
    .kernarg_segment_size: 56
    .language:       OpenCL C
    .language_version:
      - 2
      - 0
    .max_flat_workgroup_size: 256
    .name:           _ZN7rocprim17ROCPRIM_400000_NS6detail17trampoline_kernelINS0_14default_configENS1_27upper_bound_config_selectorIilEEZNS1_14transform_implILb0ES3_S5_N6thrust23THRUST_200600_302600_NS17counting_iteratorIiNS8_11use_defaultESA_SA_EEPlZNS1_13binary_searchIS3_S5_PiSB_SC_NS1_21upper_bound_search_opENS8_6detail16wrapped_functionINS0_4lessIvEEbEEEE10hipError_tPvRmT1_T2_T3_mmT4_T5_P12ihipStream_tbEUlRKiE_EESL_SP_SQ_mSR_SU_bEUlT_E_NS1_11comp_targetILNS1_3genE9ELNS1_11target_archE1100ELNS1_3gpuE3ELNS1_3repE0EEENS1_30default_config_static_selectorELNS0_4arch9wavefront6targetE1EEEvSO_
    .private_segment_fixed_size: 0
    .sgpr_count:     4
    .sgpr_spill_count: 0
    .symbol:         _ZN7rocprim17ROCPRIM_400000_NS6detail17trampoline_kernelINS0_14default_configENS1_27upper_bound_config_selectorIilEEZNS1_14transform_implILb0ES3_S5_N6thrust23THRUST_200600_302600_NS17counting_iteratorIiNS8_11use_defaultESA_SA_EEPlZNS1_13binary_searchIS3_S5_PiSB_SC_NS1_21upper_bound_search_opENS8_6detail16wrapped_functionINS0_4lessIvEEbEEEE10hipError_tPvRmT1_T2_T3_mmT4_T5_P12ihipStream_tbEUlRKiE_EESL_SP_SQ_mSR_SU_bEUlT_E_NS1_11comp_targetILNS1_3genE9ELNS1_11target_archE1100ELNS1_3gpuE3ELNS1_3repE0EEENS1_30default_config_static_selectorELNS0_4arch9wavefront6targetE1EEEvSO_.kd
    .uniform_work_group_size: 1
    .uses_dynamic_stack: false
    .vgpr_count:     0
    .vgpr_spill_count: 0
    .wavefront_size: 64
  - .agpr_count:     0
    .args:
      - .offset:         0
        .size:           56
        .value_kind:     by_value
    .group_segment_fixed_size: 0
    .kernarg_segment_align: 8
    .kernarg_segment_size: 56
    .language:       OpenCL C
    .language_version:
      - 2
      - 0
    .max_flat_workgroup_size: 256
    .name:           _ZN7rocprim17ROCPRIM_400000_NS6detail17trampoline_kernelINS0_14default_configENS1_27upper_bound_config_selectorIilEEZNS1_14transform_implILb0ES3_S5_N6thrust23THRUST_200600_302600_NS17counting_iteratorIiNS8_11use_defaultESA_SA_EEPlZNS1_13binary_searchIS3_S5_PiSB_SC_NS1_21upper_bound_search_opENS8_6detail16wrapped_functionINS0_4lessIvEEbEEEE10hipError_tPvRmT1_T2_T3_mmT4_T5_P12ihipStream_tbEUlRKiE_EESL_SP_SQ_mSR_SU_bEUlT_E_NS1_11comp_targetILNS1_3genE8ELNS1_11target_archE1030ELNS1_3gpuE2ELNS1_3repE0EEENS1_30default_config_static_selectorELNS0_4arch9wavefront6targetE1EEEvSO_
    .private_segment_fixed_size: 0
    .sgpr_count:     4
    .sgpr_spill_count: 0
    .symbol:         _ZN7rocprim17ROCPRIM_400000_NS6detail17trampoline_kernelINS0_14default_configENS1_27upper_bound_config_selectorIilEEZNS1_14transform_implILb0ES3_S5_N6thrust23THRUST_200600_302600_NS17counting_iteratorIiNS8_11use_defaultESA_SA_EEPlZNS1_13binary_searchIS3_S5_PiSB_SC_NS1_21upper_bound_search_opENS8_6detail16wrapped_functionINS0_4lessIvEEbEEEE10hipError_tPvRmT1_T2_T3_mmT4_T5_P12ihipStream_tbEUlRKiE_EESL_SP_SQ_mSR_SU_bEUlT_E_NS1_11comp_targetILNS1_3genE8ELNS1_11target_archE1030ELNS1_3gpuE2ELNS1_3repE0EEENS1_30default_config_static_selectorELNS0_4arch9wavefront6targetE1EEEvSO_.kd
    .uniform_work_group_size: 1
    .uses_dynamic_stack: false
    .vgpr_count:     0
    .vgpr_spill_count: 0
    .wavefront_size: 64
  - .agpr_count:     0
    .args:
      - .offset:         0
        .size:           8
        .value_kind:     by_value
      - .address_space:  global
        .offset:         8
        .size:           8
        .value_kind:     global_buffer
      - .address_space:  global
        .offset:         16
        .size:           8
        .value_kind:     global_buffer
    .group_segment_fixed_size: 0
    .kernarg_segment_align: 8
    .kernarg_segment_size: 24
    .language:       OpenCL C
    .language_version:
      - 2
      - 0
    .max_flat_workgroup_size: 256
    .name:           _Z18upper_bound_kernelIsEvmPT_Pl
    .private_segment_fixed_size: 0
    .sgpr_count:     23
    .sgpr_spill_count: 0
    .symbol:         _Z18upper_bound_kernelIsEvmPT_Pl.kd
    .uniform_work_group_size: 1
    .uses_dynamic_stack: false
    .vgpr_count:     4
    .vgpr_spill_count: 0
    .wavefront_size: 64
  - .agpr_count:     0
    .args:
      - .offset:         0
        .size:           56
        .value_kind:     by_value
    .group_segment_fixed_size: 0
    .kernarg_segment_align: 8
    .kernarg_segment_size: 56
    .language:       OpenCL C
    .language_version:
      - 2
      - 0
    .max_flat_workgroup_size: 128
    .name:           _ZN7rocprim17ROCPRIM_400000_NS6detail17trampoline_kernelINS0_14default_configENS1_27upper_bound_config_selectorIslEEZNS1_14transform_implILb0ES3_S5_N6thrust23THRUST_200600_302600_NS17counting_iteratorIsNS8_11use_defaultESA_SA_EEPlZNS1_13binary_searchIS3_S5_PsSB_SC_NS1_21upper_bound_search_opENS8_6detail16wrapped_functionINS0_4lessIvEEbEEEE10hipError_tPvRmT1_T2_T3_mmT4_T5_P12ihipStream_tbEUlRKsE_EESL_SP_SQ_mSR_SU_bEUlT_E_NS1_11comp_targetILNS1_3genE0ELNS1_11target_archE4294967295ELNS1_3gpuE0ELNS1_3repE0EEENS1_30default_config_static_selectorELNS0_4arch9wavefront6targetE1EEEvSO_
    .private_segment_fixed_size: 0
    .sgpr_count:     4
    .sgpr_spill_count: 0
    .symbol:         _ZN7rocprim17ROCPRIM_400000_NS6detail17trampoline_kernelINS0_14default_configENS1_27upper_bound_config_selectorIslEEZNS1_14transform_implILb0ES3_S5_N6thrust23THRUST_200600_302600_NS17counting_iteratorIsNS8_11use_defaultESA_SA_EEPlZNS1_13binary_searchIS3_S5_PsSB_SC_NS1_21upper_bound_search_opENS8_6detail16wrapped_functionINS0_4lessIvEEbEEEE10hipError_tPvRmT1_T2_T3_mmT4_T5_P12ihipStream_tbEUlRKsE_EESL_SP_SQ_mSR_SU_bEUlT_E_NS1_11comp_targetILNS1_3genE0ELNS1_11target_archE4294967295ELNS1_3gpuE0ELNS1_3repE0EEENS1_30default_config_static_selectorELNS0_4arch9wavefront6targetE1EEEvSO_.kd
    .uniform_work_group_size: 1
    .uses_dynamic_stack: false
    .vgpr_count:     0
    .vgpr_spill_count: 0
    .wavefront_size: 64
  - .agpr_count:     0
    .args:
      - .offset:         0
        .size:           56
        .value_kind:     by_value
    .group_segment_fixed_size: 0
    .kernarg_segment_align: 8
    .kernarg_segment_size: 56
    .language:       OpenCL C
    .language_version:
      - 2
      - 0
    .max_flat_workgroup_size: 256
    .name:           _ZN7rocprim17ROCPRIM_400000_NS6detail17trampoline_kernelINS0_14default_configENS1_27upper_bound_config_selectorIslEEZNS1_14transform_implILb0ES3_S5_N6thrust23THRUST_200600_302600_NS17counting_iteratorIsNS8_11use_defaultESA_SA_EEPlZNS1_13binary_searchIS3_S5_PsSB_SC_NS1_21upper_bound_search_opENS8_6detail16wrapped_functionINS0_4lessIvEEbEEEE10hipError_tPvRmT1_T2_T3_mmT4_T5_P12ihipStream_tbEUlRKsE_EESL_SP_SQ_mSR_SU_bEUlT_E_NS1_11comp_targetILNS1_3genE5ELNS1_11target_archE942ELNS1_3gpuE9ELNS1_3repE0EEENS1_30default_config_static_selectorELNS0_4arch9wavefront6targetE1EEEvSO_
    .private_segment_fixed_size: 0
    .sgpr_count:     4
    .sgpr_spill_count: 0
    .symbol:         _ZN7rocprim17ROCPRIM_400000_NS6detail17trampoline_kernelINS0_14default_configENS1_27upper_bound_config_selectorIslEEZNS1_14transform_implILb0ES3_S5_N6thrust23THRUST_200600_302600_NS17counting_iteratorIsNS8_11use_defaultESA_SA_EEPlZNS1_13binary_searchIS3_S5_PsSB_SC_NS1_21upper_bound_search_opENS8_6detail16wrapped_functionINS0_4lessIvEEbEEEE10hipError_tPvRmT1_T2_T3_mmT4_T5_P12ihipStream_tbEUlRKsE_EESL_SP_SQ_mSR_SU_bEUlT_E_NS1_11comp_targetILNS1_3genE5ELNS1_11target_archE942ELNS1_3gpuE9ELNS1_3repE0EEENS1_30default_config_static_selectorELNS0_4arch9wavefront6targetE1EEEvSO_.kd
    .uniform_work_group_size: 1
    .uses_dynamic_stack: false
    .vgpr_count:     0
    .vgpr_spill_count: 0
    .wavefront_size: 64
  - .agpr_count:     0
    .args:
      - .offset:         0
        .size:           56
        .value_kind:     by_value
      - .offset:         56
        .size:           4
        .value_kind:     hidden_block_count_x
      - .offset:         60
        .size:           4
        .value_kind:     hidden_block_count_y
      - .offset:         64
        .size:           4
        .value_kind:     hidden_block_count_z
      - .offset:         68
        .size:           2
        .value_kind:     hidden_group_size_x
      - .offset:         70
        .size:           2
        .value_kind:     hidden_group_size_y
      - .offset:         72
        .size:           2
        .value_kind:     hidden_group_size_z
      - .offset:         74
        .size:           2
        .value_kind:     hidden_remainder_x
      - .offset:         76
        .size:           2
        .value_kind:     hidden_remainder_y
      - .offset:         78
        .size:           2
        .value_kind:     hidden_remainder_z
      - .offset:         96
        .size:           8
        .value_kind:     hidden_global_offset_x
      - .offset:         104
        .size:           8
        .value_kind:     hidden_global_offset_y
      - .offset:         112
        .size:           8
        .value_kind:     hidden_global_offset_z
      - .offset:         120
        .size:           2
        .value_kind:     hidden_grid_dims
    .group_segment_fixed_size: 0
    .kernarg_segment_align: 8
    .kernarg_segment_size: 312
    .language:       OpenCL C
    .language_version:
      - 2
      - 0
    .max_flat_workgroup_size: 256
    .name:           _ZN7rocprim17ROCPRIM_400000_NS6detail17trampoline_kernelINS0_14default_configENS1_27upper_bound_config_selectorIslEEZNS1_14transform_implILb0ES3_S5_N6thrust23THRUST_200600_302600_NS17counting_iteratorIsNS8_11use_defaultESA_SA_EEPlZNS1_13binary_searchIS3_S5_PsSB_SC_NS1_21upper_bound_search_opENS8_6detail16wrapped_functionINS0_4lessIvEEbEEEE10hipError_tPvRmT1_T2_T3_mmT4_T5_P12ihipStream_tbEUlRKsE_EESL_SP_SQ_mSR_SU_bEUlT_E_NS1_11comp_targetILNS1_3genE4ELNS1_11target_archE910ELNS1_3gpuE8ELNS1_3repE0EEENS1_30default_config_static_selectorELNS0_4arch9wavefront6targetE1EEEvSO_
    .private_segment_fixed_size: 0
    .sgpr_count:     21
    .sgpr_spill_count: 0
    .symbol:         _ZN7rocprim17ROCPRIM_400000_NS6detail17trampoline_kernelINS0_14default_configENS1_27upper_bound_config_selectorIslEEZNS1_14transform_implILb0ES3_S5_N6thrust23THRUST_200600_302600_NS17counting_iteratorIsNS8_11use_defaultESA_SA_EEPlZNS1_13binary_searchIS3_S5_PsSB_SC_NS1_21upper_bound_search_opENS8_6detail16wrapped_functionINS0_4lessIvEEbEEEE10hipError_tPvRmT1_T2_T3_mmT4_T5_P12ihipStream_tbEUlRKsE_EESL_SP_SQ_mSR_SU_bEUlT_E_NS1_11comp_targetILNS1_3genE4ELNS1_11target_archE910ELNS1_3gpuE8ELNS1_3repE0EEENS1_30default_config_static_selectorELNS0_4arch9wavefront6targetE1EEEvSO_.kd
    .uniform_work_group_size: 1
    .uses_dynamic_stack: false
    .vgpr_count:     12
    .vgpr_spill_count: 0
    .wavefront_size: 64
  - .agpr_count:     0
    .args:
      - .offset:         0
        .size:           56
        .value_kind:     by_value
    .group_segment_fixed_size: 0
    .kernarg_segment_align: 8
    .kernarg_segment_size: 56
    .language:       OpenCL C
    .language_version:
      - 2
      - 0
    .max_flat_workgroup_size: 128
    .name:           _ZN7rocprim17ROCPRIM_400000_NS6detail17trampoline_kernelINS0_14default_configENS1_27upper_bound_config_selectorIslEEZNS1_14transform_implILb0ES3_S5_N6thrust23THRUST_200600_302600_NS17counting_iteratorIsNS8_11use_defaultESA_SA_EEPlZNS1_13binary_searchIS3_S5_PsSB_SC_NS1_21upper_bound_search_opENS8_6detail16wrapped_functionINS0_4lessIvEEbEEEE10hipError_tPvRmT1_T2_T3_mmT4_T5_P12ihipStream_tbEUlRKsE_EESL_SP_SQ_mSR_SU_bEUlT_E_NS1_11comp_targetILNS1_3genE3ELNS1_11target_archE908ELNS1_3gpuE7ELNS1_3repE0EEENS1_30default_config_static_selectorELNS0_4arch9wavefront6targetE1EEEvSO_
    .private_segment_fixed_size: 0
    .sgpr_count:     4
    .sgpr_spill_count: 0
    .symbol:         _ZN7rocprim17ROCPRIM_400000_NS6detail17trampoline_kernelINS0_14default_configENS1_27upper_bound_config_selectorIslEEZNS1_14transform_implILb0ES3_S5_N6thrust23THRUST_200600_302600_NS17counting_iteratorIsNS8_11use_defaultESA_SA_EEPlZNS1_13binary_searchIS3_S5_PsSB_SC_NS1_21upper_bound_search_opENS8_6detail16wrapped_functionINS0_4lessIvEEbEEEE10hipError_tPvRmT1_T2_T3_mmT4_T5_P12ihipStream_tbEUlRKsE_EESL_SP_SQ_mSR_SU_bEUlT_E_NS1_11comp_targetILNS1_3genE3ELNS1_11target_archE908ELNS1_3gpuE7ELNS1_3repE0EEENS1_30default_config_static_selectorELNS0_4arch9wavefront6targetE1EEEvSO_.kd
    .uniform_work_group_size: 1
    .uses_dynamic_stack: false
    .vgpr_count:     0
    .vgpr_spill_count: 0
    .wavefront_size: 64
  - .agpr_count:     0
    .args:
      - .offset:         0
        .size:           56
        .value_kind:     by_value
    .group_segment_fixed_size: 0
    .kernarg_segment_align: 8
    .kernarg_segment_size: 56
    .language:       OpenCL C
    .language_version:
      - 2
      - 0
    .max_flat_workgroup_size: 256
    .name:           _ZN7rocprim17ROCPRIM_400000_NS6detail17trampoline_kernelINS0_14default_configENS1_27upper_bound_config_selectorIslEEZNS1_14transform_implILb0ES3_S5_N6thrust23THRUST_200600_302600_NS17counting_iteratorIsNS8_11use_defaultESA_SA_EEPlZNS1_13binary_searchIS3_S5_PsSB_SC_NS1_21upper_bound_search_opENS8_6detail16wrapped_functionINS0_4lessIvEEbEEEE10hipError_tPvRmT1_T2_T3_mmT4_T5_P12ihipStream_tbEUlRKsE_EESL_SP_SQ_mSR_SU_bEUlT_E_NS1_11comp_targetILNS1_3genE2ELNS1_11target_archE906ELNS1_3gpuE6ELNS1_3repE0EEENS1_30default_config_static_selectorELNS0_4arch9wavefront6targetE1EEEvSO_
    .private_segment_fixed_size: 0
    .sgpr_count:     4
    .sgpr_spill_count: 0
    .symbol:         _ZN7rocprim17ROCPRIM_400000_NS6detail17trampoline_kernelINS0_14default_configENS1_27upper_bound_config_selectorIslEEZNS1_14transform_implILb0ES3_S5_N6thrust23THRUST_200600_302600_NS17counting_iteratorIsNS8_11use_defaultESA_SA_EEPlZNS1_13binary_searchIS3_S5_PsSB_SC_NS1_21upper_bound_search_opENS8_6detail16wrapped_functionINS0_4lessIvEEbEEEE10hipError_tPvRmT1_T2_T3_mmT4_T5_P12ihipStream_tbEUlRKsE_EESL_SP_SQ_mSR_SU_bEUlT_E_NS1_11comp_targetILNS1_3genE2ELNS1_11target_archE906ELNS1_3gpuE6ELNS1_3repE0EEENS1_30default_config_static_selectorELNS0_4arch9wavefront6targetE1EEEvSO_.kd
    .uniform_work_group_size: 1
    .uses_dynamic_stack: false
    .vgpr_count:     0
    .vgpr_spill_count: 0
    .wavefront_size: 64
  - .agpr_count:     0
    .args:
      - .offset:         0
        .size:           56
        .value_kind:     by_value
    .group_segment_fixed_size: 0
    .kernarg_segment_align: 8
    .kernarg_segment_size: 56
    .language:       OpenCL C
    .language_version:
      - 2
      - 0
    .max_flat_workgroup_size: 256
    .name:           _ZN7rocprim17ROCPRIM_400000_NS6detail17trampoline_kernelINS0_14default_configENS1_27upper_bound_config_selectorIslEEZNS1_14transform_implILb0ES3_S5_N6thrust23THRUST_200600_302600_NS17counting_iteratorIsNS8_11use_defaultESA_SA_EEPlZNS1_13binary_searchIS3_S5_PsSB_SC_NS1_21upper_bound_search_opENS8_6detail16wrapped_functionINS0_4lessIvEEbEEEE10hipError_tPvRmT1_T2_T3_mmT4_T5_P12ihipStream_tbEUlRKsE_EESL_SP_SQ_mSR_SU_bEUlT_E_NS1_11comp_targetILNS1_3genE10ELNS1_11target_archE1201ELNS1_3gpuE5ELNS1_3repE0EEENS1_30default_config_static_selectorELNS0_4arch9wavefront6targetE1EEEvSO_
    .private_segment_fixed_size: 0
    .sgpr_count:     4
    .sgpr_spill_count: 0
    .symbol:         _ZN7rocprim17ROCPRIM_400000_NS6detail17trampoline_kernelINS0_14default_configENS1_27upper_bound_config_selectorIslEEZNS1_14transform_implILb0ES3_S5_N6thrust23THRUST_200600_302600_NS17counting_iteratorIsNS8_11use_defaultESA_SA_EEPlZNS1_13binary_searchIS3_S5_PsSB_SC_NS1_21upper_bound_search_opENS8_6detail16wrapped_functionINS0_4lessIvEEbEEEE10hipError_tPvRmT1_T2_T3_mmT4_T5_P12ihipStream_tbEUlRKsE_EESL_SP_SQ_mSR_SU_bEUlT_E_NS1_11comp_targetILNS1_3genE10ELNS1_11target_archE1201ELNS1_3gpuE5ELNS1_3repE0EEENS1_30default_config_static_selectorELNS0_4arch9wavefront6targetE1EEEvSO_.kd
    .uniform_work_group_size: 1
    .uses_dynamic_stack: false
    .vgpr_count:     0
    .vgpr_spill_count: 0
    .wavefront_size: 64
  - .agpr_count:     0
    .args:
      - .offset:         0
        .size:           56
        .value_kind:     by_value
    .group_segment_fixed_size: 0
    .kernarg_segment_align: 8
    .kernarg_segment_size: 56
    .language:       OpenCL C
    .language_version:
      - 2
      - 0
    .max_flat_workgroup_size: 256
    .name:           _ZN7rocprim17ROCPRIM_400000_NS6detail17trampoline_kernelINS0_14default_configENS1_27upper_bound_config_selectorIslEEZNS1_14transform_implILb0ES3_S5_N6thrust23THRUST_200600_302600_NS17counting_iteratorIsNS8_11use_defaultESA_SA_EEPlZNS1_13binary_searchIS3_S5_PsSB_SC_NS1_21upper_bound_search_opENS8_6detail16wrapped_functionINS0_4lessIvEEbEEEE10hipError_tPvRmT1_T2_T3_mmT4_T5_P12ihipStream_tbEUlRKsE_EESL_SP_SQ_mSR_SU_bEUlT_E_NS1_11comp_targetILNS1_3genE10ELNS1_11target_archE1200ELNS1_3gpuE4ELNS1_3repE0EEENS1_30default_config_static_selectorELNS0_4arch9wavefront6targetE1EEEvSO_
    .private_segment_fixed_size: 0
    .sgpr_count:     4
    .sgpr_spill_count: 0
    .symbol:         _ZN7rocprim17ROCPRIM_400000_NS6detail17trampoline_kernelINS0_14default_configENS1_27upper_bound_config_selectorIslEEZNS1_14transform_implILb0ES3_S5_N6thrust23THRUST_200600_302600_NS17counting_iteratorIsNS8_11use_defaultESA_SA_EEPlZNS1_13binary_searchIS3_S5_PsSB_SC_NS1_21upper_bound_search_opENS8_6detail16wrapped_functionINS0_4lessIvEEbEEEE10hipError_tPvRmT1_T2_T3_mmT4_T5_P12ihipStream_tbEUlRKsE_EESL_SP_SQ_mSR_SU_bEUlT_E_NS1_11comp_targetILNS1_3genE10ELNS1_11target_archE1200ELNS1_3gpuE4ELNS1_3repE0EEENS1_30default_config_static_selectorELNS0_4arch9wavefront6targetE1EEEvSO_.kd
    .uniform_work_group_size: 1
    .uses_dynamic_stack: false
    .vgpr_count:     0
    .vgpr_spill_count: 0
    .wavefront_size: 64
  - .agpr_count:     0
    .args:
      - .offset:         0
        .size:           56
        .value_kind:     by_value
    .group_segment_fixed_size: 0
    .kernarg_segment_align: 8
    .kernarg_segment_size: 56
    .language:       OpenCL C
    .language_version:
      - 2
      - 0
    .max_flat_workgroup_size: 64
    .name:           _ZN7rocprim17ROCPRIM_400000_NS6detail17trampoline_kernelINS0_14default_configENS1_27upper_bound_config_selectorIslEEZNS1_14transform_implILb0ES3_S5_N6thrust23THRUST_200600_302600_NS17counting_iteratorIsNS8_11use_defaultESA_SA_EEPlZNS1_13binary_searchIS3_S5_PsSB_SC_NS1_21upper_bound_search_opENS8_6detail16wrapped_functionINS0_4lessIvEEbEEEE10hipError_tPvRmT1_T2_T3_mmT4_T5_P12ihipStream_tbEUlRKsE_EESL_SP_SQ_mSR_SU_bEUlT_E_NS1_11comp_targetILNS1_3genE9ELNS1_11target_archE1100ELNS1_3gpuE3ELNS1_3repE0EEENS1_30default_config_static_selectorELNS0_4arch9wavefront6targetE1EEEvSO_
    .private_segment_fixed_size: 0
    .sgpr_count:     4
    .sgpr_spill_count: 0
    .symbol:         _ZN7rocprim17ROCPRIM_400000_NS6detail17trampoline_kernelINS0_14default_configENS1_27upper_bound_config_selectorIslEEZNS1_14transform_implILb0ES3_S5_N6thrust23THRUST_200600_302600_NS17counting_iteratorIsNS8_11use_defaultESA_SA_EEPlZNS1_13binary_searchIS3_S5_PsSB_SC_NS1_21upper_bound_search_opENS8_6detail16wrapped_functionINS0_4lessIvEEbEEEE10hipError_tPvRmT1_T2_T3_mmT4_T5_P12ihipStream_tbEUlRKsE_EESL_SP_SQ_mSR_SU_bEUlT_E_NS1_11comp_targetILNS1_3genE9ELNS1_11target_archE1100ELNS1_3gpuE3ELNS1_3repE0EEENS1_30default_config_static_selectorELNS0_4arch9wavefront6targetE1EEEvSO_.kd
    .uniform_work_group_size: 1
    .uses_dynamic_stack: false
    .vgpr_count:     0
    .vgpr_spill_count: 0
    .wavefront_size: 64
  - .agpr_count:     0
    .args:
      - .offset:         0
        .size:           56
        .value_kind:     by_value
    .group_segment_fixed_size: 0
    .kernarg_segment_align: 8
    .kernarg_segment_size: 56
    .language:       OpenCL C
    .language_version:
      - 2
      - 0
    .max_flat_workgroup_size: 128
    .name:           _ZN7rocprim17ROCPRIM_400000_NS6detail17trampoline_kernelINS0_14default_configENS1_27upper_bound_config_selectorIslEEZNS1_14transform_implILb0ES3_S5_N6thrust23THRUST_200600_302600_NS17counting_iteratorIsNS8_11use_defaultESA_SA_EEPlZNS1_13binary_searchIS3_S5_PsSB_SC_NS1_21upper_bound_search_opENS8_6detail16wrapped_functionINS0_4lessIvEEbEEEE10hipError_tPvRmT1_T2_T3_mmT4_T5_P12ihipStream_tbEUlRKsE_EESL_SP_SQ_mSR_SU_bEUlT_E_NS1_11comp_targetILNS1_3genE8ELNS1_11target_archE1030ELNS1_3gpuE2ELNS1_3repE0EEENS1_30default_config_static_selectorELNS0_4arch9wavefront6targetE1EEEvSO_
    .private_segment_fixed_size: 0
    .sgpr_count:     4
    .sgpr_spill_count: 0
    .symbol:         _ZN7rocprim17ROCPRIM_400000_NS6detail17trampoline_kernelINS0_14default_configENS1_27upper_bound_config_selectorIslEEZNS1_14transform_implILb0ES3_S5_N6thrust23THRUST_200600_302600_NS17counting_iteratorIsNS8_11use_defaultESA_SA_EEPlZNS1_13binary_searchIS3_S5_PsSB_SC_NS1_21upper_bound_search_opENS8_6detail16wrapped_functionINS0_4lessIvEEbEEEE10hipError_tPvRmT1_T2_T3_mmT4_T5_P12ihipStream_tbEUlRKsE_EESL_SP_SQ_mSR_SU_bEUlT_E_NS1_11comp_targetILNS1_3genE8ELNS1_11target_archE1030ELNS1_3gpuE2ELNS1_3repE0EEENS1_30default_config_static_selectorELNS0_4arch9wavefront6targetE1EEEvSO_.kd
    .uniform_work_group_size: 1
    .uses_dynamic_stack: false
    .vgpr_count:     0
    .vgpr_spill_count: 0
    .wavefront_size: 64
  - .agpr_count:     0
    .args:
      - .offset:         0
        .size:           16
        .value_kind:     by_value
      - .offset:         16
        .size:           8
        .value_kind:     by_value
      - .offset:         24
        .size:           8
        .value_kind:     by_value
    .group_segment_fixed_size: 0
    .kernarg_segment_align: 8
    .kernarg_segment_size: 32
    .language:       OpenCL C
    .language_version:
      - 2
      - 0
    .max_flat_workgroup_size: 256
    .name:           _ZN6thrust23THRUST_200600_302600_NS11hip_rocprim14__parallel_for6kernelILj256ENS1_20__uninitialized_fill7functorINS0_10device_ptrIbEEbEEmLj1EEEvT0_T1_SA_
    .private_segment_fixed_size: 0
    .sgpr_count:     12
    .sgpr_spill_count: 0
    .symbol:         _ZN6thrust23THRUST_200600_302600_NS11hip_rocprim14__parallel_for6kernelILj256ENS1_20__uninitialized_fill7functorINS0_10device_ptrIbEEbEEmLj1EEEvT0_T1_SA_.kd
    .uniform_work_group_size: 1
    .uses_dynamic_stack: false
    .vgpr_count:     4
    .vgpr_spill_count: 0
    .wavefront_size: 64
  - .agpr_count:     0
    .args:
      - .offset:         0
        .size:           8
        .value_kind:     by_value
      - .address_space:  global
        .offset:         8
        .size:           8
        .value_kind:     global_buffer
      - .address_space:  global
        .offset:         16
        .size:           8
        .value_kind:     global_buffer
    .group_segment_fixed_size: 0
    .kernarg_segment_align: 8
    .kernarg_segment_size: 24
    .language:       OpenCL C
    .language_version:
      - 2
      - 0
    .max_flat_workgroup_size: 256
    .name:           _Z20binary_search_kernelIdEvmPT_Pb
    .private_segment_fixed_size: 0
    .sgpr_count:     27
    .sgpr_spill_count: 0
    .symbol:         _Z20binary_search_kernelIdEvmPT_Pb.kd
    .uniform_work_group_size: 1
    .uses_dynamic_stack: false
    .vgpr_count:     8
    .vgpr_spill_count: 0
    .wavefront_size: 64
  - .agpr_count:     0
    .args:
      - .offset:         0
        .size:           56
        .value_kind:     by_value
    .group_segment_fixed_size: 0
    .kernarg_segment_align: 8
    .kernarg_segment_size: 56
    .language:       OpenCL C
    .language_version:
      - 2
      - 0
    .max_flat_workgroup_size: 128
    .name:           _ZN7rocprim17ROCPRIM_400000_NS6detail17trampoline_kernelINS0_14default_configENS1_29binary_search_config_selectorIdbEEZNS1_14transform_implILb0ES3_S5_N6thrust23THRUST_200600_302600_NS17counting_iteratorIdNS8_11use_defaultESA_SA_EEPbZNS1_13binary_searchIS3_S5_PdSB_SC_NS1_16binary_search_opENS8_6detail16wrapped_functionINS0_4lessIvEEbEEEE10hipError_tPvRmT1_T2_T3_mmT4_T5_P12ihipStream_tbEUlRKdE_EESL_SP_SQ_mSR_SU_bEUlT_E_NS1_11comp_targetILNS1_3genE0ELNS1_11target_archE4294967295ELNS1_3gpuE0ELNS1_3repE0EEENS1_30default_config_static_selectorELNS0_4arch9wavefront6targetE1EEEvSO_
    .private_segment_fixed_size: 0
    .sgpr_count:     4
    .sgpr_spill_count: 0
    .symbol:         _ZN7rocprim17ROCPRIM_400000_NS6detail17trampoline_kernelINS0_14default_configENS1_29binary_search_config_selectorIdbEEZNS1_14transform_implILb0ES3_S5_N6thrust23THRUST_200600_302600_NS17counting_iteratorIdNS8_11use_defaultESA_SA_EEPbZNS1_13binary_searchIS3_S5_PdSB_SC_NS1_16binary_search_opENS8_6detail16wrapped_functionINS0_4lessIvEEbEEEE10hipError_tPvRmT1_T2_T3_mmT4_T5_P12ihipStream_tbEUlRKdE_EESL_SP_SQ_mSR_SU_bEUlT_E_NS1_11comp_targetILNS1_3genE0ELNS1_11target_archE4294967295ELNS1_3gpuE0ELNS1_3repE0EEENS1_30default_config_static_selectorELNS0_4arch9wavefront6targetE1EEEvSO_.kd
    .uniform_work_group_size: 1
    .uses_dynamic_stack: false
    .vgpr_count:     0
    .vgpr_spill_count: 0
    .wavefront_size: 64
  - .agpr_count:     0
    .args:
      - .offset:         0
        .size:           56
        .value_kind:     by_value
    .group_segment_fixed_size: 0
    .kernarg_segment_align: 8
    .kernarg_segment_size: 56
    .language:       OpenCL C
    .language_version:
      - 2
      - 0
    .max_flat_workgroup_size: 256
    .name:           _ZN7rocprim17ROCPRIM_400000_NS6detail17trampoline_kernelINS0_14default_configENS1_29binary_search_config_selectorIdbEEZNS1_14transform_implILb0ES3_S5_N6thrust23THRUST_200600_302600_NS17counting_iteratorIdNS8_11use_defaultESA_SA_EEPbZNS1_13binary_searchIS3_S5_PdSB_SC_NS1_16binary_search_opENS8_6detail16wrapped_functionINS0_4lessIvEEbEEEE10hipError_tPvRmT1_T2_T3_mmT4_T5_P12ihipStream_tbEUlRKdE_EESL_SP_SQ_mSR_SU_bEUlT_E_NS1_11comp_targetILNS1_3genE5ELNS1_11target_archE942ELNS1_3gpuE9ELNS1_3repE0EEENS1_30default_config_static_selectorELNS0_4arch9wavefront6targetE1EEEvSO_
    .private_segment_fixed_size: 0
    .sgpr_count:     4
    .sgpr_spill_count: 0
    .symbol:         _ZN7rocprim17ROCPRIM_400000_NS6detail17trampoline_kernelINS0_14default_configENS1_29binary_search_config_selectorIdbEEZNS1_14transform_implILb0ES3_S5_N6thrust23THRUST_200600_302600_NS17counting_iteratorIdNS8_11use_defaultESA_SA_EEPbZNS1_13binary_searchIS3_S5_PdSB_SC_NS1_16binary_search_opENS8_6detail16wrapped_functionINS0_4lessIvEEbEEEE10hipError_tPvRmT1_T2_T3_mmT4_T5_P12ihipStream_tbEUlRKdE_EESL_SP_SQ_mSR_SU_bEUlT_E_NS1_11comp_targetILNS1_3genE5ELNS1_11target_archE942ELNS1_3gpuE9ELNS1_3repE0EEENS1_30default_config_static_selectorELNS0_4arch9wavefront6targetE1EEEvSO_.kd
    .uniform_work_group_size: 1
    .uses_dynamic_stack: false
    .vgpr_count:     0
    .vgpr_spill_count: 0
    .wavefront_size: 64
  - .agpr_count:     0
    .args:
      - .offset:         0
        .size:           56
        .value_kind:     by_value
      - .offset:         56
        .size:           4
        .value_kind:     hidden_block_count_x
      - .offset:         60
        .size:           4
        .value_kind:     hidden_block_count_y
      - .offset:         64
        .size:           4
        .value_kind:     hidden_block_count_z
      - .offset:         68
        .size:           2
        .value_kind:     hidden_group_size_x
      - .offset:         70
        .size:           2
        .value_kind:     hidden_group_size_y
      - .offset:         72
        .size:           2
        .value_kind:     hidden_group_size_z
      - .offset:         74
        .size:           2
        .value_kind:     hidden_remainder_x
      - .offset:         76
        .size:           2
        .value_kind:     hidden_remainder_y
      - .offset:         78
        .size:           2
        .value_kind:     hidden_remainder_z
      - .offset:         96
        .size:           8
        .value_kind:     hidden_global_offset_x
      - .offset:         104
        .size:           8
        .value_kind:     hidden_global_offset_y
      - .offset:         112
        .size:           8
        .value_kind:     hidden_global_offset_z
      - .offset:         120
        .size:           2
        .value_kind:     hidden_grid_dims
    .group_segment_fixed_size: 0
    .kernarg_segment_align: 8
    .kernarg_segment_size: 312
    .language:       OpenCL C
    .language_version:
      - 2
      - 0
    .max_flat_workgroup_size: 64
    .name:           _ZN7rocprim17ROCPRIM_400000_NS6detail17trampoline_kernelINS0_14default_configENS1_29binary_search_config_selectorIdbEEZNS1_14transform_implILb0ES3_S5_N6thrust23THRUST_200600_302600_NS17counting_iteratorIdNS8_11use_defaultESA_SA_EEPbZNS1_13binary_searchIS3_S5_PdSB_SC_NS1_16binary_search_opENS8_6detail16wrapped_functionINS0_4lessIvEEbEEEE10hipError_tPvRmT1_T2_T3_mmT4_T5_P12ihipStream_tbEUlRKdE_EESL_SP_SQ_mSR_SU_bEUlT_E_NS1_11comp_targetILNS1_3genE4ELNS1_11target_archE910ELNS1_3gpuE8ELNS1_3repE0EEENS1_30default_config_static_selectorELNS0_4arch9wavefront6targetE1EEEvSO_
    .private_segment_fixed_size: 0
    .sgpr_count:     21
    .sgpr_spill_count: 0
    .symbol:         _ZN7rocprim17ROCPRIM_400000_NS6detail17trampoline_kernelINS0_14default_configENS1_29binary_search_config_selectorIdbEEZNS1_14transform_implILb0ES3_S5_N6thrust23THRUST_200600_302600_NS17counting_iteratorIdNS8_11use_defaultESA_SA_EEPbZNS1_13binary_searchIS3_S5_PdSB_SC_NS1_16binary_search_opENS8_6detail16wrapped_functionINS0_4lessIvEEbEEEE10hipError_tPvRmT1_T2_T3_mmT4_T5_P12ihipStream_tbEUlRKdE_EESL_SP_SQ_mSR_SU_bEUlT_E_NS1_11comp_targetILNS1_3genE4ELNS1_11target_archE910ELNS1_3gpuE8ELNS1_3repE0EEENS1_30default_config_static_selectorELNS0_4arch9wavefront6targetE1EEEvSO_.kd
    .uniform_work_group_size: 1
    .uses_dynamic_stack: false
    .vgpr_count:     16
    .vgpr_spill_count: 0
    .wavefront_size: 64
  - .agpr_count:     0
    .args:
      - .offset:         0
        .size:           56
        .value_kind:     by_value
    .group_segment_fixed_size: 0
    .kernarg_segment_align: 8
    .kernarg_segment_size: 56
    .language:       OpenCL C
    .language_version:
      - 2
      - 0
    .max_flat_workgroup_size: 128
    .name:           _ZN7rocprim17ROCPRIM_400000_NS6detail17trampoline_kernelINS0_14default_configENS1_29binary_search_config_selectorIdbEEZNS1_14transform_implILb0ES3_S5_N6thrust23THRUST_200600_302600_NS17counting_iteratorIdNS8_11use_defaultESA_SA_EEPbZNS1_13binary_searchIS3_S5_PdSB_SC_NS1_16binary_search_opENS8_6detail16wrapped_functionINS0_4lessIvEEbEEEE10hipError_tPvRmT1_T2_T3_mmT4_T5_P12ihipStream_tbEUlRKdE_EESL_SP_SQ_mSR_SU_bEUlT_E_NS1_11comp_targetILNS1_3genE3ELNS1_11target_archE908ELNS1_3gpuE7ELNS1_3repE0EEENS1_30default_config_static_selectorELNS0_4arch9wavefront6targetE1EEEvSO_
    .private_segment_fixed_size: 0
    .sgpr_count:     4
    .sgpr_spill_count: 0
    .symbol:         _ZN7rocprim17ROCPRIM_400000_NS6detail17trampoline_kernelINS0_14default_configENS1_29binary_search_config_selectorIdbEEZNS1_14transform_implILb0ES3_S5_N6thrust23THRUST_200600_302600_NS17counting_iteratorIdNS8_11use_defaultESA_SA_EEPbZNS1_13binary_searchIS3_S5_PdSB_SC_NS1_16binary_search_opENS8_6detail16wrapped_functionINS0_4lessIvEEbEEEE10hipError_tPvRmT1_T2_T3_mmT4_T5_P12ihipStream_tbEUlRKdE_EESL_SP_SQ_mSR_SU_bEUlT_E_NS1_11comp_targetILNS1_3genE3ELNS1_11target_archE908ELNS1_3gpuE7ELNS1_3repE0EEENS1_30default_config_static_selectorELNS0_4arch9wavefront6targetE1EEEvSO_.kd
    .uniform_work_group_size: 1
    .uses_dynamic_stack: false
    .vgpr_count:     0
    .vgpr_spill_count: 0
    .wavefront_size: 64
  - .agpr_count:     0
    .args:
      - .offset:         0
        .size:           56
        .value_kind:     by_value
    .group_segment_fixed_size: 0
    .kernarg_segment_align: 8
    .kernarg_segment_size: 56
    .language:       OpenCL C
    .language_version:
      - 2
      - 0
    .max_flat_workgroup_size: 256
    .name:           _ZN7rocprim17ROCPRIM_400000_NS6detail17trampoline_kernelINS0_14default_configENS1_29binary_search_config_selectorIdbEEZNS1_14transform_implILb0ES3_S5_N6thrust23THRUST_200600_302600_NS17counting_iteratorIdNS8_11use_defaultESA_SA_EEPbZNS1_13binary_searchIS3_S5_PdSB_SC_NS1_16binary_search_opENS8_6detail16wrapped_functionINS0_4lessIvEEbEEEE10hipError_tPvRmT1_T2_T3_mmT4_T5_P12ihipStream_tbEUlRKdE_EESL_SP_SQ_mSR_SU_bEUlT_E_NS1_11comp_targetILNS1_3genE2ELNS1_11target_archE906ELNS1_3gpuE6ELNS1_3repE0EEENS1_30default_config_static_selectorELNS0_4arch9wavefront6targetE1EEEvSO_
    .private_segment_fixed_size: 0
    .sgpr_count:     4
    .sgpr_spill_count: 0
    .symbol:         _ZN7rocprim17ROCPRIM_400000_NS6detail17trampoline_kernelINS0_14default_configENS1_29binary_search_config_selectorIdbEEZNS1_14transform_implILb0ES3_S5_N6thrust23THRUST_200600_302600_NS17counting_iteratorIdNS8_11use_defaultESA_SA_EEPbZNS1_13binary_searchIS3_S5_PdSB_SC_NS1_16binary_search_opENS8_6detail16wrapped_functionINS0_4lessIvEEbEEEE10hipError_tPvRmT1_T2_T3_mmT4_T5_P12ihipStream_tbEUlRKdE_EESL_SP_SQ_mSR_SU_bEUlT_E_NS1_11comp_targetILNS1_3genE2ELNS1_11target_archE906ELNS1_3gpuE6ELNS1_3repE0EEENS1_30default_config_static_selectorELNS0_4arch9wavefront6targetE1EEEvSO_.kd
    .uniform_work_group_size: 1
    .uses_dynamic_stack: false
    .vgpr_count:     0
    .vgpr_spill_count: 0
    .wavefront_size: 64
  - .agpr_count:     0
    .args:
      - .offset:         0
        .size:           56
        .value_kind:     by_value
    .group_segment_fixed_size: 0
    .kernarg_segment_align: 8
    .kernarg_segment_size: 56
    .language:       OpenCL C
    .language_version:
      - 2
      - 0
    .max_flat_workgroup_size: 256
    .name:           _ZN7rocprim17ROCPRIM_400000_NS6detail17trampoline_kernelINS0_14default_configENS1_29binary_search_config_selectorIdbEEZNS1_14transform_implILb0ES3_S5_N6thrust23THRUST_200600_302600_NS17counting_iteratorIdNS8_11use_defaultESA_SA_EEPbZNS1_13binary_searchIS3_S5_PdSB_SC_NS1_16binary_search_opENS8_6detail16wrapped_functionINS0_4lessIvEEbEEEE10hipError_tPvRmT1_T2_T3_mmT4_T5_P12ihipStream_tbEUlRKdE_EESL_SP_SQ_mSR_SU_bEUlT_E_NS1_11comp_targetILNS1_3genE10ELNS1_11target_archE1201ELNS1_3gpuE5ELNS1_3repE0EEENS1_30default_config_static_selectorELNS0_4arch9wavefront6targetE1EEEvSO_
    .private_segment_fixed_size: 0
    .sgpr_count:     4
    .sgpr_spill_count: 0
    .symbol:         _ZN7rocprim17ROCPRIM_400000_NS6detail17trampoline_kernelINS0_14default_configENS1_29binary_search_config_selectorIdbEEZNS1_14transform_implILb0ES3_S5_N6thrust23THRUST_200600_302600_NS17counting_iteratorIdNS8_11use_defaultESA_SA_EEPbZNS1_13binary_searchIS3_S5_PdSB_SC_NS1_16binary_search_opENS8_6detail16wrapped_functionINS0_4lessIvEEbEEEE10hipError_tPvRmT1_T2_T3_mmT4_T5_P12ihipStream_tbEUlRKdE_EESL_SP_SQ_mSR_SU_bEUlT_E_NS1_11comp_targetILNS1_3genE10ELNS1_11target_archE1201ELNS1_3gpuE5ELNS1_3repE0EEENS1_30default_config_static_selectorELNS0_4arch9wavefront6targetE1EEEvSO_.kd
    .uniform_work_group_size: 1
    .uses_dynamic_stack: false
    .vgpr_count:     0
    .vgpr_spill_count: 0
    .wavefront_size: 64
  - .agpr_count:     0
    .args:
      - .offset:         0
        .size:           56
        .value_kind:     by_value
    .group_segment_fixed_size: 0
    .kernarg_segment_align: 8
    .kernarg_segment_size: 56
    .language:       OpenCL C
    .language_version:
      - 2
      - 0
    .max_flat_workgroup_size: 128
    .name:           _ZN7rocprim17ROCPRIM_400000_NS6detail17trampoline_kernelINS0_14default_configENS1_29binary_search_config_selectorIdbEEZNS1_14transform_implILb0ES3_S5_N6thrust23THRUST_200600_302600_NS17counting_iteratorIdNS8_11use_defaultESA_SA_EEPbZNS1_13binary_searchIS3_S5_PdSB_SC_NS1_16binary_search_opENS8_6detail16wrapped_functionINS0_4lessIvEEbEEEE10hipError_tPvRmT1_T2_T3_mmT4_T5_P12ihipStream_tbEUlRKdE_EESL_SP_SQ_mSR_SU_bEUlT_E_NS1_11comp_targetILNS1_3genE10ELNS1_11target_archE1200ELNS1_3gpuE4ELNS1_3repE0EEENS1_30default_config_static_selectorELNS0_4arch9wavefront6targetE1EEEvSO_
    .private_segment_fixed_size: 0
    .sgpr_count:     4
    .sgpr_spill_count: 0
    .symbol:         _ZN7rocprim17ROCPRIM_400000_NS6detail17trampoline_kernelINS0_14default_configENS1_29binary_search_config_selectorIdbEEZNS1_14transform_implILb0ES3_S5_N6thrust23THRUST_200600_302600_NS17counting_iteratorIdNS8_11use_defaultESA_SA_EEPbZNS1_13binary_searchIS3_S5_PdSB_SC_NS1_16binary_search_opENS8_6detail16wrapped_functionINS0_4lessIvEEbEEEE10hipError_tPvRmT1_T2_T3_mmT4_T5_P12ihipStream_tbEUlRKdE_EESL_SP_SQ_mSR_SU_bEUlT_E_NS1_11comp_targetILNS1_3genE10ELNS1_11target_archE1200ELNS1_3gpuE4ELNS1_3repE0EEENS1_30default_config_static_selectorELNS0_4arch9wavefront6targetE1EEEvSO_.kd
    .uniform_work_group_size: 1
    .uses_dynamic_stack: false
    .vgpr_count:     0
    .vgpr_spill_count: 0
    .wavefront_size: 64
  - .agpr_count:     0
    .args:
      - .offset:         0
        .size:           56
        .value_kind:     by_value
    .group_segment_fixed_size: 0
    .kernarg_segment_align: 8
    .kernarg_segment_size: 56
    .language:       OpenCL C
    .language_version:
      - 2
      - 0
    .max_flat_workgroup_size: 64
    .name:           _ZN7rocprim17ROCPRIM_400000_NS6detail17trampoline_kernelINS0_14default_configENS1_29binary_search_config_selectorIdbEEZNS1_14transform_implILb0ES3_S5_N6thrust23THRUST_200600_302600_NS17counting_iteratorIdNS8_11use_defaultESA_SA_EEPbZNS1_13binary_searchIS3_S5_PdSB_SC_NS1_16binary_search_opENS8_6detail16wrapped_functionINS0_4lessIvEEbEEEE10hipError_tPvRmT1_T2_T3_mmT4_T5_P12ihipStream_tbEUlRKdE_EESL_SP_SQ_mSR_SU_bEUlT_E_NS1_11comp_targetILNS1_3genE9ELNS1_11target_archE1100ELNS1_3gpuE3ELNS1_3repE0EEENS1_30default_config_static_selectorELNS0_4arch9wavefront6targetE1EEEvSO_
    .private_segment_fixed_size: 0
    .sgpr_count:     4
    .sgpr_spill_count: 0
    .symbol:         _ZN7rocprim17ROCPRIM_400000_NS6detail17trampoline_kernelINS0_14default_configENS1_29binary_search_config_selectorIdbEEZNS1_14transform_implILb0ES3_S5_N6thrust23THRUST_200600_302600_NS17counting_iteratorIdNS8_11use_defaultESA_SA_EEPbZNS1_13binary_searchIS3_S5_PdSB_SC_NS1_16binary_search_opENS8_6detail16wrapped_functionINS0_4lessIvEEbEEEE10hipError_tPvRmT1_T2_T3_mmT4_T5_P12ihipStream_tbEUlRKdE_EESL_SP_SQ_mSR_SU_bEUlT_E_NS1_11comp_targetILNS1_3genE9ELNS1_11target_archE1100ELNS1_3gpuE3ELNS1_3repE0EEENS1_30default_config_static_selectorELNS0_4arch9wavefront6targetE1EEEvSO_.kd
    .uniform_work_group_size: 1
    .uses_dynamic_stack: false
    .vgpr_count:     0
    .vgpr_spill_count: 0
    .wavefront_size: 64
  - .agpr_count:     0
    .args:
      - .offset:         0
        .size:           56
        .value_kind:     by_value
    .group_segment_fixed_size: 0
    .kernarg_segment_align: 8
    .kernarg_segment_size: 56
    .language:       OpenCL C
    .language_version:
      - 2
      - 0
    .max_flat_workgroup_size: 256
    .name:           _ZN7rocprim17ROCPRIM_400000_NS6detail17trampoline_kernelINS0_14default_configENS1_29binary_search_config_selectorIdbEEZNS1_14transform_implILb0ES3_S5_N6thrust23THRUST_200600_302600_NS17counting_iteratorIdNS8_11use_defaultESA_SA_EEPbZNS1_13binary_searchIS3_S5_PdSB_SC_NS1_16binary_search_opENS8_6detail16wrapped_functionINS0_4lessIvEEbEEEE10hipError_tPvRmT1_T2_T3_mmT4_T5_P12ihipStream_tbEUlRKdE_EESL_SP_SQ_mSR_SU_bEUlT_E_NS1_11comp_targetILNS1_3genE8ELNS1_11target_archE1030ELNS1_3gpuE2ELNS1_3repE0EEENS1_30default_config_static_selectorELNS0_4arch9wavefront6targetE1EEEvSO_
    .private_segment_fixed_size: 0
    .sgpr_count:     4
    .sgpr_spill_count: 0
    .symbol:         _ZN7rocprim17ROCPRIM_400000_NS6detail17trampoline_kernelINS0_14default_configENS1_29binary_search_config_selectorIdbEEZNS1_14transform_implILb0ES3_S5_N6thrust23THRUST_200600_302600_NS17counting_iteratorIdNS8_11use_defaultESA_SA_EEPbZNS1_13binary_searchIS3_S5_PdSB_SC_NS1_16binary_search_opENS8_6detail16wrapped_functionINS0_4lessIvEEbEEEE10hipError_tPvRmT1_T2_T3_mmT4_T5_P12ihipStream_tbEUlRKdE_EESL_SP_SQ_mSR_SU_bEUlT_E_NS1_11comp_targetILNS1_3genE8ELNS1_11target_archE1030ELNS1_3gpuE2ELNS1_3repE0EEENS1_30default_config_static_selectorELNS0_4arch9wavefront6targetE1EEEvSO_.kd
    .uniform_work_group_size: 1
    .uses_dynamic_stack: false
    .vgpr_count:     0
    .vgpr_spill_count: 0
    .wavefront_size: 64
  - .agpr_count:     0
    .args:
      - .offset:         0
        .size:           8
        .value_kind:     by_value
      - .address_space:  global
        .offset:         8
        .size:           8
        .value_kind:     global_buffer
      - .address_space:  global
        .offset:         16
        .size:           8
        .value_kind:     global_buffer
    .group_segment_fixed_size: 0
    .kernarg_segment_align: 8
    .kernarg_segment_size: 24
    .language:       OpenCL C
    .language_version:
      - 2
      - 0
    .max_flat_workgroup_size: 256
    .name:           _Z20binary_search_kernelIfEvmPT_Pb
    .private_segment_fixed_size: 0
    .sgpr_count:     26
    .sgpr_spill_count: 0
    .symbol:         _Z20binary_search_kernelIfEvmPT_Pb.kd
    .uniform_work_group_size: 1
    .uses_dynamic_stack: false
    .vgpr_count:     6
    .vgpr_spill_count: 0
    .wavefront_size: 64
  - .agpr_count:     0
    .args:
      - .offset:         0
        .size:           56
        .value_kind:     by_value
    .group_segment_fixed_size: 0
    .kernarg_segment_align: 8
    .kernarg_segment_size: 56
    .language:       OpenCL C
    .language_version:
      - 2
      - 0
    .max_flat_workgroup_size: 256
    .name:           _ZN7rocprim17ROCPRIM_400000_NS6detail17trampoline_kernelINS0_14default_configENS1_29binary_search_config_selectorIfbEEZNS1_14transform_implILb0ES3_S5_N6thrust23THRUST_200600_302600_NS17counting_iteratorIfNS8_11use_defaultESA_SA_EEPbZNS1_13binary_searchIS3_S5_PfSB_SC_NS1_16binary_search_opENS8_6detail16wrapped_functionINS0_4lessIvEEbEEEE10hipError_tPvRmT1_T2_T3_mmT4_T5_P12ihipStream_tbEUlRKfE_EESL_SP_SQ_mSR_SU_bEUlT_E_NS1_11comp_targetILNS1_3genE0ELNS1_11target_archE4294967295ELNS1_3gpuE0ELNS1_3repE0EEENS1_30default_config_static_selectorELNS0_4arch9wavefront6targetE1EEEvSO_
    .private_segment_fixed_size: 0
    .sgpr_count:     4
    .sgpr_spill_count: 0
    .symbol:         _ZN7rocprim17ROCPRIM_400000_NS6detail17trampoline_kernelINS0_14default_configENS1_29binary_search_config_selectorIfbEEZNS1_14transform_implILb0ES3_S5_N6thrust23THRUST_200600_302600_NS17counting_iteratorIfNS8_11use_defaultESA_SA_EEPbZNS1_13binary_searchIS3_S5_PfSB_SC_NS1_16binary_search_opENS8_6detail16wrapped_functionINS0_4lessIvEEbEEEE10hipError_tPvRmT1_T2_T3_mmT4_T5_P12ihipStream_tbEUlRKfE_EESL_SP_SQ_mSR_SU_bEUlT_E_NS1_11comp_targetILNS1_3genE0ELNS1_11target_archE4294967295ELNS1_3gpuE0ELNS1_3repE0EEENS1_30default_config_static_selectorELNS0_4arch9wavefront6targetE1EEEvSO_.kd
    .uniform_work_group_size: 1
    .uses_dynamic_stack: false
    .vgpr_count:     0
    .vgpr_spill_count: 0
    .wavefront_size: 64
  - .agpr_count:     0
    .args:
      - .offset:         0
        .size:           56
        .value_kind:     by_value
    .group_segment_fixed_size: 0
    .kernarg_segment_align: 8
    .kernarg_segment_size: 56
    .language:       OpenCL C
    .language_version:
      - 2
      - 0
    .max_flat_workgroup_size: 128
    .name:           _ZN7rocprim17ROCPRIM_400000_NS6detail17trampoline_kernelINS0_14default_configENS1_29binary_search_config_selectorIfbEEZNS1_14transform_implILb0ES3_S5_N6thrust23THRUST_200600_302600_NS17counting_iteratorIfNS8_11use_defaultESA_SA_EEPbZNS1_13binary_searchIS3_S5_PfSB_SC_NS1_16binary_search_opENS8_6detail16wrapped_functionINS0_4lessIvEEbEEEE10hipError_tPvRmT1_T2_T3_mmT4_T5_P12ihipStream_tbEUlRKfE_EESL_SP_SQ_mSR_SU_bEUlT_E_NS1_11comp_targetILNS1_3genE5ELNS1_11target_archE942ELNS1_3gpuE9ELNS1_3repE0EEENS1_30default_config_static_selectorELNS0_4arch9wavefront6targetE1EEEvSO_
    .private_segment_fixed_size: 0
    .sgpr_count:     4
    .sgpr_spill_count: 0
    .symbol:         _ZN7rocprim17ROCPRIM_400000_NS6detail17trampoline_kernelINS0_14default_configENS1_29binary_search_config_selectorIfbEEZNS1_14transform_implILb0ES3_S5_N6thrust23THRUST_200600_302600_NS17counting_iteratorIfNS8_11use_defaultESA_SA_EEPbZNS1_13binary_searchIS3_S5_PfSB_SC_NS1_16binary_search_opENS8_6detail16wrapped_functionINS0_4lessIvEEbEEEE10hipError_tPvRmT1_T2_T3_mmT4_T5_P12ihipStream_tbEUlRKfE_EESL_SP_SQ_mSR_SU_bEUlT_E_NS1_11comp_targetILNS1_3genE5ELNS1_11target_archE942ELNS1_3gpuE9ELNS1_3repE0EEENS1_30default_config_static_selectorELNS0_4arch9wavefront6targetE1EEEvSO_.kd
    .uniform_work_group_size: 1
    .uses_dynamic_stack: false
    .vgpr_count:     0
    .vgpr_spill_count: 0
    .wavefront_size: 64
  - .agpr_count:     0
    .args:
      - .offset:         0
        .size:           56
        .value_kind:     by_value
      - .offset:         56
        .size:           4
        .value_kind:     hidden_block_count_x
      - .offset:         60
        .size:           4
        .value_kind:     hidden_block_count_y
      - .offset:         64
        .size:           4
        .value_kind:     hidden_block_count_z
      - .offset:         68
        .size:           2
        .value_kind:     hidden_group_size_x
      - .offset:         70
        .size:           2
        .value_kind:     hidden_group_size_y
      - .offset:         72
        .size:           2
        .value_kind:     hidden_group_size_z
      - .offset:         74
        .size:           2
        .value_kind:     hidden_remainder_x
      - .offset:         76
        .size:           2
        .value_kind:     hidden_remainder_y
      - .offset:         78
        .size:           2
        .value_kind:     hidden_remainder_z
      - .offset:         96
        .size:           8
        .value_kind:     hidden_global_offset_x
      - .offset:         104
        .size:           8
        .value_kind:     hidden_global_offset_y
      - .offset:         112
        .size:           8
        .value_kind:     hidden_global_offset_z
      - .offset:         120
        .size:           2
        .value_kind:     hidden_grid_dims
    .group_segment_fixed_size: 0
    .kernarg_segment_align: 8
    .kernarg_segment_size: 312
    .language:       OpenCL C
    .language_version:
      - 2
      - 0
    .max_flat_workgroup_size: 256
    .name:           _ZN7rocprim17ROCPRIM_400000_NS6detail17trampoline_kernelINS0_14default_configENS1_29binary_search_config_selectorIfbEEZNS1_14transform_implILb0ES3_S5_N6thrust23THRUST_200600_302600_NS17counting_iteratorIfNS8_11use_defaultESA_SA_EEPbZNS1_13binary_searchIS3_S5_PfSB_SC_NS1_16binary_search_opENS8_6detail16wrapped_functionINS0_4lessIvEEbEEEE10hipError_tPvRmT1_T2_T3_mmT4_T5_P12ihipStream_tbEUlRKfE_EESL_SP_SQ_mSR_SU_bEUlT_E_NS1_11comp_targetILNS1_3genE4ELNS1_11target_archE910ELNS1_3gpuE8ELNS1_3repE0EEENS1_30default_config_static_selectorELNS0_4arch9wavefront6targetE1EEEvSO_
    .private_segment_fixed_size: 0
    .sgpr_count:     21
    .sgpr_spill_count: 0
    .symbol:         _ZN7rocprim17ROCPRIM_400000_NS6detail17trampoline_kernelINS0_14default_configENS1_29binary_search_config_selectorIfbEEZNS1_14transform_implILb0ES3_S5_N6thrust23THRUST_200600_302600_NS17counting_iteratorIfNS8_11use_defaultESA_SA_EEPbZNS1_13binary_searchIS3_S5_PfSB_SC_NS1_16binary_search_opENS8_6detail16wrapped_functionINS0_4lessIvEEbEEEE10hipError_tPvRmT1_T2_T3_mmT4_T5_P12ihipStream_tbEUlRKfE_EESL_SP_SQ_mSR_SU_bEUlT_E_NS1_11comp_targetILNS1_3genE4ELNS1_11target_archE910ELNS1_3gpuE8ELNS1_3repE0EEENS1_30default_config_static_selectorELNS0_4arch9wavefront6targetE1EEEvSO_.kd
    .uniform_work_group_size: 1
    .uses_dynamic_stack: false
    .vgpr_count:     13
    .vgpr_spill_count: 0
    .wavefront_size: 64
  - .agpr_count:     0
    .args:
      - .offset:         0
        .size:           56
        .value_kind:     by_value
    .group_segment_fixed_size: 0
    .kernarg_segment_align: 8
    .kernarg_segment_size: 56
    .language:       OpenCL C
    .language_version:
      - 2
      - 0
    .max_flat_workgroup_size: 256
    .name:           _ZN7rocprim17ROCPRIM_400000_NS6detail17trampoline_kernelINS0_14default_configENS1_29binary_search_config_selectorIfbEEZNS1_14transform_implILb0ES3_S5_N6thrust23THRUST_200600_302600_NS17counting_iteratorIfNS8_11use_defaultESA_SA_EEPbZNS1_13binary_searchIS3_S5_PfSB_SC_NS1_16binary_search_opENS8_6detail16wrapped_functionINS0_4lessIvEEbEEEE10hipError_tPvRmT1_T2_T3_mmT4_T5_P12ihipStream_tbEUlRKfE_EESL_SP_SQ_mSR_SU_bEUlT_E_NS1_11comp_targetILNS1_3genE3ELNS1_11target_archE908ELNS1_3gpuE7ELNS1_3repE0EEENS1_30default_config_static_selectorELNS0_4arch9wavefront6targetE1EEEvSO_
    .private_segment_fixed_size: 0
    .sgpr_count:     4
    .sgpr_spill_count: 0
    .symbol:         _ZN7rocprim17ROCPRIM_400000_NS6detail17trampoline_kernelINS0_14default_configENS1_29binary_search_config_selectorIfbEEZNS1_14transform_implILb0ES3_S5_N6thrust23THRUST_200600_302600_NS17counting_iteratorIfNS8_11use_defaultESA_SA_EEPbZNS1_13binary_searchIS3_S5_PfSB_SC_NS1_16binary_search_opENS8_6detail16wrapped_functionINS0_4lessIvEEbEEEE10hipError_tPvRmT1_T2_T3_mmT4_T5_P12ihipStream_tbEUlRKfE_EESL_SP_SQ_mSR_SU_bEUlT_E_NS1_11comp_targetILNS1_3genE3ELNS1_11target_archE908ELNS1_3gpuE7ELNS1_3repE0EEENS1_30default_config_static_selectorELNS0_4arch9wavefront6targetE1EEEvSO_.kd
    .uniform_work_group_size: 1
    .uses_dynamic_stack: false
    .vgpr_count:     0
    .vgpr_spill_count: 0
    .wavefront_size: 64
  - .agpr_count:     0
    .args:
      - .offset:         0
        .size:           56
        .value_kind:     by_value
    .group_segment_fixed_size: 0
    .kernarg_segment_align: 8
    .kernarg_segment_size: 56
    .language:       OpenCL C
    .language_version:
      - 2
      - 0
    .max_flat_workgroup_size: 256
    .name:           _ZN7rocprim17ROCPRIM_400000_NS6detail17trampoline_kernelINS0_14default_configENS1_29binary_search_config_selectorIfbEEZNS1_14transform_implILb0ES3_S5_N6thrust23THRUST_200600_302600_NS17counting_iteratorIfNS8_11use_defaultESA_SA_EEPbZNS1_13binary_searchIS3_S5_PfSB_SC_NS1_16binary_search_opENS8_6detail16wrapped_functionINS0_4lessIvEEbEEEE10hipError_tPvRmT1_T2_T3_mmT4_T5_P12ihipStream_tbEUlRKfE_EESL_SP_SQ_mSR_SU_bEUlT_E_NS1_11comp_targetILNS1_3genE2ELNS1_11target_archE906ELNS1_3gpuE6ELNS1_3repE0EEENS1_30default_config_static_selectorELNS0_4arch9wavefront6targetE1EEEvSO_
    .private_segment_fixed_size: 0
    .sgpr_count:     4
    .sgpr_spill_count: 0
    .symbol:         _ZN7rocprim17ROCPRIM_400000_NS6detail17trampoline_kernelINS0_14default_configENS1_29binary_search_config_selectorIfbEEZNS1_14transform_implILb0ES3_S5_N6thrust23THRUST_200600_302600_NS17counting_iteratorIfNS8_11use_defaultESA_SA_EEPbZNS1_13binary_searchIS3_S5_PfSB_SC_NS1_16binary_search_opENS8_6detail16wrapped_functionINS0_4lessIvEEbEEEE10hipError_tPvRmT1_T2_T3_mmT4_T5_P12ihipStream_tbEUlRKfE_EESL_SP_SQ_mSR_SU_bEUlT_E_NS1_11comp_targetILNS1_3genE2ELNS1_11target_archE906ELNS1_3gpuE6ELNS1_3repE0EEENS1_30default_config_static_selectorELNS0_4arch9wavefront6targetE1EEEvSO_.kd
    .uniform_work_group_size: 1
    .uses_dynamic_stack: false
    .vgpr_count:     0
    .vgpr_spill_count: 0
    .wavefront_size: 64
  - .agpr_count:     0
    .args:
      - .offset:         0
        .size:           56
        .value_kind:     by_value
    .group_segment_fixed_size: 0
    .kernarg_segment_align: 8
    .kernarg_segment_size: 56
    .language:       OpenCL C
    .language_version:
      - 2
      - 0
    .max_flat_workgroup_size: 128
    .name:           _ZN7rocprim17ROCPRIM_400000_NS6detail17trampoline_kernelINS0_14default_configENS1_29binary_search_config_selectorIfbEEZNS1_14transform_implILb0ES3_S5_N6thrust23THRUST_200600_302600_NS17counting_iteratorIfNS8_11use_defaultESA_SA_EEPbZNS1_13binary_searchIS3_S5_PfSB_SC_NS1_16binary_search_opENS8_6detail16wrapped_functionINS0_4lessIvEEbEEEE10hipError_tPvRmT1_T2_T3_mmT4_T5_P12ihipStream_tbEUlRKfE_EESL_SP_SQ_mSR_SU_bEUlT_E_NS1_11comp_targetILNS1_3genE10ELNS1_11target_archE1201ELNS1_3gpuE5ELNS1_3repE0EEENS1_30default_config_static_selectorELNS0_4arch9wavefront6targetE1EEEvSO_
    .private_segment_fixed_size: 0
    .sgpr_count:     4
    .sgpr_spill_count: 0
    .symbol:         _ZN7rocprim17ROCPRIM_400000_NS6detail17trampoline_kernelINS0_14default_configENS1_29binary_search_config_selectorIfbEEZNS1_14transform_implILb0ES3_S5_N6thrust23THRUST_200600_302600_NS17counting_iteratorIfNS8_11use_defaultESA_SA_EEPbZNS1_13binary_searchIS3_S5_PfSB_SC_NS1_16binary_search_opENS8_6detail16wrapped_functionINS0_4lessIvEEbEEEE10hipError_tPvRmT1_T2_T3_mmT4_T5_P12ihipStream_tbEUlRKfE_EESL_SP_SQ_mSR_SU_bEUlT_E_NS1_11comp_targetILNS1_3genE10ELNS1_11target_archE1201ELNS1_3gpuE5ELNS1_3repE0EEENS1_30default_config_static_selectorELNS0_4arch9wavefront6targetE1EEEvSO_.kd
    .uniform_work_group_size: 1
    .uses_dynamic_stack: false
    .vgpr_count:     0
    .vgpr_spill_count: 0
    .wavefront_size: 64
  - .agpr_count:     0
    .args:
      - .offset:         0
        .size:           56
        .value_kind:     by_value
    .group_segment_fixed_size: 0
    .kernarg_segment_align: 8
    .kernarg_segment_size: 56
    .language:       OpenCL C
    .language_version:
      - 2
      - 0
    .max_flat_workgroup_size: 128
    .name:           _ZN7rocprim17ROCPRIM_400000_NS6detail17trampoline_kernelINS0_14default_configENS1_29binary_search_config_selectorIfbEEZNS1_14transform_implILb0ES3_S5_N6thrust23THRUST_200600_302600_NS17counting_iteratorIfNS8_11use_defaultESA_SA_EEPbZNS1_13binary_searchIS3_S5_PfSB_SC_NS1_16binary_search_opENS8_6detail16wrapped_functionINS0_4lessIvEEbEEEE10hipError_tPvRmT1_T2_T3_mmT4_T5_P12ihipStream_tbEUlRKfE_EESL_SP_SQ_mSR_SU_bEUlT_E_NS1_11comp_targetILNS1_3genE10ELNS1_11target_archE1200ELNS1_3gpuE4ELNS1_3repE0EEENS1_30default_config_static_selectorELNS0_4arch9wavefront6targetE1EEEvSO_
    .private_segment_fixed_size: 0
    .sgpr_count:     4
    .sgpr_spill_count: 0
    .symbol:         _ZN7rocprim17ROCPRIM_400000_NS6detail17trampoline_kernelINS0_14default_configENS1_29binary_search_config_selectorIfbEEZNS1_14transform_implILb0ES3_S5_N6thrust23THRUST_200600_302600_NS17counting_iteratorIfNS8_11use_defaultESA_SA_EEPbZNS1_13binary_searchIS3_S5_PfSB_SC_NS1_16binary_search_opENS8_6detail16wrapped_functionINS0_4lessIvEEbEEEE10hipError_tPvRmT1_T2_T3_mmT4_T5_P12ihipStream_tbEUlRKfE_EESL_SP_SQ_mSR_SU_bEUlT_E_NS1_11comp_targetILNS1_3genE10ELNS1_11target_archE1200ELNS1_3gpuE4ELNS1_3repE0EEENS1_30default_config_static_selectorELNS0_4arch9wavefront6targetE1EEEvSO_.kd
    .uniform_work_group_size: 1
    .uses_dynamic_stack: false
    .vgpr_count:     0
    .vgpr_spill_count: 0
    .wavefront_size: 64
  - .agpr_count:     0
    .args:
      - .offset:         0
        .size:           56
        .value_kind:     by_value
    .group_segment_fixed_size: 0
    .kernarg_segment_align: 8
    .kernarg_segment_size: 56
    .language:       OpenCL C
    .language_version:
      - 2
      - 0
    .max_flat_workgroup_size: 256
    .name:           _ZN7rocprim17ROCPRIM_400000_NS6detail17trampoline_kernelINS0_14default_configENS1_29binary_search_config_selectorIfbEEZNS1_14transform_implILb0ES3_S5_N6thrust23THRUST_200600_302600_NS17counting_iteratorIfNS8_11use_defaultESA_SA_EEPbZNS1_13binary_searchIS3_S5_PfSB_SC_NS1_16binary_search_opENS8_6detail16wrapped_functionINS0_4lessIvEEbEEEE10hipError_tPvRmT1_T2_T3_mmT4_T5_P12ihipStream_tbEUlRKfE_EESL_SP_SQ_mSR_SU_bEUlT_E_NS1_11comp_targetILNS1_3genE9ELNS1_11target_archE1100ELNS1_3gpuE3ELNS1_3repE0EEENS1_30default_config_static_selectorELNS0_4arch9wavefront6targetE1EEEvSO_
    .private_segment_fixed_size: 0
    .sgpr_count:     4
    .sgpr_spill_count: 0
    .symbol:         _ZN7rocprim17ROCPRIM_400000_NS6detail17trampoline_kernelINS0_14default_configENS1_29binary_search_config_selectorIfbEEZNS1_14transform_implILb0ES3_S5_N6thrust23THRUST_200600_302600_NS17counting_iteratorIfNS8_11use_defaultESA_SA_EEPbZNS1_13binary_searchIS3_S5_PfSB_SC_NS1_16binary_search_opENS8_6detail16wrapped_functionINS0_4lessIvEEbEEEE10hipError_tPvRmT1_T2_T3_mmT4_T5_P12ihipStream_tbEUlRKfE_EESL_SP_SQ_mSR_SU_bEUlT_E_NS1_11comp_targetILNS1_3genE9ELNS1_11target_archE1100ELNS1_3gpuE3ELNS1_3repE0EEENS1_30default_config_static_selectorELNS0_4arch9wavefront6targetE1EEEvSO_.kd
    .uniform_work_group_size: 1
    .uses_dynamic_stack: false
    .vgpr_count:     0
    .vgpr_spill_count: 0
    .wavefront_size: 64
  - .agpr_count:     0
    .args:
      - .offset:         0
        .size:           56
        .value_kind:     by_value
    .group_segment_fixed_size: 0
    .kernarg_segment_align: 8
    .kernarg_segment_size: 56
    .language:       OpenCL C
    .language_version:
      - 2
      - 0
    .max_flat_workgroup_size: 256
    .name:           _ZN7rocprim17ROCPRIM_400000_NS6detail17trampoline_kernelINS0_14default_configENS1_29binary_search_config_selectorIfbEEZNS1_14transform_implILb0ES3_S5_N6thrust23THRUST_200600_302600_NS17counting_iteratorIfNS8_11use_defaultESA_SA_EEPbZNS1_13binary_searchIS3_S5_PfSB_SC_NS1_16binary_search_opENS8_6detail16wrapped_functionINS0_4lessIvEEbEEEE10hipError_tPvRmT1_T2_T3_mmT4_T5_P12ihipStream_tbEUlRKfE_EESL_SP_SQ_mSR_SU_bEUlT_E_NS1_11comp_targetILNS1_3genE8ELNS1_11target_archE1030ELNS1_3gpuE2ELNS1_3repE0EEENS1_30default_config_static_selectorELNS0_4arch9wavefront6targetE1EEEvSO_
    .private_segment_fixed_size: 0
    .sgpr_count:     4
    .sgpr_spill_count: 0
    .symbol:         _ZN7rocprim17ROCPRIM_400000_NS6detail17trampoline_kernelINS0_14default_configENS1_29binary_search_config_selectorIfbEEZNS1_14transform_implILb0ES3_S5_N6thrust23THRUST_200600_302600_NS17counting_iteratorIfNS8_11use_defaultESA_SA_EEPbZNS1_13binary_searchIS3_S5_PfSB_SC_NS1_16binary_search_opENS8_6detail16wrapped_functionINS0_4lessIvEEbEEEE10hipError_tPvRmT1_T2_T3_mmT4_T5_P12ihipStream_tbEUlRKfE_EESL_SP_SQ_mSR_SU_bEUlT_E_NS1_11comp_targetILNS1_3genE8ELNS1_11target_archE1030ELNS1_3gpuE2ELNS1_3repE0EEENS1_30default_config_static_selectorELNS0_4arch9wavefront6targetE1EEEvSO_.kd
    .uniform_work_group_size: 1
    .uses_dynamic_stack: false
    .vgpr_count:     0
    .vgpr_spill_count: 0
    .wavefront_size: 64
  - .agpr_count:     0
    .args:
      - .offset:         0
        .size:           8
        .value_kind:     by_value
      - .address_space:  global
        .offset:         8
        .size:           8
        .value_kind:     global_buffer
      - .address_space:  global
        .offset:         16
        .size:           8
        .value_kind:     global_buffer
    .group_segment_fixed_size: 0
    .kernarg_segment_align: 8
    .kernarg_segment_size: 24
    .language:       OpenCL C
    .language_version:
      - 2
      - 0
    .max_flat_workgroup_size: 256
    .name:           _Z20binary_search_kernelIyEvmPT_Pb
    .private_segment_fixed_size: 0
    .sgpr_count:     24
    .sgpr_spill_count: 0
    .symbol:         _Z20binary_search_kernelIyEvmPT_Pb.kd
    .uniform_work_group_size: 1
    .uses_dynamic_stack: false
    .vgpr_count:     3
    .vgpr_spill_count: 0
    .wavefront_size: 64
  - .agpr_count:     0
    .args:
      - .offset:         0
        .size:           56
        .value_kind:     by_value
    .group_segment_fixed_size: 0
    .kernarg_segment_align: 8
    .kernarg_segment_size: 56
    .language:       OpenCL C
    .language_version:
      - 2
      - 0
    .max_flat_workgroup_size: 256
    .name:           _ZN7rocprim17ROCPRIM_400000_NS6detail17trampoline_kernelINS0_14default_configENS1_29binary_search_config_selectorIybEEZNS1_14transform_implILb0ES3_S5_N6thrust23THRUST_200600_302600_NS17counting_iteratorIyNS8_11use_defaultESA_SA_EEPbZNS1_13binary_searchIS3_S5_PySB_SC_NS1_16binary_search_opENS8_6detail16wrapped_functionINS0_4lessIvEEbEEEE10hipError_tPvRmT1_T2_T3_mmT4_T5_P12ihipStream_tbEUlRKyE_EESL_SP_SQ_mSR_SU_bEUlT_E_NS1_11comp_targetILNS1_3genE0ELNS1_11target_archE4294967295ELNS1_3gpuE0ELNS1_3repE0EEENS1_30default_config_static_selectorELNS0_4arch9wavefront6targetE1EEEvSO_
    .private_segment_fixed_size: 0
    .sgpr_count:     4
    .sgpr_spill_count: 0
    .symbol:         _ZN7rocprim17ROCPRIM_400000_NS6detail17trampoline_kernelINS0_14default_configENS1_29binary_search_config_selectorIybEEZNS1_14transform_implILb0ES3_S5_N6thrust23THRUST_200600_302600_NS17counting_iteratorIyNS8_11use_defaultESA_SA_EEPbZNS1_13binary_searchIS3_S5_PySB_SC_NS1_16binary_search_opENS8_6detail16wrapped_functionINS0_4lessIvEEbEEEE10hipError_tPvRmT1_T2_T3_mmT4_T5_P12ihipStream_tbEUlRKyE_EESL_SP_SQ_mSR_SU_bEUlT_E_NS1_11comp_targetILNS1_3genE0ELNS1_11target_archE4294967295ELNS1_3gpuE0ELNS1_3repE0EEENS1_30default_config_static_selectorELNS0_4arch9wavefront6targetE1EEEvSO_.kd
    .uniform_work_group_size: 1
    .uses_dynamic_stack: false
    .vgpr_count:     0
    .vgpr_spill_count: 0
    .wavefront_size: 64
  - .agpr_count:     0
    .args:
      - .offset:         0
        .size:           56
        .value_kind:     by_value
    .group_segment_fixed_size: 0
    .kernarg_segment_align: 8
    .kernarg_segment_size: 56
    .language:       OpenCL C
    .language_version:
      - 2
      - 0
    .max_flat_workgroup_size: 64
    .name:           _ZN7rocprim17ROCPRIM_400000_NS6detail17trampoline_kernelINS0_14default_configENS1_29binary_search_config_selectorIybEEZNS1_14transform_implILb0ES3_S5_N6thrust23THRUST_200600_302600_NS17counting_iteratorIyNS8_11use_defaultESA_SA_EEPbZNS1_13binary_searchIS3_S5_PySB_SC_NS1_16binary_search_opENS8_6detail16wrapped_functionINS0_4lessIvEEbEEEE10hipError_tPvRmT1_T2_T3_mmT4_T5_P12ihipStream_tbEUlRKyE_EESL_SP_SQ_mSR_SU_bEUlT_E_NS1_11comp_targetILNS1_3genE5ELNS1_11target_archE942ELNS1_3gpuE9ELNS1_3repE0EEENS1_30default_config_static_selectorELNS0_4arch9wavefront6targetE1EEEvSO_
    .private_segment_fixed_size: 0
    .sgpr_count:     4
    .sgpr_spill_count: 0
    .symbol:         _ZN7rocprim17ROCPRIM_400000_NS6detail17trampoline_kernelINS0_14default_configENS1_29binary_search_config_selectorIybEEZNS1_14transform_implILb0ES3_S5_N6thrust23THRUST_200600_302600_NS17counting_iteratorIyNS8_11use_defaultESA_SA_EEPbZNS1_13binary_searchIS3_S5_PySB_SC_NS1_16binary_search_opENS8_6detail16wrapped_functionINS0_4lessIvEEbEEEE10hipError_tPvRmT1_T2_T3_mmT4_T5_P12ihipStream_tbEUlRKyE_EESL_SP_SQ_mSR_SU_bEUlT_E_NS1_11comp_targetILNS1_3genE5ELNS1_11target_archE942ELNS1_3gpuE9ELNS1_3repE0EEENS1_30default_config_static_selectorELNS0_4arch9wavefront6targetE1EEEvSO_.kd
    .uniform_work_group_size: 1
    .uses_dynamic_stack: false
    .vgpr_count:     0
    .vgpr_spill_count: 0
    .wavefront_size: 64
  - .agpr_count:     0
    .args:
      - .offset:         0
        .size:           56
        .value_kind:     by_value
      - .offset:         56
        .size:           4
        .value_kind:     hidden_block_count_x
      - .offset:         60
        .size:           4
        .value_kind:     hidden_block_count_y
      - .offset:         64
        .size:           4
        .value_kind:     hidden_block_count_z
      - .offset:         68
        .size:           2
        .value_kind:     hidden_group_size_x
      - .offset:         70
        .size:           2
        .value_kind:     hidden_group_size_y
      - .offset:         72
        .size:           2
        .value_kind:     hidden_group_size_z
      - .offset:         74
        .size:           2
        .value_kind:     hidden_remainder_x
      - .offset:         76
        .size:           2
        .value_kind:     hidden_remainder_y
      - .offset:         78
        .size:           2
        .value_kind:     hidden_remainder_z
      - .offset:         96
        .size:           8
        .value_kind:     hidden_global_offset_x
      - .offset:         104
        .size:           8
        .value_kind:     hidden_global_offset_y
      - .offset:         112
        .size:           8
        .value_kind:     hidden_global_offset_z
      - .offset:         120
        .size:           2
        .value_kind:     hidden_grid_dims
    .group_segment_fixed_size: 0
    .kernarg_segment_align: 8
    .kernarg_segment_size: 312
    .language:       OpenCL C
    .language_version:
      - 2
      - 0
    .max_flat_workgroup_size: 64
    .name:           _ZN7rocprim17ROCPRIM_400000_NS6detail17trampoline_kernelINS0_14default_configENS1_29binary_search_config_selectorIybEEZNS1_14transform_implILb0ES3_S5_N6thrust23THRUST_200600_302600_NS17counting_iteratorIyNS8_11use_defaultESA_SA_EEPbZNS1_13binary_searchIS3_S5_PySB_SC_NS1_16binary_search_opENS8_6detail16wrapped_functionINS0_4lessIvEEbEEEE10hipError_tPvRmT1_T2_T3_mmT4_T5_P12ihipStream_tbEUlRKyE_EESL_SP_SQ_mSR_SU_bEUlT_E_NS1_11comp_targetILNS1_3genE4ELNS1_11target_archE910ELNS1_3gpuE8ELNS1_3repE0EEENS1_30default_config_static_selectorELNS0_4arch9wavefront6targetE1EEEvSO_
    .private_segment_fixed_size: 0
    .sgpr_count:     23
    .sgpr_spill_count: 0
    .symbol:         _ZN7rocprim17ROCPRIM_400000_NS6detail17trampoline_kernelINS0_14default_configENS1_29binary_search_config_selectorIybEEZNS1_14transform_implILb0ES3_S5_N6thrust23THRUST_200600_302600_NS17counting_iteratorIyNS8_11use_defaultESA_SA_EEPbZNS1_13binary_searchIS3_S5_PySB_SC_NS1_16binary_search_opENS8_6detail16wrapped_functionINS0_4lessIvEEbEEEE10hipError_tPvRmT1_T2_T3_mmT4_T5_P12ihipStream_tbEUlRKyE_EESL_SP_SQ_mSR_SU_bEUlT_E_NS1_11comp_targetILNS1_3genE4ELNS1_11target_archE910ELNS1_3gpuE8ELNS1_3repE0EEENS1_30default_config_static_selectorELNS0_4arch9wavefront6targetE1EEEvSO_.kd
    .uniform_work_group_size: 1
    .uses_dynamic_stack: false
    .vgpr_count:     15
    .vgpr_spill_count: 0
    .wavefront_size: 64
  - .agpr_count:     0
    .args:
      - .offset:         0
        .size:           56
        .value_kind:     by_value
    .group_segment_fixed_size: 0
    .kernarg_segment_align: 8
    .kernarg_segment_size: 56
    .language:       OpenCL C
    .language_version:
      - 2
      - 0
    .max_flat_workgroup_size: 256
    .name:           _ZN7rocprim17ROCPRIM_400000_NS6detail17trampoline_kernelINS0_14default_configENS1_29binary_search_config_selectorIybEEZNS1_14transform_implILb0ES3_S5_N6thrust23THRUST_200600_302600_NS17counting_iteratorIyNS8_11use_defaultESA_SA_EEPbZNS1_13binary_searchIS3_S5_PySB_SC_NS1_16binary_search_opENS8_6detail16wrapped_functionINS0_4lessIvEEbEEEE10hipError_tPvRmT1_T2_T3_mmT4_T5_P12ihipStream_tbEUlRKyE_EESL_SP_SQ_mSR_SU_bEUlT_E_NS1_11comp_targetILNS1_3genE3ELNS1_11target_archE908ELNS1_3gpuE7ELNS1_3repE0EEENS1_30default_config_static_selectorELNS0_4arch9wavefront6targetE1EEEvSO_
    .private_segment_fixed_size: 0
    .sgpr_count:     4
    .sgpr_spill_count: 0
    .symbol:         _ZN7rocprim17ROCPRIM_400000_NS6detail17trampoline_kernelINS0_14default_configENS1_29binary_search_config_selectorIybEEZNS1_14transform_implILb0ES3_S5_N6thrust23THRUST_200600_302600_NS17counting_iteratorIyNS8_11use_defaultESA_SA_EEPbZNS1_13binary_searchIS3_S5_PySB_SC_NS1_16binary_search_opENS8_6detail16wrapped_functionINS0_4lessIvEEbEEEE10hipError_tPvRmT1_T2_T3_mmT4_T5_P12ihipStream_tbEUlRKyE_EESL_SP_SQ_mSR_SU_bEUlT_E_NS1_11comp_targetILNS1_3genE3ELNS1_11target_archE908ELNS1_3gpuE7ELNS1_3repE0EEENS1_30default_config_static_selectorELNS0_4arch9wavefront6targetE1EEEvSO_.kd
    .uniform_work_group_size: 1
    .uses_dynamic_stack: false
    .vgpr_count:     0
    .vgpr_spill_count: 0
    .wavefront_size: 64
  - .agpr_count:     0
    .args:
      - .offset:         0
        .size:           56
        .value_kind:     by_value
    .group_segment_fixed_size: 0
    .kernarg_segment_align: 8
    .kernarg_segment_size: 56
    .language:       OpenCL C
    .language_version:
      - 2
      - 0
    .max_flat_workgroup_size: 256
    .name:           _ZN7rocprim17ROCPRIM_400000_NS6detail17trampoline_kernelINS0_14default_configENS1_29binary_search_config_selectorIybEEZNS1_14transform_implILb0ES3_S5_N6thrust23THRUST_200600_302600_NS17counting_iteratorIyNS8_11use_defaultESA_SA_EEPbZNS1_13binary_searchIS3_S5_PySB_SC_NS1_16binary_search_opENS8_6detail16wrapped_functionINS0_4lessIvEEbEEEE10hipError_tPvRmT1_T2_T3_mmT4_T5_P12ihipStream_tbEUlRKyE_EESL_SP_SQ_mSR_SU_bEUlT_E_NS1_11comp_targetILNS1_3genE2ELNS1_11target_archE906ELNS1_3gpuE6ELNS1_3repE0EEENS1_30default_config_static_selectorELNS0_4arch9wavefront6targetE1EEEvSO_
    .private_segment_fixed_size: 0
    .sgpr_count:     4
    .sgpr_spill_count: 0
    .symbol:         _ZN7rocprim17ROCPRIM_400000_NS6detail17trampoline_kernelINS0_14default_configENS1_29binary_search_config_selectorIybEEZNS1_14transform_implILb0ES3_S5_N6thrust23THRUST_200600_302600_NS17counting_iteratorIyNS8_11use_defaultESA_SA_EEPbZNS1_13binary_searchIS3_S5_PySB_SC_NS1_16binary_search_opENS8_6detail16wrapped_functionINS0_4lessIvEEbEEEE10hipError_tPvRmT1_T2_T3_mmT4_T5_P12ihipStream_tbEUlRKyE_EESL_SP_SQ_mSR_SU_bEUlT_E_NS1_11comp_targetILNS1_3genE2ELNS1_11target_archE906ELNS1_3gpuE6ELNS1_3repE0EEENS1_30default_config_static_selectorELNS0_4arch9wavefront6targetE1EEEvSO_.kd
    .uniform_work_group_size: 1
    .uses_dynamic_stack: false
    .vgpr_count:     0
    .vgpr_spill_count: 0
    .wavefront_size: 64
  - .agpr_count:     0
    .args:
      - .offset:         0
        .size:           56
        .value_kind:     by_value
    .group_segment_fixed_size: 0
    .kernarg_segment_align: 8
    .kernarg_segment_size: 56
    .language:       OpenCL C
    .language_version:
      - 2
      - 0
    .max_flat_workgroup_size: 256
    .name:           _ZN7rocprim17ROCPRIM_400000_NS6detail17trampoline_kernelINS0_14default_configENS1_29binary_search_config_selectorIybEEZNS1_14transform_implILb0ES3_S5_N6thrust23THRUST_200600_302600_NS17counting_iteratorIyNS8_11use_defaultESA_SA_EEPbZNS1_13binary_searchIS3_S5_PySB_SC_NS1_16binary_search_opENS8_6detail16wrapped_functionINS0_4lessIvEEbEEEE10hipError_tPvRmT1_T2_T3_mmT4_T5_P12ihipStream_tbEUlRKyE_EESL_SP_SQ_mSR_SU_bEUlT_E_NS1_11comp_targetILNS1_3genE10ELNS1_11target_archE1201ELNS1_3gpuE5ELNS1_3repE0EEENS1_30default_config_static_selectorELNS0_4arch9wavefront6targetE1EEEvSO_
    .private_segment_fixed_size: 0
    .sgpr_count:     4
    .sgpr_spill_count: 0
    .symbol:         _ZN7rocprim17ROCPRIM_400000_NS6detail17trampoline_kernelINS0_14default_configENS1_29binary_search_config_selectorIybEEZNS1_14transform_implILb0ES3_S5_N6thrust23THRUST_200600_302600_NS17counting_iteratorIyNS8_11use_defaultESA_SA_EEPbZNS1_13binary_searchIS3_S5_PySB_SC_NS1_16binary_search_opENS8_6detail16wrapped_functionINS0_4lessIvEEbEEEE10hipError_tPvRmT1_T2_T3_mmT4_T5_P12ihipStream_tbEUlRKyE_EESL_SP_SQ_mSR_SU_bEUlT_E_NS1_11comp_targetILNS1_3genE10ELNS1_11target_archE1201ELNS1_3gpuE5ELNS1_3repE0EEENS1_30default_config_static_selectorELNS0_4arch9wavefront6targetE1EEEvSO_.kd
    .uniform_work_group_size: 1
    .uses_dynamic_stack: false
    .vgpr_count:     0
    .vgpr_spill_count: 0
    .wavefront_size: 64
  - .agpr_count:     0
    .args:
      - .offset:         0
        .size:           56
        .value_kind:     by_value
    .group_segment_fixed_size: 0
    .kernarg_segment_align: 8
    .kernarg_segment_size: 56
    .language:       OpenCL C
    .language_version:
      - 2
      - 0
    .max_flat_workgroup_size: 128
    .name:           _ZN7rocprim17ROCPRIM_400000_NS6detail17trampoline_kernelINS0_14default_configENS1_29binary_search_config_selectorIybEEZNS1_14transform_implILb0ES3_S5_N6thrust23THRUST_200600_302600_NS17counting_iteratorIyNS8_11use_defaultESA_SA_EEPbZNS1_13binary_searchIS3_S5_PySB_SC_NS1_16binary_search_opENS8_6detail16wrapped_functionINS0_4lessIvEEbEEEE10hipError_tPvRmT1_T2_T3_mmT4_T5_P12ihipStream_tbEUlRKyE_EESL_SP_SQ_mSR_SU_bEUlT_E_NS1_11comp_targetILNS1_3genE10ELNS1_11target_archE1200ELNS1_3gpuE4ELNS1_3repE0EEENS1_30default_config_static_selectorELNS0_4arch9wavefront6targetE1EEEvSO_
    .private_segment_fixed_size: 0
    .sgpr_count:     4
    .sgpr_spill_count: 0
    .symbol:         _ZN7rocprim17ROCPRIM_400000_NS6detail17trampoline_kernelINS0_14default_configENS1_29binary_search_config_selectorIybEEZNS1_14transform_implILb0ES3_S5_N6thrust23THRUST_200600_302600_NS17counting_iteratorIyNS8_11use_defaultESA_SA_EEPbZNS1_13binary_searchIS3_S5_PySB_SC_NS1_16binary_search_opENS8_6detail16wrapped_functionINS0_4lessIvEEbEEEE10hipError_tPvRmT1_T2_T3_mmT4_T5_P12ihipStream_tbEUlRKyE_EESL_SP_SQ_mSR_SU_bEUlT_E_NS1_11comp_targetILNS1_3genE10ELNS1_11target_archE1200ELNS1_3gpuE4ELNS1_3repE0EEENS1_30default_config_static_selectorELNS0_4arch9wavefront6targetE1EEEvSO_.kd
    .uniform_work_group_size: 1
    .uses_dynamic_stack: false
    .vgpr_count:     0
    .vgpr_spill_count: 0
    .wavefront_size: 64
  - .agpr_count:     0
    .args:
      - .offset:         0
        .size:           56
        .value_kind:     by_value
    .group_segment_fixed_size: 0
    .kernarg_segment_align: 8
    .kernarg_segment_size: 56
    .language:       OpenCL C
    .language_version:
      - 2
      - 0
    .max_flat_workgroup_size: 64
    .name:           _ZN7rocprim17ROCPRIM_400000_NS6detail17trampoline_kernelINS0_14default_configENS1_29binary_search_config_selectorIybEEZNS1_14transform_implILb0ES3_S5_N6thrust23THRUST_200600_302600_NS17counting_iteratorIyNS8_11use_defaultESA_SA_EEPbZNS1_13binary_searchIS3_S5_PySB_SC_NS1_16binary_search_opENS8_6detail16wrapped_functionINS0_4lessIvEEbEEEE10hipError_tPvRmT1_T2_T3_mmT4_T5_P12ihipStream_tbEUlRKyE_EESL_SP_SQ_mSR_SU_bEUlT_E_NS1_11comp_targetILNS1_3genE9ELNS1_11target_archE1100ELNS1_3gpuE3ELNS1_3repE0EEENS1_30default_config_static_selectorELNS0_4arch9wavefront6targetE1EEEvSO_
    .private_segment_fixed_size: 0
    .sgpr_count:     4
    .sgpr_spill_count: 0
    .symbol:         _ZN7rocprim17ROCPRIM_400000_NS6detail17trampoline_kernelINS0_14default_configENS1_29binary_search_config_selectorIybEEZNS1_14transform_implILb0ES3_S5_N6thrust23THRUST_200600_302600_NS17counting_iteratorIyNS8_11use_defaultESA_SA_EEPbZNS1_13binary_searchIS3_S5_PySB_SC_NS1_16binary_search_opENS8_6detail16wrapped_functionINS0_4lessIvEEbEEEE10hipError_tPvRmT1_T2_T3_mmT4_T5_P12ihipStream_tbEUlRKyE_EESL_SP_SQ_mSR_SU_bEUlT_E_NS1_11comp_targetILNS1_3genE9ELNS1_11target_archE1100ELNS1_3gpuE3ELNS1_3repE0EEENS1_30default_config_static_selectorELNS0_4arch9wavefront6targetE1EEEvSO_.kd
    .uniform_work_group_size: 1
    .uses_dynamic_stack: false
    .vgpr_count:     0
    .vgpr_spill_count: 0
    .wavefront_size: 64
  - .agpr_count:     0
    .args:
      - .offset:         0
        .size:           56
        .value_kind:     by_value
    .group_segment_fixed_size: 0
    .kernarg_segment_align: 8
    .kernarg_segment_size: 56
    .language:       OpenCL C
    .language_version:
      - 2
      - 0
    .max_flat_workgroup_size: 256
    .name:           _ZN7rocprim17ROCPRIM_400000_NS6detail17trampoline_kernelINS0_14default_configENS1_29binary_search_config_selectorIybEEZNS1_14transform_implILb0ES3_S5_N6thrust23THRUST_200600_302600_NS17counting_iteratorIyNS8_11use_defaultESA_SA_EEPbZNS1_13binary_searchIS3_S5_PySB_SC_NS1_16binary_search_opENS8_6detail16wrapped_functionINS0_4lessIvEEbEEEE10hipError_tPvRmT1_T2_T3_mmT4_T5_P12ihipStream_tbEUlRKyE_EESL_SP_SQ_mSR_SU_bEUlT_E_NS1_11comp_targetILNS1_3genE8ELNS1_11target_archE1030ELNS1_3gpuE2ELNS1_3repE0EEENS1_30default_config_static_selectorELNS0_4arch9wavefront6targetE1EEEvSO_
    .private_segment_fixed_size: 0
    .sgpr_count:     4
    .sgpr_spill_count: 0
    .symbol:         _ZN7rocprim17ROCPRIM_400000_NS6detail17trampoline_kernelINS0_14default_configENS1_29binary_search_config_selectorIybEEZNS1_14transform_implILb0ES3_S5_N6thrust23THRUST_200600_302600_NS17counting_iteratorIyNS8_11use_defaultESA_SA_EEPbZNS1_13binary_searchIS3_S5_PySB_SC_NS1_16binary_search_opENS8_6detail16wrapped_functionINS0_4lessIvEEbEEEE10hipError_tPvRmT1_T2_T3_mmT4_T5_P12ihipStream_tbEUlRKyE_EESL_SP_SQ_mSR_SU_bEUlT_E_NS1_11comp_targetILNS1_3genE8ELNS1_11target_archE1030ELNS1_3gpuE2ELNS1_3repE0EEENS1_30default_config_static_selectorELNS0_4arch9wavefront6targetE1EEEvSO_.kd
    .uniform_work_group_size: 1
    .uses_dynamic_stack: false
    .vgpr_count:     0
    .vgpr_spill_count: 0
    .wavefront_size: 64
  - .agpr_count:     0
    .args:
      - .offset:         0
        .size:           8
        .value_kind:     by_value
      - .address_space:  global
        .offset:         8
        .size:           8
        .value_kind:     global_buffer
      - .address_space:  global
        .offset:         16
        .size:           8
        .value_kind:     global_buffer
    .group_segment_fixed_size: 0
    .kernarg_segment_align: 8
    .kernarg_segment_size: 24
    .language:       OpenCL C
    .language_version:
      - 2
      - 0
    .max_flat_workgroup_size: 256
    .name:           _Z20binary_search_kernelIjEvmPT_Pb
    .private_segment_fixed_size: 0
    .sgpr_count:     23
    .sgpr_spill_count: 0
    .symbol:         _Z20binary_search_kernelIjEvmPT_Pb.kd
    .uniform_work_group_size: 1
    .uses_dynamic_stack: false
    .vgpr_count:     3
    .vgpr_spill_count: 0
    .wavefront_size: 64
  - .agpr_count:     0
    .args:
      - .offset:         0
        .size:           56
        .value_kind:     by_value
    .group_segment_fixed_size: 0
    .kernarg_segment_align: 8
    .kernarg_segment_size: 56
    .language:       OpenCL C
    .language_version:
      - 2
      - 0
    .max_flat_workgroup_size: 256
    .name:           _ZN7rocprim17ROCPRIM_400000_NS6detail17trampoline_kernelINS0_14default_configENS1_29binary_search_config_selectorIjbEEZNS1_14transform_implILb0ES3_S5_N6thrust23THRUST_200600_302600_NS17counting_iteratorIjNS8_11use_defaultESA_SA_EEPbZNS1_13binary_searchIS3_S5_PjSB_SC_NS1_16binary_search_opENS8_6detail16wrapped_functionINS0_4lessIvEEbEEEE10hipError_tPvRmT1_T2_T3_mmT4_T5_P12ihipStream_tbEUlRKjE_EESL_SP_SQ_mSR_SU_bEUlT_E_NS1_11comp_targetILNS1_3genE0ELNS1_11target_archE4294967295ELNS1_3gpuE0ELNS1_3repE0EEENS1_30default_config_static_selectorELNS0_4arch9wavefront6targetE1EEEvSO_
    .private_segment_fixed_size: 0
    .sgpr_count:     4
    .sgpr_spill_count: 0
    .symbol:         _ZN7rocprim17ROCPRIM_400000_NS6detail17trampoline_kernelINS0_14default_configENS1_29binary_search_config_selectorIjbEEZNS1_14transform_implILb0ES3_S5_N6thrust23THRUST_200600_302600_NS17counting_iteratorIjNS8_11use_defaultESA_SA_EEPbZNS1_13binary_searchIS3_S5_PjSB_SC_NS1_16binary_search_opENS8_6detail16wrapped_functionINS0_4lessIvEEbEEEE10hipError_tPvRmT1_T2_T3_mmT4_T5_P12ihipStream_tbEUlRKjE_EESL_SP_SQ_mSR_SU_bEUlT_E_NS1_11comp_targetILNS1_3genE0ELNS1_11target_archE4294967295ELNS1_3gpuE0ELNS1_3repE0EEENS1_30default_config_static_selectorELNS0_4arch9wavefront6targetE1EEEvSO_.kd
    .uniform_work_group_size: 1
    .uses_dynamic_stack: false
    .vgpr_count:     0
    .vgpr_spill_count: 0
    .wavefront_size: 64
  - .agpr_count:     0
    .args:
      - .offset:         0
        .size:           56
        .value_kind:     by_value
    .group_segment_fixed_size: 0
    .kernarg_segment_align: 8
    .kernarg_segment_size: 56
    .language:       OpenCL C
    .language_version:
      - 2
      - 0
    .max_flat_workgroup_size: 256
    .name:           _ZN7rocprim17ROCPRIM_400000_NS6detail17trampoline_kernelINS0_14default_configENS1_29binary_search_config_selectorIjbEEZNS1_14transform_implILb0ES3_S5_N6thrust23THRUST_200600_302600_NS17counting_iteratorIjNS8_11use_defaultESA_SA_EEPbZNS1_13binary_searchIS3_S5_PjSB_SC_NS1_16binary_search_opENS8_6detail16wrapped_functionINS0_4lessIvEEbEEEE10hipError_tPvRmT1_T2_T3_mmT4_T5_P12ihipStream_tbEUlRKjE_EESL_SP_SQ_mSR_SU_bEUlT_E_NS1_11comp_targetILNS1_3genE5ELNS1_11target_archE942ELNS1_3gpuE9ELNS1_3repE0EEENS1_30default_config_static_selectorELNS0_4arch9wavefront6targetE1EEEvSO_
    .private_segment_fixed_size: 0
    .sgpr_count:     4
    .sgpr_spill_count: 0
    .symbol:         _ZN7rocprim17ROCPRIM_400000_NS6detail17trampoline_kernelINS0_14default_configENS1_29binary_search_config_selectorIjbEEZNS1_14transform_implILb0ES3_S5_N6thrust23THRUST_200600_302600_NS17counting_iteratorIjNS8_11use_defaultESA_SA_EEPbZNS1_13binary_searchIS3_S5_PjSB_SC_NS1_16binary_search_opENS8_6detail16wrapped_functionINS0_4lessIvEEbEEEE10hipError_tPvRmT1_T2_T3_mmT4_T5_P12ihipStream_tbEUlRKjE_EESL_SP_SQ_mSR_SU_bEUlT_E_NS1_11comp_targetILNS1_3genE5ELNS1_11target_archE942ELNS1_3gpuE9ELNS1_3repE0EEENS1_30default_config_static_selectorELNS0_4arch9wavefront6targetE1EEEvSO_.kd
    .uniform_work_group_size: 1
    .uses_dynamic_stack: false
    .vgpr_count:     0
    .vgpr_spill_count: 0
    .wavefront_size: 64
  - .agpr_count:     0
    .args:
      - .offset:         0
        .size:           56
        .value_kind:     by_value
      - .offset:         56
        .size:           4
        .value_kind:     hidden_block_count_x
      - .offset:         60
        .size:           4
        .value_kind:     hidden_block_count_y
      - .offset:         64
        .size:           4
        .value_kind:     hidden_block_count_z
      - .offset:         68
        .size:           2
        .value_kind:     hidden_group_size_x
      - .offset:         70
        .size:           2
        .value_kind:     hidden_group_size_y
      - .offset:         72
        .size:           2
        .value_kind:     hidden_group_size_z
      - .offset:         74
        .size:           2
        .value_kind:     hidden_remainder_x
      - .offset:         76
        .size:           2
        .value_kind:     hidden_remainder_y
      - .offset:         78
        .size:           2
        .value_kind:     hidden_remainder_z
      - .offset:         96
        .size:           8
        .value_kind:     hidden_global_offset_x
      - .offset:         104
        .size:           8
        .value_kind:     hidden_global_offset_y
      - .offset:         112
        .size:           8
        .value_kind:     hidden_global_offset_z
      - .offset:         120
        .size:           2
        .value_kind:     hidden_grid_dims
    .group_segment_fixed_size: 0
    .kernarg_segment_align: 8
    .kernarg_segment_size: 312
    .language:       OpenCL C
    .language_version:
      - 2
      - 0
    .max_flat_workgroup_size: 256
    .name:           _ZN7rocprim17ROCPRIM_400000_NS6detail17trampoline_kernelINS0_14default_configENS1_29binary_search_config_selectorIjbEEZNS1_14transform_implILb0ES3_S5_N6thrust23THRUST_200600_302600_NS17counting_iteratorIjNS8_11use_defaultESA_SA_EEPbZNS1_13binary_searchIS3_S5_PjSB_SC_NS1_16binary_search_opENS8_6detail16wrapped_functionINS0_4lessIvEEbEEEE10hipError_tPvRmT1_T2_T3_mmT4_T5_P12ihipStream_tbEUlRKjE_EESL_SP_SQ_mSR_SU_bEUlT_E_NS1_11comp_targetILNS1_3genE4ELNS1_11target_archE910ELNS1_3gpuE8ELNS1_3repE0EEENS1_30default_config_static_selectorELNS0_4arch9wavefront6targetE1EEEvSO_
    .private_segment_fixed_size: 0
    .sgpr_count:     22
    .sgpr_spill_count: 0
    .symbol:         _ZN7rocprim17ROCPRIM_400000_NS6detail17trampoline_kernelINS0_14default_configENS1_29binary_search_config_selectorIjbEEZNS1_14transform_implILb0ES3_S5_N6thrust23THRUST_200600_302600_NS17counting_iteratorIjNS8_11use_defaultESA_SA_EEPbZNS1_13binary_searchIS3_S5_PjSB_SC_NS1_16binary_search_opENS8_6detail16wrapped_functionINS0_4lessIvEEbEEEE10hipError_tPvRmT1_T2_T3_mmT4_T5_P12ihipStream_tbEUlRKjE_EESL_SP_SQ_mSR_SU_bEUlT_E_NS1_11comp_targetILNS1_3genE4ELNS1_11target_archE910ELNS1_3gpuE8ELNS1_3repE0EEENS1_30default_config_static_selectorELNS0_4arch9wavefront6targetE1EEEvSO_.kd
    .uniform_work_group_size: 1
    .uses_dynamic_stack: false
    .vgpr_count:     12
    .vgpr_spill_count: 0
    .wavefront_size: 64
  - .agpr_count:     0
    .args:
      - .offset:         0
        .size:           56
        .value_kind:     by_value
    .group_segment_fixed_size: 0
    .kernarg_segment_align: 8
    .kernarg_segment_size: 56
    .language:       OpenCL C
    .language_version:
      - 2
      - 0
    .max_flat_workgroup_size: 256
    .name:           _ZN7rocprim17ROCPRIM_400000_NS6detail17trampoline_kernelINS0_14default_configENS1_29binary_search_config_selectorIjbEEZNS1_14transform_implILb0ES3_S5_N6thrust23THRUST_200600_302600_NS17counting_iteratorIjNS8_11use_defaultESA_SA_EEPbZNS1_13binary_searchIS3_S5_PjSB_SC_NS1_16binary_search_opENS8_6detail16wrapped_functionINS0_4lessIvEEbEEEE10hipError_tPvRmT1_T2_T3_mmT4_T5_P12ihipStream_tbEUlRKjE_EESL_SP_SQ_mSR_SU_bEUlT_E_NS1_11comp_targetILNS1_3genE3ELNS1_11target_archE908ELNS1_3gpuE7ELNS1_3repE0EEENS1_30default_config_static_selectorELNS0_4arch9wavefront6targetE1EEEvSO_
    .private_segment_fixed_size: 0
    .sgpr_count:     4
    .sgpr_spill_count: 0
    .symbol:         _ZN7rocprim17ROCPRIM_400000_NS6detail17trampoline_kernelINS0_14default_configENS1_29binary_search_config_selectorIjbEEZNS1_14transform_implILb0ES3_S5_N6thrust23THRUST_200600_302600_NS17counting_iteratorIjNS8_11use_defaultESA_SA_EEPbZNS1_13binary_searchIS3_S5_PjSB_SC_NS1_16binary_search_opENS8_6detail16wrapped_functionINS0_4lessIvEEbEEEE10hipError_tPvRmT1_T2_T3_mmT4_T5_P12ihipStream_tbEUlRKjE_EESL_SP_SQ_mSR_SU_bEUlT_E_NS1_11comp_targetILNS1_3genE3ELNS1_11target_archE908ELNS1_3gpuE7ELNS1_3repE0EEENS1_30default_config_static_selectorELNS0_4arch9wavefront6targetE1EEEvSO_.kd
    .uniform_work_group_size: 1
    .uses_dynamic_stack: false
    .vgpr_count:     0
    .vgpr_spill_count: 0
    .wavefront_size: 64
  - .agpr_count:     0
    .args:
      - .offset:         0
        .size:           56
        .value_kind:     by_value
    .group_segment_fixed_size: 0
    .kernarg_segment_align: 8
    .kernarg_segment_size: 56
    .language:       OpenCL C
    .language_version:
      - 2
      - 0
    .max_flat_workgroup_size: 256
    .name:           _ZN7rocprim17ROCPRIM_400000_NS6detail17trampoline_kernelINS0_14default_configENS1_29binary_search_config_selectorIjbEEZNS1_14transform_implILb0ES3_S5_N6thrust23THRUST_200600_302600_NS17counting_iteratorIjNS8_11use_defaultESA_SA_EEPbZNS1_13binary_searchIS3_S5_PjSB_SC_NS1_16binary_search_opENS8_6detail16wrapped_functionINS0_4lessIvEEbEEEE10hipError_tPvRmT1_T2_T3_mmT4_T5_P12ihipStream_tbEUlRKjE_EESL_SP_SQ_mSR_SU_bEUlT_E_NS1_11comp_targetILNS1_3genE2ELNS1_11target_archE906ELNS1_3gpuE6ELNS1_3repE0EEENS1_30default_config_static_selectorELNS0_4arch9wavefront6targetE1EEEvSO_
    .private_segment_fixed_size: 0
    .sgpr_count:     4
    .sgpr_spill_count: 0
    .symbol:         _ZN7rocprim17ROCPRIM_400000_NS6detail17trampoline_kernelINS0_14default_configENS1_29binary_search_config_selectorIjbEEZNS1_14transform_implILb0ES3_S5_N6thrust23THRUST_200600_302600_NS17counting_iteratorIjNS8_11use_defaultESA_SA_EEPbZNS1_13binary_searchIS3_S5_PjSB_SC_NS1_16binary_search_opENS8_6detail16wrapped_functionINS0_4lessIvEEbEEEE10hipError_tPvRmT1_T2_T3_mmT4_T5_P12ihipStream_tbEUlRKjE_EESL_SP_SQ_mSR_SU_bEUlT_E_NS1_11comp_targetILNS1_3genE2ELNS1_11target_archE906ELNS1_3gpuE6ELNS1_3repE0EEENS1_30default_config_static_selectorELNS0_4arch9wavefront6targetE1EEEvSO_.kd
    .uniform_work_group_size: 1
    .uses_dynamic_stack: false
    .vgpr_count:     0
    .vgpr_spill_count: 0
    .wavefront_size: 64
  - .agpr_count:     0
    .args:
      - .offset:         0
        .size:           56
        .value_kind:     by_value
    .group_segment_fixed_size: 0
    .kernarg_segment_align: 8
    .kernarg_segment_size: 56
    .language:       OpenCL C
    .language_version:
      - 2
      - 0
    .max_flat_workgroup_size: 128
    .name:           _ZN7rocprim17ROCPRIM_400000_NS6detail17trampoline_kernelINS0_14default_configENS1_29binary_search_config_selectorIjbEEZNS1_14transform_implILb0ES3_S5_N6thrust23THRUST_200600_302600_NS17counting_iteratorIjNS8_11use_defaultESA_SA_EEPbZNS1_13binary_searchIS3_S5_PjSB_SC_NS1_16binary_search_opENS8_6detail16wrapped_functionINS0_4lessIvEEbEEEE10hipError_tPvRmT1_T2_T3_mmT4_T5_P12ihipStream_tbEUlRKjE_EESL_SP_SQ_mSR_SU_bEUlT_E_NS1_11comp_targetILNS1_3genE10ELNS1_11target_archE1201ELNS1_3gpuE5ELNS1_3repE0EEENS1_30default_config_static_selectorELNS0_4arch9wavefront6targetE1EEEvSO_
    .private_segment_fixed_size: 0
    .sgpr_count:     4
    .sgpr_spill_count: 0
    .symbol:         _ZN7rocprim17ROCPRIM_400000_NS6detail17trampoline_kernelINS0_14default_configENS1_29binary_search_config_selectorIjbEEZNS1_14transform_implILb0ES3_S5_N6thrust23THRUST_200600_302600_NS17counting_iteratorIjNS8_11use_defaultESA_SA_EEPbZNS1_13binary_searchIS3_S5_PjSB_SC_NS1_16binary_search_opENS8_6detail16wrapped_functionINS0_4lessIvEEbEEEE10hipError_tPvRmT1_T2_T3_mmT4_T5_P12ihipStream_tbEUlRKjE_EESL_SP_SQ_mSR_SU_bEUlT_E_NS1_11comp_targetILNS1_3genE10ELNS1_11target_archE1201ELNS1_3gpuE5ELNS1_3repE0EEENS1_30default_config_static_selectorELNS0_4arch9wavefront6targetE1EEEvSO_.kd
    .uniform_work_group_size: 1
    .uses_dynamic_stack: false
    .vgpr_count:     0
    .vgpr_spill_count: 0
    .wavefront_size: 64
  - .agpr_count:     0
    .args:
      - .offset:         0
        .size:           56
        .value_kind:     by_value
    .group_segment_fixed_size: 0
    .kernarg_segment_align: 8
    .kernarg_segment_size: 56
    .language:       OpenCL C
    .language_version:
      - 2
      - 0
    .max_flat_workgroup_size: 128
    .name:           _ZN7rocprim17ROCPRIM_400000_NS6detail17trampoline_kernelINS0_14default_configENS1_29binary_search_config_selectorIjbEEZNS1_14transform_implILb0ES3_S5_N6thrust23THRUST_200600_302600_NS17counting_iteratorIjNS8_11use_defaultESA_SA_EEPbZNS1_13binary_searchIS3_S5_PjSB_SC_NS1_16binary_search_opENS8_6detail16wrapped_functionINS0_4lessIvEEbEEEE10hipError_tPvRmT1_T2_T3_mmT4_T5_P12ihipStream_tbEUlRKjE_EESL_SP_SQ_mSR_SU_bEUlT_E_NS1_11comp_targetILNS1_3genE10ELNS1_11target_archE1200ELNS1_3gpuE4ELNS1_3repE0EEENS1_30default_config_static_selectorELNS0_4arch9wavefront6targetE1EEEvSO_
    .private_segment_fixed_size: 0
    .sgpr_count:     4
    .sgpr_spill_count: 0
    .symbol:         _ZN7rocprim17ROCPRIM_400000_NS6detail17trampoline_kernelINS0_14default_configENS1_29binary_search_config_selectorIjbEEZNS1_14transform_implILb0ES3_S5_N6thrust23THRUST_200600_302600_NS17counting_iteratorIjNS8_11use_defaultESA_SA_EEPbZNS1_13binary_searchIS3_S5_PjSB_SC_NS1_16binary_search_opENS8_6detail16wrapped_functionINS0_4lessIvEEbEEEE10hipError_tPvRmT1_T2_T3_mmT4_T5_P12ihipStream_tbEUlRKjE_EESL_SP_SQ_mSR_SU_bEUlT_E_NS1_11comp_targetILNS1_3genE10ELNS1_11target_archE1200ELNS1_3gpuE4ELNS1_3repE0EEENS1_30default_config_static_selectorELNS0_4arch9wavefront6targetE1EEEvSO_.kd
    .uniform_work_group_size: 1
    .uses_dynamic_stack: false
    .vgpr_count:     0
    .vgpr_spill_count: 0
    .wavefront_size: 64
  - .agpr_count:     0
    .args:
      - .offset:         0
        .size:           56
        .value_kind:     by_value
    .group_segment_fixed_size: 0
    .kernarg_segment_align: 8
    .kernarg_segment_size: 56
    .language:       OpenCL C
    .language_version:
      - 2
      - 0
    .max_flat_workgroup_size: 256
    .name:           _ZN7rocprim17ROCPRIM_400000_NS6detail17trampoline_kernelINS0_14default_configENS1_29binary_search_config_selectorIjbEEZNS1_14transform_implILb0ES3_S5_N6thrust23THRUST_200600_302600_NS17counting_iteratorIjNS8_11use_defaultESA_SA_EEPbZNS1_13binary_searchIS3_S5_PjSB_SC_NS1_16binary_search_opENS8_6detail16wrapped_functionINS0_4lessIvEEbEEEE10hipError_tPvRmT1_T2_T3_mmT4_T5_P12ihipStream_tbEUlRKjE_EESL_SP_SQ_mSR_SU_bEUlT_E_NS1_11comp_targetILNS1_3genE9ELNS1_11target_archE1100ELNS1_3gpuE3ELNS1_3repE0EEENS1_30default_config_static_selectorELNS0_4arch9wavefront6targetE1EEEvSO_
    .private_segment_fixed_size: 0
    .sgpr_count:     4
    .sgpr_spill_count: 0
    .symbol:         _ZN7rocprim17ROCPRIM_400000_NS6detail17trampoline_kernelINS0_14default_configENS1_29binary_search_config_selectorIjbEEZNS1_14transform_implILb0ES3_S5_N6thrust23THRUST_200600_302600_NS17counting_iteratorIjNS8_11use_defaultESA_SA_EEPbZNS1_13binary_searchIS3_S5_PjSB_SC_NS1_16binary_search_opENS8_6detail16wrapped_functionINS0_4lessIvEEbEEEE10hipError_tPvRmT1_T2_T3_mmT4_T5_P12ihipStream_tbEUlRKjE_EESL_SP_SQ_mSR_SU_bEUlT_E_NS1_11comp_targetILNS1_3genE9ELNS1_11target_archE1100ELNS1_3gpuE3ELNS1_3repE0EEENS1_30default_config_static_selectorELNS0_4arch9wavefront6targetE1EEEvSO_.kd
    .uniform_work_group_size: 1
    .uses_dynamic_stack: false
    .vgpr_count:     0
    .vgpr_spill_count: 0
    .wavefront_size: 64
  - .agpr_count:     0
    .args:
      - .offset:         0
        .size:           56
        .value_kind:     by_value
    .group_segment_fixed_size: 0
    .kernarg_segment_align: 8
    .kernarg_segment_size: 56
    .language:       OpenCL C
    .language_version:
      - 2
      - 0
    .max_flat_workgroup_size: 256
    .name:           _ZN7rocprim17ROCPRIM_400000_NS6detail17trampoline_kernelINS0_14default_configENS1_29binary_search_config_selectorIjbEEZNS1_14transform_implILb0ES3_S5_N6thrust23THRUST_200600_302600_NS17counting_iteratorIjNS8_11use_defaultESA_SA_EEPbZNS1_13binary_searchIS3_S5_PjSB_SC_NS1_16binary_search_opENS8_6detail16wrapped_functionINS0_4lessIvEEbEEEE10hipError_tPvRmT1_T2_T3_mmT4_T5_P12ihipStream_tbEUlRKjE_EESL_SP_SQ_mSR_SU_bEUlT_E_NS1_11comp_targetILNS1_3genE8ELNS1_11target_archE1030ELNS1_3gpuE2ELNS1_3repE0EEENS1_30default_config_static_selectorELNS0_4arch9wavefront6targetE1EEEvSO_
    .private_segment_fixed_size: 0
    .sgpr_count:     4
    .sgpr_spill_count: 0
    .symbol:         _ZN7rocprim17ROCPRIM_400000_NS6detail17trampoline_kernelINS0_14default_configENS1_29binary_search_config_selectorIjbEEZNS1_14transform_implILb0ES3_S5_N6thrust23THRUST_200600_302600_NS17counting_iteratorIjNS8_11use_defaultESA_SA_EEPbZNS1_13binary_searchIS3_S5_PjSB_SC_NS1_16binary_search_opENS8_6detail16wrapped_functionINS0_4lessIvEEbEEEE10hipError_tPvRmT1_T2_T3_mmT4_T5_P12ihipStream_tbEUlRKjE_EESL_SP_SQ_mSR_SU_bEUlT_E_NS1_11comp_targetILNS1_3genE8ELNS1_11target_archE1030ELNS1_3gpuE2ELNS1_3repE0EEENS1_30default_config_static_selectorELNS0_4arch9wavefront6targetE1EEEvSO_.kd
    .uniform_work_group_size: 1
    .uses_dynamic_stack: false
    .vgpr_count:     0
    .vgpr_spill_count: 0
    .wavefront_size: 64
  - .agpr_count:     0
    .args:
      - .offset:         0
        .size:           8
        .value_kind:     by_value
      - .address_space:  global
        .offset:         8
        .size:           8
        .value_kind:     global_buffer
      - .address_space:  global
        .offset:         16
        .size:           8
        .value_kind:     global_buffer
    .group_segment_fixed_size: 0
    .kernarg_segment_align: 8
    .kernarg_segment_size: 24
    .language:       OpenCL C
    .language_version:
      - 2
      - 0
    .max_flat_workgroup_size: 256
    .name:           _Z20binary_search_kernelItEvmPT_Pb
    .private_segment_fixed_size: 0
    .sgpr_count:     24
    .sgpr_spill_count: 0
    .symbol:         _Z20binary_search_kernelItEvmPT_Pb.kd
    .uniform_work_group_size: 1
    .uses_dynamic_stack: false
    .vgpr_count:     4
    .vgpr_spill_count: 0
    .wavefront_size: 64
  - .agpr_count:     0
    .args:
      - .offset:         0
        .size:           56
        .value_kind:     by_value
    .group_segment_fixed_size: 0
    .kernarg_segment_align: 8
    .kernarg_segment_size: 56
    .language:       OpenCL C
    .language_version:
      - 2
      - 0
    .max_flat_workgroup_size: 128
    .name:           _ZN7rocprim17ROCPRIM_400000_NS6detail17trampoline_kernelINS0_14default_configENS1_29binary_search_config_selectorItbEEZNS1_14transform_implILb0ES3_S5_N6thrust23THRUST_200600_302600_NS17counting_iteratorItNS8_11use_defaultESA_SA_EEPbZNS1_13binary_searchIS3_S5_PtSB_SC_NS1_16binary_search_opENS8_6detail16wrapped_functionINS0_4lessIvEEbEEEE10hipError_tPvRmT1_T2_T3_mmT4_T5_P12ihipStream_tbEUlRKtE_EESL_SP_SQ_mSR_SU_bEUlT_E_NS1_11comp_targetILNS1_3genE0ELNS1_11target_archE4294967295ELNS1_3gpuE0ELNS1_3repE0EEENS1_30default_config_static_selectorELNS0_4arch9wavefront6targetE1EEEvSO_
    .private_segment_fixed_size: 0
    .sgpr_count:     4
    .sgpr_spill_count: 0
    .symbol:         _ZN7rocprim17ROCPRIM_400000_NS6detail17trampoline_kernelINS0_14default_configENS1_29binary_search_config_selectorItbEEZNS1_14transform_implILb0ES3_S5_N6thrust23THRUST_200600_302600_NS17counting_iteratorItNS8_11use_defaultESA_SA_EEPbZNS1_13binary_searchIS3_S5_PtSB_SC_NS1_16binary_search_opENS8_6detail16wrapped_functionINS0_4lessIvEEbEEEE10hipError_tPvRmT1_T2_T3_mmT4_T5_P12ihipStream_tbEUlRKtE_EESL_SP_SQ_mSR_SU_bEUlT_E_NS1_11comp_targetILNS1_3genE0ELNS1_11target_archE4294967295ELNS1_3gpuE0ELNS1_3repE0EEENS1_30default_config_static_selectorELNS0_4arch9wavefront6targetE1EEEvSO_.kd
    .uniform_work_group_size: 1
    .uses_dynamic_stack: false
    .vgpr_count:     0
    .vgpr_spill_count: 0
    .wavefront_size: 64
  - .agpr_count:     0
    .args:
      - .offset:         0
        .size:           56
        .value_kind:     by_value
    .group_segment_fixed_size: 0
    .kernarg_segment_align: 8
    .kernarg_segment_size: 56
    .language:       OpenCL C
    .language_version:
      - 2
      - 0
    .max_flat_workgroup_size: 256
    .name:           _ZN7rocprim17ROCPRIM_400000_NS6detail17trampoline_kernelINS0_14default_configENS1_29binary_search_config_selectorItbEEZNS1_14transform_implILb0ES3_S5_N6thrust23THRUST_200600_302600_NS17counting_iteratorItNS8_11use_defaultESA_SA_EEPbZNS1_13binary_searchIS3_S5_PtSB_SC_NS1_16binary_search_opENS8_6detail16wrapped_functionINS0_4lessIvEEbEEEE10hipError_tPvRmT1_T2_T3_mmT4_T5_P12ihipStream_tbEUlRKtE_EESL_SP_SQ_mSR_SU_bEUlT_E_NS1_11comp_targetILNS1_3genE5ELNS1_11target_archE942ELNS1_3gpuE9ELNS1_3repE0EEENS1_30default_config_static_selectorELNS0_4arch9wavefront6targetE1EEEvSO_
    .private_segment_fixed_size: 0
    .sgpr_count:     4
    .sgpr_spill_count: 0
    .symbol:         _ZN7rocprim17ROCPRIM_400000_NS6detail17trampoline_kernelINS0_14default_configENS1_29binary_search_config_selectorItbEEZNS1_14transform_implILb0ES3_S5_N6thrust23THRUST_200600_302600_NS17counting_iteratorItNS8_11use_defaultESA_SA_EEPbZNS1_13binary_searchIS3_S5_PtSB_SC_NS1_16binary_search_opENS8_6detail16wrapped_functionINS0_4lessIvEEbEEEE10hipError_tPvRmT1_T2_T3_mmT4_T5_P12ihipStream_tbEUlRKtE_EESL_SP_SQ_mSR_SU_bEUlT_E_NS1_11comp_targetILNS1_3genE5ELNS1_11target_archE942ELNS1_3gpuE9ELNS1_3repE0EEENS1_30default_config_static_selectorELNS0_4arch9wavefront6targetE1EEEvSO_.kd
    .uniform_work_group_size: 1
    .uses_dynamic_stack: false
    .vgpr_count:     0
    .vgpr_spill_count: 0
    .wavefront_size: 64
  - .agpr_count:     0
    .args:
      - .offset:         0
        .size:           56
        .value_kind:     by_value
      - .offset:         56
        .size:           4
        .value_kind:     hidden_block_count_x
      - .offset:         60
        .size:           4
        .value_kind:     hidden_block_count_y
      - .offset:         64
        .size:           4
        .value_kind:     hidden_block_count_z
      - .offset:         68
        .size:           2
        .value_kind:     hidden_group_size_x
      - .offset:         70
        .size:           2
        .value_kind:     hidden_group_size_y
      - .offset:         72
        .size:           2
        .value_kind:     hidden_group_size_z
      - .offset:         74
        .size:           2
        .value_kind:     hidden_remainder_x
      - .offset:         76
        .size:           2
        .value_kind:     hidden_remainder_y
      - .offset:         78
        .size:           2
        .value_kind:     hidden_remainder_z
      - .offset:         96
        .size:           8
        .value_kind:     hidden_global_offset_x
      - .offset:         104
        .size:           8
        .value_kind:     hidden_global_offset_y
      - .offset:         112
        .size:           8
        .value_kind:     hidden_global_offset_z
      - .offset:         120
        .size:           2
        .value_kind:     hidden_grid_dims
    .group_segment_fixed_size: 0
    .kernarg_segment_align: 8
    .kernarg_segment_size: 312
    .language:       OpenCL C
    .language_version:
      - 2
      - 0
    .max_flat_workgroup_size: 256
    .name:           _ZN7rocprim17ROCPRIM_400000_NS6detail17trampoline_kernelINS0_14default_configENS1_29binary_search_config_selectorItbEEZNS1_14transform_implILb0ES3_S5_N6thrust23THRUST_200600_302600_NS17counting_iteratorItNS8_11use_defaultESA_SA_EEPbZNS1_13binary_searchIS3_S5_PtSB_SC_NS1_16binary_search_opENS8_6detail16wrapped_functionINS0_4lessIvEEbEEEE10hipError_tPvRmT1_T2_T3_mmT4_T5_P12ihipStream_tbEUlRKtE_EESL_SP_SQ_mSR_SU_bEUlT_E_NS1_11comp_targetILNS1_3genE4ELNS1_11target_archE910ELNS1_3gpuE8ELNS1_3repE0EEENS1_30default_config_static_selectorELNS0_4arch9wavefront6targetE1EEEvSO_
    .private_segment_fixed_size: 0
    .sgpr_count:     22
    .sgpr_spill_count: 0
    .symbol:         _ZN7rocprim17ROCPRIM_400000_NS6detail17trampoline_kernelINS0_14default_configENS1_29binary_search_config_selectorItbEEZNS1_14transform_implILb0ES3_S5_N6thrust23THRUST_200600_302600_NS17counting_iteratorItNS8_11use_defaultESA_SA_EEPbZNS1_13binary_searchIS3_S5_PtSB_SC_NS1_16binary_search_opENS8_6detail16wrapped_functionINS0_4lessIvEEbEEEE10hipError_tPvRmT1_T2_T3_mmT4_T5_P12ihipStream_tbEUlRKtE_EESL_SP_SQ_mSR_SU_bEUlT_E_NS1_11comp_targetILNS1_3genE4ELNS1_11target_archE910ELNS1_3gpuE8ELNS1_3repE0EEENS1_30default_config_static_selectorELNS0_4arch9wavefront6targetE1EEEvSO_.kd
    .uniform_work_group_size: 1
    .uses_dynamic_stack: false
    .vgpr_count:     12
    .vgpr_spill_count: 0
    .wavefront_size: 64
  - .agpr_count:     0
    .args:
      - .offset:         0
        .size:           56
        .value_kind:     by_value
    .group_segment_fixed_size: 0
    .kernarg_segment_align: 8
    .kernarg_segment_size: 56
    .language:       OpenCL C
    .language_version:
      - 2
      - 0
    .max_flat_workgroup_size: 128
    .name:           _ZN7rocprim17ROCPRIM_400000_NS6detail17trampoline_kernelINS0_14default_configENS1_29binary_search_config_selectorItbEEZNS1_14transform_implILb0ES3_S5_N6thrust23THRUST_200600_302600_NS17counting_iteratorItNS8_11use_defaultESA_SA_EEPbZNS1_13binary_searchIS3_S5_PtSB_SC_NS1_16binary_search_opENS8_6detail16wrapped_functionINS0_4lessIvEEbEEEE10hipError_tPvRmT1_T2_T3_mmT4_T5_P12ihipStream_tbEUlRKtE_EESL_SP_SQ_mSR_SU_bEUlT_E_NS1_11comp_targetILNS1_3genE3ELNS1_11target_archE908ELNS1_3gpuE7ELNS1_3repE0EEENS1_30default_config_static_selectorELNS0_4arch9wavefront6targetE1EEEvSO_
    .private_segment_fixed_size: 0
    .sgpr_count:     4
    .sgpr_spill_count: 0
    .symbol:         _ZN7rocprim17ROCPRIM_400000_NS6detail17trampoline_kernelINS0_14default_configENS1_29binary_search_config_selectorItbEEZNS1_14transform_implILb0ES3_S5_N6thrust23THRUST_200600_302600_NS17counting_iteratorItNS8_11use_defaultESA_SA_EEPbZNS1_13binary_searchIS3_S5_PtSB_SC_NS1_16binary_search_opENS8_6detail16wrapped_functionINS0_4lessIvEEbEEEE10hipError_tPvRmT1_T2_T3_mmT4_T5_P12ihipStream_tbEUlRKtE_EESL_SP_SQ_mSR_SU_bEUlT_E_NS1_11comp_targetILNS1_3genE3ELNS1_11target_archE908ELNS1_3gpuE7ELNS1_3repE0EEENS1_30default_config_static_selectorELNS0_4arch9wavefront6targetE1EEEvSO_.kd
    .uniform_work_group_size: 1
    .uses_dynamic_stack: false
    .vgpr_count:     0
    .vgpr_spill_count: 0
    .wavefront_size: 64
  - .agpr_count:     0
    .args:
      - .offset:         0
        .size:           56
        .value_kind:     by_value
    .group_segment_fixed_size: 0
    .kernarg_segment_align: 8
    .kernarg_segment_size: 56
    .language:       OpenCL C
    .language_version:
      - 2
      - 0
    .max_flat_workgroup_size: 256
    .name:           _ZN7rocprim17ROCPRIM_400000_NS6detail17trampoline_kernelINS0_14default_configENS1_29binary_search_config_selectorItbEEZNS1_14transform_implILb0ES3_S5_N6thrust23THRUST_200600_302600_NS17counting_iteratorItNS8_11use_defaultESA_SA_EEPbZNS1_13binary_searchIS3_S5_PtSB_SC_NS1_16binary_search_opENS8_6detail16wrapped_functionINS0_4lessIvEEbEEEE10hipError_tPvRmT1_T2_T3_mmT4_T5_P12ihipStream_tbEUlRKtE_EESL_SP_SQ_mSR_SU_bEUlT_E_NS1_11comp_targetILNS1_3genE2ELNS1_11target_archE906ELNS1_3gpuE6ELNS1_3repE0EEENS1_30default_config_static_selectorELNS0_4arch9wavefront6targetE1EEEvSO_
    .private_segment_fixed_size: 0
    .sgpr_count:     4
    .sgpr_spill_count: 0
    .symbol:         _ZN7rocprim17ROCPRIM_400000_NS6detail17trampoline_kernelINS0_14default_configENS1_29binary_search_config_selectorItbEEZNS1_14transform_implILb0ES3_S5_N6thrust23THRUST_200600_302600_NS17counting_iteratorItNS8_11use_defaultESA_SA_EEPbZNS1_13binary_searchIS3_S5_PtSB_SC_NS1_16binary_search_opENS8_6detail16wrapped_functionINS0_4lessIvEEbEEEE10hipError_tPvRmT1_T2_T3_mmT4_T5_P12ihipStream_tbEUlRKtE_EESL_SP_SQ_mSR_SU_bEUlT_E_NS1_11comp_targetILNS1_3genE2ELNS1_11target_archE906ELNS1_3gpuE6ELNS1_3repE0EEENS1_30default_config_static_selectorELNS0_4arch9wavefront6targetE1EEEvSO_.kd
    .uniform_work_group_size: 1
    .uses_dynamic_stack: false
    .vgpr_count:     0
    .vgpr_spill_count: 0
    .wavefront_size: 64
  - .agpr_count:     0
    .args:
      - .offset:         0
        .size:           56
        .value_kind:     by_value
    .group_segment_fixed_size: 0
    .kernarg_segment_align: 8
    .kernarg_segment_size: 56
    .language:       OpenCL C
    .language_version:
      - 2
      - 0
    .max_flat_workgroup_size: 256
    .name:           _ZN7rocprim17ROCPRIM_400000_NS6detail17trampoline_kernelINS0_14default_configENS1_29binary_search_config_selectorItbEEZNS1_14transform_implILb0ES3_S5_N6thrust23THRUST_200600_302600_NS17counting_iteratorItNS8_11use_defaultESA_SA_EEPbZNS1_13binary_searchIS3_S5_PtSB_SC_NS1_16binary_search_opENS8_6detail16wrapped_functionINS0_4lessIvEEbEEEE10hipError_tPvRmT1_T2_T3_mmT4_T5_P12ihipStream_tbEUlRKtE_EESL_SP_SQ_mSR_SU_bEUlT_E_NS1_11comp_targetILNS1_3genE10ELNS1_11target_archE1201ELNS1_3gpuE5ELNS1_3repE0EEENS1_30default_config_static_selectorELNS0_4arch9wavefront6targetE1EEEvSO_
    .private_segment_fixed_size: 0
    .sgpr_count:     4
    .sgpr_spill_count: 0
    .symbol:         _ZN7rocprim17ROCPRIM_400000_NS6detail17trampoline_kernelINS0_14default_configENS1_29binary_search_config_selectorItbEEZNS1_14transform_implILb0ES3_S5_N6thrust23THRUST_200600_302600_NS17counting_iteratorItNS8_11use_defaultESA_SA_EEPbZNS1_13binary_searchIS3_S5_PtSB_SC_NS1_16binary_search_opENS8_6detail16wrapped_functionINS0_4lessIvEEbEEEE10hipError_tPvRmT1_T2_T3_mmT4_T5_P12ihipStream_tbEUlRKtE_EESL_SP_SQ_mSR_SU_bEUlT_E_NS1_11comp_targetILNS1_3genE10ELNS1_11target_archE1201ELNS1_3gpuE5ELNS1_3repE0EEENS1_30default_config_static_selectorELNS0_4arch9wavefront6targetE1EEEvSO_.kd
    .uniform_work_group_size: 1
    .uses_dynamic_stack: false
    .vgpr_count:     0
    .vgpr_spill_count: 0
    .wavefront_size: 64
  - .agpr_count:     0
    .args:
      - .offset:         0
        .size:           56
        .value_kind:     by_value
    .group_segment_fixed_size: 0
    .kernarg_segment_align: 8
    .kernarg_segment_size: 56
    .language:       OpenCL C
    .language_version:
      - 2
      - 0
    .max_flat_workgroup_size: 256
    .name:           _ZN7rocprim17ROCPRIM_400000_NS6detail17trampoline_kernelINS0_14default_configENS1_29binary_search_config_selectorItbEEZNS1_14transform_implILb0ES3_S5_N6thrust23THRUST_200600_302600_NS17counting_iteratorItNS8_11use_defaultESA_SA_EEPbZNS1_13binary_searchIS3_S5_PtSB_SC_NS1_16binary_search_opENS8_6detail16wrapped_functionINS0_4lessIvEEbEEEE10hipError_tPvRmT1_T2_T3_mmT4_T5_P12ihipStream_tbEUlRKtE_EESL_SP_SQ_mSR_SU_bEUlT_E_NS1_11comp_targetILNS1_3genE10ELNS1_11target_archE1200ELNS1_3gpuE4ELNS1_3repE0EEENS1_30default_config_static_selectorELNS0_4arch9wavefront6targetE1EEEvSO_
    .private_segment_fixed_size: 0
    .sgpr_count:     4
    .sgpr_spill_count: 0
    .symbol:         _ZN7rocprim17ROCPRIM_400000_NS6detail17trampoline_kernelINS0_14default_configENS1_29binary_search_config_selectorItbEEZNS1_14transform_implILb0ES3_S5_N6thrust23THRUST_200600_302600_NS17counting_iteratorItNS8_11use_defaultESA_SA_EEPbZNS1_13binary_searchIS3_S5_PtSB_SC_NS1_16binary_search_opENS8_6detail16wrapped_functionINS0_4lessIvEEbEEEE10hipError_tPvRmT1_T2_T3_mmT4_T5_P12ihipStream_tbEUlRKtE_EESL_SP_SQ_mSR_SU_bEUlT_E_NS1_11comp_targetILNS1_3genE10ELNS1_11target_archE1200ELNS1_3gpuE4ELNS1_3repE0EEENS1_30default_config_static_selectorELNS0_4arch9wavefront6targetE1EEEvSO_.kd
    .uniform_work_group_size: 1
    .uses_dynamic_stack: false
    .vgpr_count:     0
    .vgpr_spill_count: 0
    .wavefront_size: 64
  - .agpr_count:     0
    .args:
      - .offset:         0
        .size:           56
        .value_kind:     by_value
    .group_segment_fixed_size: 0
    .kernarg_segment_align: 8
    .kernarg_segment_size: 56
    .language:       OpenCL C
    .language_version:
      - 2
      - 0
    .max_flat_workgroup_size: 64
    .name:           _ZN7rocprim17ROCPRIM_400000_NS6detail17trampoline_kernelINS0_14default_configENS1_29binary_search_config_selectorItbEEZNS1_14transform_implILb0ES3_S5_N6thrust23THRUST_200600_302600_NS17counting_iteratorItNS8_11use_defaultESA_SA_EEPbZNS1_13binary_searchIS3_S5_PtSB_SC_NS1_16binary_search_opENS8_6detail16wrapped_functionINS0_4lessIvEEbEEEE10hipError_tPvRmT1_T2_T3_mmT4_T5_P12ihipStream_tbEUlRKtE_EESL_SP_SQ_mSR_SU_bEUlT_E_NS1_11comp_targetILNS1_3genE9ELNS1_11target_archE1100ELNS1_3gpuE3ELNS1_3repE0EEENS1_30default_config_static_selectorELNS0_4arch9wavefront6targetE1EEEvSO_
    .private_segment_fixed_size: 0
    .sgpr_count:     4
    .sgpr_spill_count: 0
    .symbol:         _ZN7rocprim17ROCPRIM_400000_NS6detail17trampoline_kernelINS0_14default_configENS1_29binary_search_config_selectorItbEEZNS1_14transform_implILb0ES3_S5_N6thrust23THRUST_200600_302600_NS17counting_iteratorItNS8_11use_defaultESA_SA_EEPbZNS1_13binary_searchIS3_S5_PtSB_SC_NS1_16binary_search_opENS8_6detail16wrapped_functionINS0_4lessIvEEbEEEE10hipError_tPvRmT1_T2_T3_mmT4_T5_P12ihipStream_tbEUlRKtE_EESL_SP_SQ_mSR_SU_bEUlT_E_NS1_11comp_targetILNS1_3genE9ELNS1_11target_archE1100ELNS1_3gpuE3ELNS1_3repE0EEENS1_30default_config_static_selectorELNS0_4arch9wavefront6targetE1EEEvSO_.kd
    .uniform_work_group_size: 1
    .uses_dynamic_stack: false
    .vgpr_count:     0
    .vgpr_spill_count: 0
    .wavefront_size: 64
  - .agpr_count:     0
    .args:
      - .offset:         0
        .size:           56
        .value_kind:     by_value
    .group_segment_fixed_size: 0
    .kernarg_segment_align: 8
    .kernarg_segment_size: 56
    .language:       OpenCL C
    .language_version:
      - 2
      - 0
    .max_flat_workgroup_size: 128
    .name:           _ZN7rocprim17ROCPRIM_400000_NS6detail17trampoline_kernelINS0_14default_configENS1_29binary_search_config_selectorItbEEZNS1_14transform_implILb0ES3_S5_N6thrust23THRUST_200600_302600_NS17counting_iteratorItNS8_11use_defaultESA_SA_EEPbZNS1_13binary_searchIS3_S5_PtSB_SC_NS1_16binary_search_opENS8_6detail16wrapped_functionINS0_4lessIvEEbEEEE10hipError_tPvRmT1_T2_T3_mmT4_T5_P12ihipStream_tbEUlRKtE_EESL_SP_SQ_mSR_SU_bEUlT_E_NS1_11comp_targetILNS1_3genE8ELNS1_11target_archE1030ELNS1_3gpuE2ELNS1_3repE0EEENS1_30default_config_static_selectorELNS0_4arch9wavefront6targetE1EEEvSO_
    .private_segment_fixed_size: 0
    .sgpr_count:     4
    .sgpr_spill_count: 0
    .symbol:         _ZN7rocprim17ROCPRIM_400000_NS6detail17trampoline_kernelINS0_14default_configENS1_29binary_search_config_selectorItbEEZNS1_14transform_implILb0ES3_S5_N6thrust23THRUST_200600_302600_NS17counting_iteratorItNS8_11use_defaultESA_SA_EEPbZNS1_13binary_searchIS3_S5_PtSB_SC_NS1_16binary_search_opENS8_6detail16wrapped_functionINS0_4lessIvEEbEEEE10hipError_tPvRmT1_T2_T3_mmT4_T5_P12ihipStream_tbEUlRKtE_EESL_SP_SQ_mSR_SU_bEUlT_E_NS1_11comp_targetILNS1_3genE8ELNS1_11target_archE1030ELNS1_3gpuE2ELNS1_3repE0EEENS1_30default_config_static_selectorELNS0_4arch9wavefront6targetE1EEEvSO_.kd
    .uniform_work_group_size: 1
    .uses_dynamic_stack: false
    .vgpr_count:     0
    .vgpr_spill_count: 0
    .wavefront_size: 64
  - .agpr_count:     0
    .args:
      - .offset:         0
        .size:           8
        .value_kind:     by_value
      - .address_space:  global
        .offset:         8
        .size:           8
        .value_kind:     global_buffer
      - .address_space:  global
        .offset:         16
        .size:           8
        .value_kind:     global_buffer
    .group_segment_fixed_size: 0
    .kernarg_segment_align: 8
    .kernarg_segment_size: 24
    .language:       OpenCL C
    .language_version:
      - 2
      - 0
    .max_flat_workgroup_size: 256
    .name:           _Z20binary_search_kernelIxEvmPT_Pb
    .private_segment_fixed_size: 0
    .sgpr_count:     24
    .sgpr_spill_count: 0
    .symbol:         _Z20binary_search_kernelIxEvmPT_Pb.kd
    .uniform_work_group_size: 1
    .uses_dynamic_stack: false
    .vgpr_count:     3
    .vgpr_spill_count: 0
    .wavefront_size: 64
  - .agpr_count:     0
    .args:
      - .offset:         0
        .size:           56
        .value_kind:     by_value
    .group_segment_fixed_size: 0
    .kernarg_segment_align: 8
    .kernarg_segment_size: 56
    .language:       OpenCL C
    .language_version:
      - 2
      - 0
    .max_flat_workgroup_size: 256
    .name:           _ZN7rocprim17ROCPRIM_400000_NS6detail17trampoline_kernelINS0_14default_configENS1_29binary_search_config_selectorIxbEEZNS1_14transform_implILb0ES3_S5_N6thrust23THRUST_200600_302600_NS17counting_iteratorIxNS8_11use_defaultESA_SA_EEPbZNS1_13binary_searchIS3_S5_PxSB_SC_NS1_16binary_search_opENS8_6detail16wrapped_functionINS0_4lessIvEEbEEEE10hipError_tPvRmT1_T2_T3_mmT4_T5_P12ihipStream_tbEUlRKxE_EESL_SP_SQ_mSR_SU_bEUlT_E_NS1_11comp_targetILNS1_3genE0ELNS1_11target_archE4294967295ELNS1_3gpuE0ELNS1_3repE0EEENS1_30default_config_static_selectorELNS0_4arch9wavefront6targetE1EEEvSO_
    .private_segment_fixed_size: 0
    .sgpr_count:     4
    .sgpr_spill_count: 0
    .symbol:         _ZN7rocprim17ROCPRIM_400000_NS6detail17trampoline_kernelINS0_14default_configENS1_29binary_search_config_selectorIxbEEZNS1_14transform_implILb0ES3_S5_N6thrust23THRUST_200600_302600_NS17counting_iteratorIxNS8_11use_defaultESA_SA_EEPbZNS1_13binary_searchIS3_S5_PxSB_SC_NS1_16binary_search_opENS8_6detail16wrapped_functionINS0_4lessIvEEbEEEE10hipError_tPvRmT1_T2_T3_mmT4_T5_P12ihipStream_tbEUlRKxE_EESL_SP_SQ_mSR_SU_bEUlT_E_NS1_11comp_targetILNS1_3genE0ELNS1_11target_archE4294967295ELNS1_3gpuE0ELNS1_3repE0EEENS1_30default_config_static_selectorELNS0_4arch9wavefront6targetE1EEEvSO_.kd
    .uniform_work_group_size: 1
    .uses_dynamic_stack: false
    .vgpr_count:     0
    .vgpr_spill_count: 0
    .wavefront_size: 64
  - .agpr_count:     0
    .args:
      - .offset:         0
        .size:           56
        .value_kind:     by_value
    .group_segment_fixed_size: 0
    .kernarg_segment_align: 8
    .kernarg_segment_size: 56
    .language:       OpenCL C
    .language_version:
      - 2
      - 0
    .max_flat_workgroup_size: 64
    .name:           _ZN7rocprim17ROCPRIM_400000_NS6detail17trampoline_kernelINS0_14default_configENS1_29binary_search_config_selectorIxbEEZNS1_14transform_implILb0ES3_S5_N6thrust23THRUST_200600_302600_NS17counting_iteratorIxNS8_11use_defaultESA_SA_EEPbZNS1_13binary_searchIS3_S5_PxSB_SC_NS1_16binary_search_opENS8_6detail16wrapped_functionINS0_4lessIvEEbEEEE10hipError_tPvRmT1_T2_T3_mmT4_T5_P12ihipStream_tbEUlRKxE_EESL_SP_SQ_mSR_SU_bEUlT_E_NS1_11comp_targetILNS1_3genE5ELNS1_11target_archE942ELNS1_3gpuE9ELNS1_3repE0EEENS1_30default_config_static_selectorELNS0_4arch9wavefront6targetE1EEEvSO_
    .private_segment_fixed_size: 0
    .sgpr_count:     4
    .sgpr_spill_count: 0
    .symbol:         _ZN7rocprim17ROCPRIM_400000_NS6detail17trampoline_kernelINS0_14default_configENS1_29binary_search_config_selectorIxbEEZNS1_14transform_implILb0ES3_S5_N6thrust23THRUST_200600_302600_NS17counting_iteratorIxNS8_11use_defaultESA_SA_EEPbZNS1_13binary_searchIS3_S5_PxSB_SC_NS1_16binary_search_opENS8_6detail16wrapped_functionINS0_4lessIvEEbEEEE10hipError_tPvRmT1_T2_T3_mmT4_T5_P12ihipStream_tbEUlRKxE_EESL_SP_SQ_mSR_SU_bEUlT_E_NS1_11comp_targetILNS1_3genE5ELNS1_11target_archE942ELNS1_3gpuE9ELNS1_3repE0EEENS1_30default_config_static_selectorELNS0_4arch9wavefront6targetE1EEEvSO_.kd
    .uniform_work_group_size: 1
    .uses_dynamic_stack: false
    .vgpr_count:     0
    .vgpr_spill_count: 0
    .wavefront_size: 64
  - .agpr_count:     0
    .args:
      - .offset:         0
        .size:           56
        .value_kind:     by_value
      - .offset:         56
        .size:           4
        .value_kind:     hidden_block_count_x
      - .offset:         60
        .size:           4
        .value_kind:     hidden_block_count_y
      - .offset:         64
        .size:           4
        .value_kind:     hidden_block_count_z
      - .offset:         68
        .size:           2
        .value_kind:     hidden_group_size_x
      - .offset:         70
        .size:           2
        .value_kind:     hidden_group_size_y
      - .offset:         72
        .size:           2
        .value_kind:     hidden_group_size_z
      - .offset:         74
        .size:           2
        .value_kind:     hidden_remainder_x
      - .offset:         76
        .size:           2
        .value_kind:     hidden_remainder_y
      - .offset:         78
        .size:           2
        .value_kind:     hidden_remainder_z
      - .offset:         96
        .size:           8
        .value_kind:     hidden_global_offset_x
      - .offset:         104
        .size:           8
        .value_kind:     hidden_global_offset_y
      - .offset:         112
        .size:           8
        .value_kind:     hidden_global_offset_z
      - .offset:         120
        .size:           2
        .value_kind:     hidden_grid_dims
    .group_segment_fixed_size: 0
    .kernarg_segment_align: 8
    .kernarg_segment_size: 312
    .language:       OpenCL C
    .language_version:
      - 2
      - 0
    .max_flat_workgroup_size: 64
    .name:           _ZN7rocprim17ROCPRIM_400000_NS6detail17trampoline_kernelINS0_14default_configENS1_29binary_search_config_selectorIxbEEZNS1_14transform_implILb0ES3_S5_N6thrust23THRUST_200600_302600_NS17counting_iteratorIxNS8_11use_defaultESA_SA_EEPbZNS1_13binary_searchIS3_S5_PxSB_SC_NS1_16binary_search_opENS8_6detail16wrapped_functionINS0_4lessIvEEbEEEE10hipError_tPvRmT1_T2_T3_mmT4_T5_P12ihipStream_tbEUlRKxE_EESL_SP_SQ_mSR_SU_bEUlT_E_NS1_11comp_targetILNS1_3genE4ELNS1_11target_archE910ELNS1_3gpuE8ELNS1_3repE0EEENS1_30default_config_static_selectorELNS0_4arch9wavefront6targetE1EEEvSO_
    .private_segment_fixed_size: 0
    .sgpr_count:     23
    .sgpr_spill_count: 0
    .symbol:         _ZN7rocprim17ROCPRIM_400000_NS6detail17trampoline_kernelINS0_14default_configENS1_29binary_search_config_selectorIxbEEZNS1_14transform_implILb0ES3_S5_N6thrust23THRUST_200600_302600_NS17counting_iteratorIxNS8_11use_defaultESA_SA_EEPbZNS1_13binary_searchIS3_S5_PxSB_SC_NS1_16binary_search_opENS8_6detail16wrapped_functionINS0_4lessIvEEbEEEE10hipError_tPvRmT1_T2_T3_mmT4_T5_P12ihipStream_tbEUlRKxE_EESL_SP_SQ_mSR_SU_bEUlT_E_NS1_11comp_targetILNS1_3genE4ELNS1_11target_archE910ELNS1_3gpuE8ELNS1_3repE0EEENS1_30default_config_static_selectorELNS0_4arch9wavefront6targetE1EEEvSO_.kd
    .uniform_work_group_size: 1
    .uses_dynamic_stack: false
    .vgpr_count:     15
    .vgpr_spill_count: 0
    .wavefront_size: 64
  - .agpr_count:     0
    .args:
      - .offset:         0
        .size:           56
        .value_kind:     by_value
    .group_segment_fixed_size: 0
    .kernarg_segment_align: 8
    .kernarg_segment_size: 56
    .language:       OpenCL C
    .language_version:
      - 2
      - 0
    .max_flat_workgroup_size: 256
    .name:           _ZN7rocprim17ROCPRIM_400000_NS6detail17trampoline_kernelINS0_14default_configENS1_29binary_search_config_selectorIxbEEZNS1_14transform_implILb0ES3_S5_N6thrust23THRUST_200600_302600_NS17counting_iteratorIxNS8_11use_defaultESA_SA_EEPbZNS1_13binary_searchIS3_S5_PxSB_SC_NS1_16binary_search_opENS8_6detail16wrapped_functionINS0_4lessIvEEbEEEE10hipError_tPvRmT1_T2_T3_mmT4_T5_P12ihipStream_tbEUlRKxE_EESL_SP_SQ_mSR_SU_bEUlT_E_NS1_11comp_targetILNS1_3genE3ELNS1_11target_archE908ELNS1_3gpuE7ELNS1_3repE0EEENS1_30default_config_static_selectorELNS0_4arch9wavefront6targetE1EEEvSO_
    .private_segment_fixed_size: 0
    .sgpr_count:     4
    .sgpr_spill_count: 0
    .symbol:         _ZN7rocprim17ROCPRIM_400000_NS6detail17trampoline_kernelINS0_14default_configENS1_29binary_search_config_selectorIxbEEZNS1_14transform_implILb0ES3_S5_N6thrust23THRUST_200600_302600_NS17counting_iteratorIxNS8_11use_defaultESA_SA_EEPbZNS1_13binary_searchIS3_S5_PxSB_SC_NS1_16binary_search_opENS8_6detail16wrapped_functionINS0_4lessIvEEbEEEE10hipError_tPvRmT1_T2_T3_mmT4_T5_P12ihipStream_tbEUlRKxE_EESL_SP_SQ_mSR_SU_bEUlT_E_NS1_11comp_targetILNS1_3genE3ELNS1_11target_archE908ELNS1_3gpuE7ELNS1_3repE0EEENS1_30default_config_static_selectorELNS0_4arch9wavefront6targetE1EEEvSO_.kd
    .uniform_work_group_size: 1
    .uses_dynamic_stack: false
    .vgpr_count:     0
    .vgpr_spill_count: 0
    .wavefront_size: 64
  - .agpr_count:     0
    .args:
      - .offset:         0
        .size:           56
        .value_kind:     by_value
    .group_segment_fixed_size: 0
    .kernarg_segment_align: 8
    .kernarg_segment_size: 56
    .language:       OpenCL C
    .language_version:
      - 2
      - 0
    .max_flat_workgroup_size: 256
    .name:           _ZN7rocprim17ROCPRIM_400000_NS6detail17trampoline_kernelINS0_14default_configENS1_29binary_search_config_selectorIxbEEZNS1_14transform_implILb0ES3_S5_N6thrust23THRUST_200600_302600_NS17counting_iteratorIxNS8_11use_defaultESA_SA_EEPbZNS1_13binary_searchIS3_S5_PxSB_SC_NS1_16binary_search_opENS8_6detail16wrapped_functionINS0_4lessIvEEbEEEE10hipError_tPvRmT1_T2_T3_mmT4_T5_P12ihipStream_tbEUlRKxE_EESL_SP_SQ_mSR_SU_bEUlT_E_NS1_11comp_targetILNS1_3genE2ELNS1_11target_archE906ELNS1_3gpuE6ELNS1_3repE0EEENS1_30default_config_static_selectorELNS0_4arch9wavefront6targetE1EEEvSO_
    .private_segment_fixed_size: 0
    .sgpr_count:     4
    .sgpr_spill_count: 0
    .symbol:         _ZN7rocprim17ROCPRIM_400000_NS6detail17trampoline_kernelINS0_14default_configENS1_29binary_search_config_selectorIxbEEZNS1_14transform_implILb0ES3_S5_N6thrust23THRUST_200600_302600_NS17counting_iteratorIxNS8_11use_defaultESA_SA_EEPbZNS1_13binary_searchIS3_S5_PxSB_SC_NS1_16binary_search_opENS8_6detail16wrapped_functionINS0_4lessIvEEbEEEE10hipError_tPvRmT1_T2_T3_mmT4_T5_P12ihipStream_tbEUlRKxE_EESL_SP_SQ_mSR_SU_bEUlT_E_NS1_11comp_targetILNS1_3genE2ELNS1_11target_archE906ELNS1_3gpuE6ELNS1_3repE0EEENS1_30default_config_static_selectorELNS0_4arch9wavefront6targetE1EEEvSO_.kd
    .uniform_work_group_size: 1
    .uses_dynamic_stack: false
    .vgpr_count:     0
    .vgpr_spill_count: 0
    .wavefront_size: 64
  - .agpr_count:     0
    .args:
      - .offset:         0
        .size:           56
        .value_kind:     by_value
    .group_segment_fixed_size: 0
    .kernarg_segment_align: 8
    .kernarg_segment_size: 56
    .language:       OpenCL C
    .language_version:
      - 2
      - 0
    .max_flat_workgroup_size: 256
    .name:           _ZN7rocprim17ROCPRIM_400000_NS6detail17trampoline_kernelINS0_14default_configENS1_29binary_search_config_selectorIxbEEZNS1_14transform_implILb0ES3_S5_N6thrust23THRUST_200600_302600_NS17counting_iteratorIxNS8_11use_defaultESA_SA_EEPbZNS1_13binary_searchIS3_S5_PxSB_SC_NS1_16binary_search_opENS8_6detail16wrapped_functionINS0_4lessIvEEbEEEE10hipError_tPvRmT1_T2_T3_mmT4_T5_P12ihipStream_tbEUlRKxE_EESL_SP_SQ_mSR_SU_bEUlT_E_NS1_11comp_targetILNS1_3genE10ELNS1_11target_archE1201ELNS1_3gpuE5ELNS1_3repE0EEENS1_30default_config_static_selectorELNS0_4arch9wavefront6targetE1EEEvSO_
    .private_segment_fixed_size: 0
    .sgpr_count:     4
    .sgpr_spill_count: 0
    .symbol:         _ZN7rocprim17ROCPRIM_400000_NS6detail17trampoline_kernelINS0_14default_configENS1_29binary_search_config_selectorIxbEEZNS1_14transform_implILb0ES3_S5_N6thrust23THRUST_200600_302600_NS17counting_iteratorIxNS8_11use_defaultESA_SA_EEPbZNS1_13binary_searchIS3_S5_PxSB_SC_NS1_16binary_search_opENS8_6detail16wrapped_functionINS0_4lessIvEEbEEEE10hipError_tPvRmT1_T2_T3_mmT4_T5_P12ihipStream_tbEUlRKxE_EESL_SP_SQ_mSR_SU_bEUlT_E_NS1_11comp_targetILNS1_3genE10ELNS1_11target_archE1201ELNS1_3gpuE5ELNS1_3repE0EEENS1_30default_config_static_selectorELNS0_4arch9wavefront6targetE1EEEvSO_.kd
    .uniform_work_group_size: 1
    .uses_dynamic_stack: false
    .vgpr_count:     0
    .vgpr_spill_count: 0
    .wavefront_size: 64
  - .agpr_count:     0
    .args:
      - .offset:         0
        .size:           56
        .value_kind:     by_value
    .group_segment_fixed_size: 0
    .kernarg_segment_align: 8
    .kernarg_segment_size: 56
    .language:       OpenCL C
    .language_version:
      - 2
      - 0
    .max_flat_workgroup_size: 128
    .name:           _ZN7rocprim17ROCPRIM_400000_NS6detail17trampoline_kernelINS0_14default_configENS1_29binary_search_config_selectorIxbEEZNS1_14transform_implILb0ES3_S5_N6thrust23THRUST_200600_302600_NS17counting_iteratorIxNS8_11use_defaultESA_SA_EEPbZNS1_13binary_searchIS3_S5_PxSB_SC_NS1_16binary_search_opENS8_6detail16wrapped_functionINS0_4lessIvEEbEEEE10hipError_tPvRmT1_T2_T3_mmT4_T5_P12ihipStream_tbEUlRKxE_EESL_SP_SQ_mSR_SU_bEUlT_E_NS1_11comp_targetILNS1_3genE10ELNS1_11target_archE1200ELNS1_3gpuE4ELNS1_3repE0EEENS1_30default_config_static_selectorELNS0_4arch9wavefront6targetE1EEEvSO_
    .private_segment_fixed_size: 0
    .sgpr_count:     4
    .sgpr_spill_count: 0
    .symbol:         _ZN7rocprim17ROCPRIM_400000_NS6detail17trampoline_kernelINS0_14default_configENS1_29binary_search_config_selectorIxbEEZNS1_14transform_implILb0ES3_S5_N6thrust23THRUST_200600_302600_NS17counting_iteratorIxNS8_11use_defaultESA_SA_EEPbZNS1_13binary_searchIS3_S5_PxSB_SC_NS1_16binary_search_opENS8_6detail16wrapped_functionINS0_4lessIvEEbEEEE10hipError_tPvRmT1_T2_T3_mmT4_T5_P12ihipStream_tbEUlRKxE_EESL_SP_SQ_mSR_SU_bEUlT_E_NS1_11comp_targetILNS1_3genE10ELNS1_11target_archE1200ELNS1_3gpuE4ELNS1_3repE0EEENS1_30default_config_static_selectorELNS0_4arch9wavefront6targetE1EEEvSO_.kd
    .uniform_work_group_size: 1
    .uses_dynamic_stack: false
    .vgpr_count:     0
    .vgpr_spill_count: 0
    .wavefront_size: 64
  - .agpr_count:     0
    .args:
      - .offset:         0
        .size:           56
        .value_kind:     by_value
    .group_segment_fixed_size: 0
    .kernarg_segment_align: 8
    .kernarg_segment_size: 56
    .language:       OpenCL C
    .language_version:
      - 2
      - 0
    .max_flat_workgroup_size: 64
    .name:           _ZN7rocprim17ROCPRIM_400000_NS6detail17trampoline_kernelINS0_14default_configENS1_29binary_search_config_selectorIxbEEZNS1_14transform_implILb0ES3_S5_N6thrust23THRUST_200600_302600_NS17counting_iteratorIxNS8_11use_defaultESA_SA_EEPbZNS1_13binary_searchIS3_S5_PxSB_SC_NS1_16binary_search_opENS8_6detail16wrapped_functionINS0_4lessIvEEbEEEE10hipError_tPvRmT1_T2_T3_mmT4_T5_P12ihipStream_tbEUlRKxE_EESL_SP_SQ_mSR_SU_bEUlT_E_NS1_11comp_targetILNS1_3genE9ELNS1_11target_archE1100ELNS1_3gpuE3ELNS1_3repE0EEENS1_30default_config_static_selectorELNS0_4arch9wavefront6targetE1EEEvSO_
    .private_segment_fixed_size: 0
    .sgpr_count:     4
    .sgpr_spill_count: 0
    .symbol:         _ZN7rocprim17ROCPRIM_400000_NS6detail17trampoline_kernelINS0_14default_configENS1_29binary_search_config_selectorIxbEEZNS1_14transform_implILb0ES3_S5_N6thrust23THRUST_200600_302600_NS17counting_iteratorIxNS8_11use_defaultESA_SA_EEPbZNS1_13binary_searchIS3_S5_PxSB_SC_NS1_16binary_search_opENS8_6detail16wrapped_functionINS0_4lessIvEEbEEEE10hipError_tPvRmT1_T2_T3_mmT4_T5_P12ihipStream_tbEUlRKxE_EESL_SP_SQ_mSR_SU_bEUlT_E_NS1_11comp_targetILNS1_3genE9ELNS1_11target_archE1100ELNS1_3gpuE3ELNS1_3repE0EEENS1_30default_config_static_selectorELNS0_4arch9wavefront6targetE1EEEvSO_.kd
    .uniform_work_group_size: 1
    .uses_dynamic_stack: false
    .vgpr_count:     0
    .vgpr_spill_count: 0
    .wavefront_size: 64
  - .agpr_count:     0
    .args:
      - .offset:         0
        .size:           56
        .value_kind:     by_value
    .group_segment_fixed_size: 0
    .kernarg_segment_align: 8
    .kernarg_segment_size: 56
    .language:       OpenCL C
    .language_version:
      - 2
      - 0
    .max_flat_workgroup_size: 256
    .name:           _ZN7rocprim17ROCPRIM_400000_NS6detail17trampoline_kernelINS0_14default_configENS1_29binary_search_config_selectorIxbEEZNS1_14transform_implILb0ES3_S5_N6thrust23THRUST_200600_302600_NS17counting_iteratorIxNS8_11use_defaultESA_SA_EEPbZNS1_13binary_searchIS3_S5_PxSB_SC_NS1_16binary_search_opENS8_6detail16wrapped_functionINS0_4lessIvEEbEEEE10hipError_tPvRmT1_T2_T3_mmT4_T5_P12ihipStream_tbEUlRKxE_EESL_SP_SQ_mSR_SU_bEUlT_E_NS1_11comp_targetILNS1_3genE8ELNS1_11target_archE1030ELNS1_3gpuE2ELNS1_3repE0EEENS1_30default_config_static_selectorELNS0_4arch9wavefront6targetE1EEEvSO_
    .private_segment_fixed_size: 0
    .sgpr_count:     4
    .sgpr_spill_count: 0
    .symbol:         _ZN7rocprim17ROCPRIM_400000_NS6detail17trampoline_kernelINS0_14default_configENS1_29binary_search_config_selectorIxbEEZNS1_14transform_implILb0ES3_S5_N6thrust23THRUST_200600_302600_NS17counting_iteratorIxNS8_11use_defaultESA_SA_EEPbZNS1_13binary_searchIS3_S5_PxSB_SC_NS1_16binary_search_opENS8_6detail16wrapped_functionINS0_4lessIvEEbEEEE10hipError_tPvRmT1_T2_T3_mmT4_T5_P12ihipStream_tbEUlRKxE_EESL_SP_SQ_mSR_SU_bEUlT_E_NS1_11comp_targetILNS1_3genE8ELNS1_11target_archE1030ELNS1_3gpuE2ELNS1_3repE0EEENS1_30default_config_static_selectorELNS0_4arch9wavefront6targetE1EEEvSO_.kd
    .uniform_work_group_size: 1
    .uses_dynamic_stack: false
    .vgpr_count:     0
    .vgpr_spill_count: 0
    .wavefront_size: 64
  - .agpr_count:     0
    .args:
      - .offset:         0
        .size:           8
        .value_kind:     by_value
      - .address_space:  global
        .offset:         8
        .size:           8
        .value_kind:     global_buffer
      - .address_space:  global
        .offset:         16
        .size:           8
        .value_kind:     global_buffer
    .group_segment_fixed_size: 0
    .kernarg_segment_align: 8
    .kernarg_segment_size: 24
    .language:       OpenCL C
    .language_version:
      - 2
      - 0
    .max_flat_workgroup_size: 256
    .name:           _Z20binary_search_kernelIiEvmPT_Pb
    .private_segment_fixed_size: 0
    .sgpr_count:     23
    .sgpr_spill_count: 0
    .symbol:         _Z20binary_search_kernelIiEvmPT_Pb.kd
    .uniform_work_group_size: 1
    .uses_dynamic_stack: false
    .vgpr_count:     3
    .vgpr_spill_count: 0
    .wavefront_size: 64
  - .agpr_count:     0
    .args:
      - .offset:         0
        .size:           56
        .value_kind:     by_value
    .group_segment_fixed_size: 0
    .kernarg_segment_align: 8
    .kernarg_segment_size: 56
    .language:       OpenCL C
    .language_version:
      - 2
      - 0
    .max_flat_workgroup_size: 256
    .name:           _ZN7rocprim17ROCPRIM_400000_NS6detail17trampoline_kernelINS0_14default_configENS1_29binary_search_config_selectorIibEEZNS1_14transform_implILb0ES3_S5_N6thrust23THRUST_200600_302600_NS17counting_iteratorIiNS8_11use_defaultESA_SA_EEPbZNS1_13binary_searchIS3_S5_PiSB_SC_NS1_16binary_search_opENS8_6detail16wrapped_functionINS0_4lessIvEEbEEEE10hipError_tPvRmT1_T2_T3_mmT4_T5_P12ihipStream_tbEUlRKiE_EESL_SP_SQ_mSR_SU_bEUlT_E_NS1_11comp_targetILNS1_3genE0ELNS1_11target_archE4294967295ELNS1_3gpuE0ELNS1_3repE0EEENS1_30default_config_static_selectorELNS0_4arch9wavefront6targetE1EEEvSO_
    .private_segment_fixed_size: 0
    .sgpr_count:     4
    .sgpr_spill_count: 0
    .symbol:         _ZN7rocprim17ROCPRIM_400000_NS6detail17trampoline_kernelINS0_14default_configENS1_29binary_search_config_selectorIibEEZNS1_14transform_implILb0ES3_S5_N6thrust23THRUST_200600_302600_NS17counting_iteratorIiNS8_11use_defaultESA_SA_EEPbZNS1_13binary_searchIS3_S5_PiSB_SC_NS1_16binary_search_opENS8_6detail16wrapped_functionINS0_4lessIvEEbEEEE10hipError_tPvRmT1_T2_T3_mmT4_T5_P12ihipStream_tbEUlRKiE_EESL_SP_SQ_mSR_SU_bEUlT_E_NS1_11comp_targetILNS1_3genE0ELNS1_11target_archE4294967295ELNS1_3gpuE0ELNS1_3repE0EEENS1_30default_config_static_selectorELNS0_4arch9wavefront6targetE1EEEvSO_.kd
    .uniform_work_group_size: 1
    .uses_dynamic_stack: false
    .vgpr_count:     0
    .vgpr_spill_count: 0
    .wavefront_size: 64
  - .agpr_count:     0
    .args:
      - .offset:         0
        .size:           56
        .value_kind:     by_value
    .group_segment_fixed_size: 0
    .kernarg_segment_align: 8
    .kernarg_segment_size: 56
    .language:       OpenCL C
    .language_version:
      - 2
      - 0
    .max_flat_workgroup_size: 256
    .name:           _ZN7rocprim17ROCPRIM_400000_NS6detail17trampoline_kernelINS0_14default_configENS1_29binary_search_config_selectorIibEEZNS1_14transform_implILb0ES3_S5_N6thrust23THRUST_200600_302600_NS17counting_iteratorIiNS8_11use_defaultESA_SA_EEPbZNS1_13binary_searchIS3_S5_PiSB_SC_NS1_16binary_search_opENS8_6detail16wrapped_functionINS0_4lessIvEEbEEEE10hipError_tPvRmT1_T2_T3_mmT4_T5_P12ihipStream_tbEUlRKiE_EESL_SP_SQ_mSR_SU_bEUlT_E_NS1_11comp_targetILNS1_3genE5ELNS1_11target_archE942ELNS1_3gpuE9ELNS1_3repE0EEENS1_30default_config_static_selectorELNS0_4arch9wavefront6targetE1EEEvSO_
    .private_segment_fixed_size: 0
    .sgpr_count:     4
    .sgpr_spill_count: 0
    .symbol:         _ZN7rocprim17ROCPRIM_400000_NS6detail17trampoline_kernelINS0_14default_configENS1_29binary_search_config_selectorIibEEZNS1_14transform_implILb0ES3_S5_N6thrust23THRUST_200600_302600_NS17counting_iteratorIiNS8_11use_defaultESA_SA_EEPbZNS1_13binary_searchIS3_S5_PiSB_SC_NS1_16binary_search_opENS8_6detail16wrapped_functionINS0_4lessIvEEbEEEE10hipError_tPvRmT1_T2_T3_mmT4_T5_P12ihipStream_tbEUlRKiE_EESL_SP_SQ_mSR_SU_bEUlT_E_NS1_11comp_targetILNS1_3genE5ELNS1_11target_archE942ELNS1_3gpuE9ELNS1_3repE0EEENS1_30default_config_static_selectorELNS0_4arch9wavefront6targetE1EEEvSO_.kd
    .uniform_work_group_size: 1
    .uses_dynamic_stack: false
    .vgpr_count:     0
    .vgpr_spill_count: 0
    .wavefront_size: 64
  - .agpr_count:     0
    .args:
      - .offset:         0
        .size:           56
        .value_kind:     by_value
      - .offset:         56
        .size:           4
        .value_kind:     hidden_block_count_x
      - .offset:         60
        .size:           4
        .value_kind:     hidden_block_count_y
      - .offset:         64
        .size:           4
        .value_kind:     hidden_block_count_z
      - .offset:         68
        .size:           2
        .value_kind:     hidden_group_size_x
      - .offset:         70
        .size:           2
        .value_kind:     hidden_group_size_y
      - .offset:         72
        .size:           2
        .value_kind:     hidden_group_size_z
      - .offset:         74
        .size:           2
        .value_kind:     hidden_remainder_x
      - .offset:         76
        .size:           2
        .value_kind:     hidden_remainder_y
      - .offset:         78
        .size:           2
        .value_kind:     hidden_remainder_z
      - .offset:         96
        .size:           8
        .value_kind:     hidden_global_offset_x
      - .offset:         104
        .size:           8
        .value_kind:     hidden_global_offset_y
      - .offset:         112
        .size:           8
        .value_kind:     hidden_global_offset_z
      - .offset:         120
        .size:           2
        .value_kind:     hidden_grid_dims
    .group_segment_fixed_size: 0
    .kernarg_segment_align: 8
    .kernarg_segment_size: 312
    .language:       OpenCL C
    .language_version:
      - 2
      - 0
    .max_flat_workgroup_size: 256
    .name:           _ZN7rocprim17ROCPRIM_400000_NS6detail17trampoline_kernelINS0_14default_configENS1_29binary_search_config_selectorIibEEZNS1_14transform_implILb0ES3_S5_N6thrust23THRUST_200600_302600_NS17counting_iteratorIiNS8_11use_defaultESA_SA_EEPbZNS1_13binary_searchIS3_S5_PiSB_SC_NS1_16binary_search_opENS8_6detail16wrapped_functionINS0_4lessIvEEbEEEE10hipError_tPvRmT1_T2_T3_mmT4_T5_P12ihipStream_tbEUlRKiE_EESL_SP_SQ_mSR_SU_bEUlT_E_NS1_11comp_targetILNS1_3genE4ELNS1_11target_archE910ELNS1_3gpuE8ELNS1_3repE0EEENS1_30default_config_static_selectorELNS0_4arch9wavefront6targetE1EEEvSO_
    .private_segment_fixed_size: 0
    .sgpr_count:     22
    .sgpr_spill_count: 0
    .symbol:         _ZN7rocprim17ROCPRIM_400000_NS6detail17trampoline_kernelINS0_14default_configENS1_29binary_search_config_selectorIibEEZNS1_14transform_implILb0ES3_S5_N6thrust23THRUST_200600_302600_NS17counting_iteratorIiNS8_11use_defaultESA_SA_EEPbZNS1_13binary_searchIS3_S5_PiSB_SC_NS1_16binary_search_opENS8_6detail16wrapped_functionINS0_4lessIvEEbEEEE10hipError_tPvRmT1_T2_T3_mmT4_T5_P12ihipStream_tbEUlRKiE_EESL_SP_SQ_mSR_SU_bEUlT_E_NS1_11comp_targetILNS1_3genE4ELNS1_11target_archE910ELNS1_3gpuE8ELNS1_3repE0EEENS1_30default_config_static_selectorELNS0_4arch9wavefront6targetE1EEEvSO_.kd
    .uniform_work_group_size: 1
    .uses_dynamic_stack: false
    .vgpr_count:     12
    .vgpr_spill_count: 0
    .wavefront_size: 64
  - .agpr_count:     0
    .args:
      - .offset:         0
        .size:           56
        .value_kind:     by_value
    .group_segment_fixed_size: 0
    .kernarg_segment_align: 8
    .kernarg_segment_size: 56
    .language:       OpenCL C
    .language_version:
      - 2
      - 0
    .max_flat_workgroup_size: 256
    .name:           _ZN7rocprim17ROCPRIM_400000_NS6detail17trampoline_kernelINS0_14default_configENS1_29binary_search_config_selectorIibEEZNS1_14transform_implILb0ES3_S5_N6thrust23THRUST_200600_302600_NS17counting_iteratorIiNS8_11use_defaultESA_SA_EEPbZNS1_13binary_searchIS3_S5_PiSB_SC_NS1_16binary_search_opENS8_6detail16wrapped_functionINS0_4lessIvEEbEEEE10hipError_tPvRmT1_T2_T3_mmT4_T5_P12ihipStream_tbEUlRKiE_EESL_SP_SQ_mSR_SU_bEUlT_E_NS1_11comp_targetILNS1_3genE3ELNS1_11target_archE908ELNS1_3gpuE7ELNS1_3repE0EEENS1_30default_config_static_selectorELNS0_4arch9wavefront6targetE1EEEvSO_
    .private_segment_fixed_size: 0
    .sgpr_count:     4
    .sgpr_spill_count: 0
    .symbol:         _ZN7rocprim17ROCPRIM_400000_NS6detail17trampoline_kernelINS0_14default_configENS1_29binary_search_config_selectorIibEEZNS1_14transform_implILb0ES3_S5_N6thrust23THRUST_200600_302600_NS17counting_iteratorIiNS8_11use_defaultESA_SA_EEPbZNS1_13binary_searchIS3_S5_PiSB_SC_NS1_16binary_search_opENS8_6detail16wrapped_functionINS0_4lessIvEEbEEEE10hipError_tPvRmT1_T2_T3_mmT4_T5_P12ihipStream_tbEUlRKiE_EESL_SP_SQ_mSR_SU_bEUlT_E_NS1_11comp_targetILNS1_3genE3ELNS1_11target_archE908ELNS1_3gpuE7ELNS1_3repE0EEENS1_30default_config_static_selectorELNS0_4arch9wavefront6targetE1EEEvSO_.kd
    .uniform_work_group_size: 1
    .uses_dynamic_stack: false
    .vgpr_count:     0
    .vgpr_spill_count: 0
    .wavefront_size: 64
  - .agpr_count:     0
    .args:
      - .offset:         0
        .size:           56
        .value_kind:     by_value
    .group_segment_fixed_size: 0
    .kernarg_segment_align: 8
    .kernarg_segment_size: 56
    .language:       OpenCL C
    .language_version:
      - 2
      - 0
    .max_flat_workgroup_size: 256
    .name:           _ZN7rocprim17ROCPRIM_400000_NS6detail17trampoline_kernelINS0_14default_configENS1_29binary_search_config_selectorIibEEZNS1_14transform_implILb0ES3_S5_N6thrust23THRUST_200600_302600_NS17counting_iteratorIiNS8_11use_defaultESA_SA_EEPbZNS1_13binary_searchIS3_S5_PiSB_SC_NS1_16binary_search_opENS8_6detail16wrapped_functionINS0_4lessIvEEbEEEE10hipError_tPvRmT1_T2_T3_mmT4_T5_P12ihipStream_tbEUlRKiE_EESL_SP_SQ_mSR_SU_bEUlT_E_NS1_11comp_targetILNS1_3genE2ELNS1_11target_archE906ELNS1_3gpuE6ELNS1_3repE0EEENS1_30default_config_static_selectorELNS0_4arch9wavefront6targetE1EEEvSO_
    .private_segment_fixed_size: 0
    .sgpr_count:     4
    .sgpr_spill_count: 0
    .symbol:         _ZN7rocprim17ROCPRIM_400000_NS6detail17trampoline_kernelINS0_14default_configENS1_29binary_search_config_selectorIibEEZNS1_14transform_implILb0ES3_S5_N6thrust23THRUST_200600_302600_NS17counting_iteratorIiNS8_11use_defaultESA_SA_EEPbZNS1_13binary_searchIS3_S5_PiSB_SC_NS1_16binary_search_opENS8_6detail16wrapped_functionINS0_4lessIvEEbEEEE10hipError_tPvRmT1_T2_T3_mmT4_T5_P12ihipStream_tbEUlRKiE_EESL_SP_SQ_mSR_SU_bEUlT_E_NS1_11comp_targetILNS1_3genE2ELNS1_11target_archE906ELNS1_3gpuE6ELNS1_3repE0EEENS1_30default_config_static_selectorELNS0_4arch9wavefront6targetE1EEEvSO_.kd
    .uniform_work_group_size: 1
    .uses_dynamic_stack: false
    .vgpr_count:     0
    .vgpr_spill_count: 0
    .wavefront_size: 64
  - .agpr_count:     0
    .args:
      - .offset:         0
        .size:           56
        .value_kind:     by_value
    .group_segment_fixed_size: 0
    .kernarg_segment_align: 8
    .kernarg_segment_size: 56
    .language:       OpenCL C
    .language_version:
      - 2
      - 0
    .max_flat_workgroup_size: 128
    .name:           _ZN7rocprim17ROCPRIM_400000_NS6detail17trampoline_kernelINS0_14default_configENS1_29binary_search_config_selectorIibEEZNS1_14transform_implILb0ES3_S5_N6thrust23THRUST_200600_302600_NS17counting_iteratorIiNS8_11use_defaultESA_SA_EEPbZNS1_13binary_searchIS3_S5_PiSB_SC_NS1_16binary_search_opENS8_6detail16wrapped_functionINS0_4lessIvEEbEEEE10hipError_tPvRmT1_T2_T3_mmT4_T5_P12ihipStream_tbEUlRKiE_EESL_SP_SQ_mSR_SU_bEUlT_E_NS1_11comp_targetILNS1_3genE10ELNS1_11target_archE1201ELNS1_3gpuE5ELNS1_3repE0EEENS1_30default_config_static_selectorELNS0_4arch9wavefront6targetE1EEEvSO_
    .private_segment_fixed_size: 0
    .sgpr_count:     4
    .sgpr_spill_count: 0
    .symbol:         _ZN7rocprim17ROCPRIM_400000_NS6detail17trampoline_kernelINS0_14default_configENS1_29binary_search_config_selectorIibEEZNS1_14transform_implILb0ES3_S5_N6thrust23THRUST_200600_302600_NS17counting_iteratorIiNS8_11use_defaultESA_SA_EEPbZNS1_13binary_searchIS3_S5_PiSB_SC_NS1_16binary_search_opENS8_6detail16wrapped_functionINS0_4lessIvEEbEEEE10hipError_tPvRmT1_T2_T3_mmT4_T5_P12ihipStream_tbEUlRKiE_EESL_SP_SQ_mSR_SU_bEUlT_E_NS1_11comp_targetILNS1_3genE10ELNS1_11target_archE1201ELNS1_3gpuE5ELNS1_3repE0EEENS1_30default_config_static_selectorELNS0_4arch9wavefront6targetE1EEEvSO_.kd
    .uniform_work_group_size: 1
    .uses_dynamic_stack: false
    .vgpr_count:     0
    .vgpr_spill_count: 0
    .wavefront_size: 64
  - .agpr_count:     0
    .args:
      - .offset:         0
        .size:           56
        .value_kind:     by_value
    .group_segment_fixed_size: 0
    .kernarg_segment_align: 8
    .kernarg_segment_size: 56
    .language:       OpenCL C
    .language_version:
      - 2
      - 0
    .max_flat_workgroup_size: 128
    .name:           _ZN7rocprim17ROCPRIM_400000_NS6detail17trampoline_kernelINS0_14default_configENS1_29binary_search_config_selectorIibEEZNS1_14transform_implILb0ES3_S5_N6thrust23THRUST_200600_302600_NS17counting_iteratorIiNS8_11use_defaultESA_SA_EEPbZNS1_13binary_searchIS3_S5_PiSB_SC_NS1_16binary_search_opENS8_6detail16wrapped_functionINS0_4lessIvEEbEEEE10hipError_tPvRmT1_T2_T3_mmT4_T5_P12ihipStream_tbEUlRKiE_EESL_SP_SQ_mSR_SU_bEUlT_E_NS1_11comp_targetILNS1_3genE10ELNS1_11target_archE1200ELNS1_3gpuE4ELNS1_3repE0EEENS1_30default_config_static_selectorELNS0_4arch9wavefront6targetE1EEEvSO_
    .private_segment_fixed_size: 0
    .sgpr_count:     4
    .sgpr_spill_count: 0
    .symbol:         _ZN7rocprim17ROCPRIM_400000_NS6detail17trampoline_kernelINS0_14default_configENS1_29binary_search_config_selectorIibEEZNS1_14transform_implILb0ES3_S5_N6thrust23THRUST_200600_302600_NS17counting_iteratorIiNS8_11use_defaultESA_SA_EEPbZNS1_13binary_searchIS3_S5_PiSB_SC_NS1_16binary_search_opENS8_6detail16wrapped_functionINS0_4lessIvEEbEEEE10hipError_tPvRmT1_T2_T3_mmT4_T5_P12ihipStream_tbEUlRKiE_EESL_SP_SQ_mSR_SU_bEUlT_E_NS1_11comp_targetILNS1_3genE10ELNS1_11target_archE1200ELNS1_3gpuE4ELNS1_3repE0EEENS1_30default_config_static_selectorELNS0_4arch9wavefront6targetE1EEEvSO_.kd
    .uniform_work_group_size: 1
    .uses_dynamic_stack: false
    .vgpr_count:     0
    .vgpr_spill_count: 0
    .wavefront_size: 64
  - .agpr_count:     0
    .args:
      - .offset:         0
        .size:           56
        .value_kind:     by_value
    .group_segment_fixed_size: 0
    .kernarg_segment_align: 8
    .kernarg_segment_size: 56
    .language:       OpenCL C
    .language_version:
      - 2
      - 0
    .max_flat_workgroup_size: 256
    .name:           _ZN7rocprim17ROCPRIM_400000_NS6detail17trampoline_kernelINS0_14default_configENS1_29binary_search_config_selectorIibEEZNS1_14transform_implILb0ES3_S5_N6thrust23THRUST_200600_302600_NS17counting_iteratorIiNS8_11use_defaultESA_SA_EEPbZNS1_13binary_searchIS3_S5_PiSB_SC_NS1_16binary_search_opENS8_6detail16wrapped_functionINS0_4lessIvEEbEEEE10hipError_tPvRmT1_T2_T3_mmT4_T5_P12ihipStream_tbEUlRKiE_EESL_SP_SQ_mSR_SU_bEUlT_E_NS1_11comp_targetILNS1_3genE9ELNS1_11target_archE1100ELNS1_3gpuE3ELNS1_3repE0EEENS1_30default_config_static_selectorELNS0_4arch9wavefront6targetE1EEEvSO_
    .private_segment_fixed_size: 0
    .sgpr_count:     4
    .sgpr_spill_count: 0
    .symbol:         _ZN7rocprim17ROCPRIM_400000_NS6detail17trampoline_kernelINS0_14default_configENS1_29binary_search_config_selectorIibEEZNS1_14transform_implILb0ES3_S5_N6thrust23THRUST_200600_302600_NS17counting_iteratorIiNS8_11use_defaultESA_SA_EEPbZNS1_13binary_searchIS3_S5_PiSB_SC_NS1_16binary_search_opENS8_6detail16wrapped_functionINS0_4lessIvEEbEEEE10hipError_tPvRmT1_T2_T3_mmT4_T5_P12ihipStream_tbEUlRKiE_EESL_SP_SQ_mSR_SU_bEUlT_E_NS1_11comp_targetILNS1_3genE9ELNS1_11target_archE1100ELNS1_3gpuE3ELNS1_3repE0EEENS1_30default_config_static_selectorELNS0_4arch9wavefront6targetE1EEEvSO_.kd
    .uniform_work_group_size: 1
    .uses_dynamic_stack: false
    .vgpr_count:     0
    .vgpr_spill_count: 0
    .wavefront_size: 64
  - .agpr_count:     0
    .args:
      - .offset:         0
        .size:           56
        .value_kind:     by_value
    .group_segment_fixed_size: 0
    .kernarg_segment_align: 8
    .kernarg_segment_size: 56
    .language:       OpenCL C
    .language_version:
      - 2
      - 0
    .max_flat_workgroup_size: 256
    .name:           _ZN7rocprim17ROCPRIM_400000_NS6detail17trampoline_kernelINS0_14default_configENS1_29binary_search_config_selectorIibEEZNS1_14transform_implILb0ES3_S5_N6thrust23THRUST_200600_302600_NS17counting_iteratorIiNS8_11use_defaultESA_SA_EEPbZNS1_13binary_searchIS3_S5_PiSB_SC_NS1_16binary_search_opENS8_6detail16wrapped_functionINS0_4lessIvEEbEEEE10hipError_tPvRmT1_T2_T3_mmT4_T5_P12ihipStream_tbEUlRKiE_EESL_SP_SQ_mSR_SU_bEUlT_E_NS1_11comp_targetILNS1_3genE8ELNS1_11target_archE1030ELNS1_3gpuE2ELNS1_3repE0EEENS1_30default_config_static_selectorELNS0_4arch9wavefront6targetE1EEEvSO_
    .private_segment_fixed_size: 0
    .sgpr_count:     4
    .sgpr_spill_count: 0
    .symbol:         _ZN7rocprim17ROCPRIM_400000_NS6detail17trampoline_kernelINS0_14default_configENS1_29binary_search_config_selectorIibEEZNS1_14transform_implILb0ES3_S5_N6thrust23THRUST_200600_302600_NS17counting_iteratorIiNS8_11use_defaultESA_SA_EEPbZNS1_13binary_searchIS3_S5_PiSB_SC_NS1_16binary_search_opENS8_6detail16wrapped_functionINS0_4lessIvEEbEEEE10hipError_tPvRmT1_T2_T3_mmT4_T5_P12ihipStream_tbEUlRKiE_EESL_SP_SQ_mSR_SU_bEUlT_E_NS1_11comp_targetILNS1_3genE8ELNS1_11target_archE1030ELNS1_3gpuE2ELNS1_3repE0EEENS1_30default_config_static_selectorELNS0_4arch9wavefront6targetE1EEEvSO_.kd
    .uniform_work_group_size: 1
    .uses_dynamic_stack: false
    .vgpr_count:     0
    .vgpr_spill_count: 0
    .wavefront_size: 64
  - .agpr_count:     0
    .args:
      - .offset:         0
        .size:           8
        .value_kind:     by_value
      - .address_space:  global
        .offset:         8
        .size:           8
        .value_kind:     global_buffer
      - .address_space:  global
        .offset:         16
        .size:           8
        .value_kind:     global_buffer
    .group_segment_fixed_size: 0
    .kernarg_segment_align: 8
    .kernarg_segment_size: 24
    .language:       OpenCL C
    .language_version:
      - 2
      - 0
    .max_flat_workgroup_size: 256
    .name:           _Z20binary_search_kernelIsEvmPT_Pb
    .private_segment_fixed_size: 0
    .sgpr_count:     23
    .sgpr_spill_count: 0
    .symbol:         _Z20binary_search_kernelIsEvmPT_Pb.kd
    .uniform_work_group_size: 1
    .uses_dynamic_stack: false
    .vgpr_count:     4
    .vgpr_spill_count: 0
    .wavefront_size: 64
  - .agpr_count:     0
    .args:
      - .offset:         0
        .size:           56
        .value_kind:     by_value
    .group_segment_fixed_size: 0
    .kernarg_segment_align: 8
    .kernarg_segment_size: 56
    .language:       OpenCL C
    .language_version:
      - 2
      - 0
    .max_flat_workgroup_size: 128
    .name:           _ZN7rocprim17ROCPRIM_400000_NS6detail17trampoline_kernelINS0_14default_configENS1_29binary_search_config_selectorIsbEEZNS1_14transform_implILb0ES3_S5_N6thrust23THRUST_200600_302600_NS17counting_iteratorIsNS8_11use_defaultESA_SA_EEPbZNS1_13binary_searchIS3_S5_PsSB_SC_NS1_16binary_search_opENS8_6detail16wrapped_functionINS0_4lessIvEEbEEEE10hipError_tPvRmT1_T2_T3_mmT4_T5_P12ihipStream_tbEUlRKsE_EESL_SP_SQ_mSR_SU_bEUlT_E_NS1_11comp_targetILNS1_3genE0ELNS1_11target_archE4294967295ELNS1_3gpuE0ELNS1_3repE0EEENS1_30default_config_static_selectorELNS0_4arch9wavefront6targetE1EEEvSO_
    .private_segment_fixed_size: 0
    .sgpr_count:     4
    .sgpr_spill_count: 0
    .symbol:         _ZN7rocprim17ROCPRIM_400000_NS6detail17trampoline_kernelINS0_14default_configENS1_29binary_search_config_selectorIsbEEZNS1_14transform_implILb0ES3_S5_N6thrust23THRUST_200600_302600_NS17counting_iteratorIsNS8_11use_defaultESA_SA_EEPbZNS1_13binary_searchIS3_S5_PsSB_SC_NS1_16binary_search_opENS8_6detail16wrapped_functionINS0_4lessIvEEbEEEE10hipError_tPvRmT1_T2_T3_mmT4_T5_P12ihipStream_tbEUlRKsE_EESL_SP_SQ_mSR_SU_bEUlT_E_NS1_11comp_targetILNS1_3genE0ELNS1_11target_archE4294967295ELNS1_3gpuE0ELNS1_3repE0EEENS1_30default_config_static_selectorELNS0_4arch9wavefront6targetE1EEEvSO_.kd
    .uniform_work_group_size: 1
    .uses_dynamic_stack: false
    .vgpr_count:     0
    .vgpr_spill_count: 0
    .wavefront_size: 64
  - .agpr_count:     0
    .args:
      - .offset:         0
        .size:           56
        .value_kind:     by_value
    .group_segment_fixed_size: 0
    .kernarg_segment_align: 8
    .kernarg_segment_size: 56
    .language:       OpenCL C
    .language_version:
      - 2
      - 0
    .max_flat_workgroup_size: 256
    .name:           _ZN7rocprim17ROCPRIM_400000_NS6detail17trampoline_kernelINS0_14default_configENS1_29binary_search_config_selectorIsbEEZNS1_14transform_implILb0ES3_S5_N6thrust23THRUST_200600_302600_NS17counting_iteratorIsNS8_11use_defaultESA_SA_EEPbZNS1_13binary_searchIS3_S5_PsSB_SC_NS1_16binary_search_opENS8_6detail16wrapped_functionINS0_4lessIvEEbEEEE10hipError_tPvRmT1_T2_T3_mmT4_T5_P12ihipStream_tbEUlRKsE_EESL_SP_SQ_mSR_SU_bEUlT_E_NS1_11comp_targetILNS1_3genE5ELNS1_11target_archE942ELNS1_3gpuE9ELNS1_3repE0EEENS1_30default_config_static_selectorELNS0_4arch9wavefront6targetE1EEEvSO_
    .private_segment_fixed_size: 0
    .sgpr_count:     4
    .sgpr_spill_count: 0
    .symbol:         _ZN7rocprim17ROCPRIM_400000_NS6detail17trampoline_kernelINS0_14default_configENS1_29binary_search_config_selectorIsbEEZNS1_14transform_implILb0ES3_S5_N6thrust23THRUST_200600_302600_NS17counting_iteratorIsNS8_11use_defaultESA_SA_EEPbZNS1_13binary_searchIS3_S5_PsSB_SC_NS1_16binary_search_opENS8_6detail16wrapped_functionINS0_4lessIvEEbEEEE10hipError_tPvRmT1_T2_T3_mmT4_T5_P12ihipStream_tbEUlRKsE_EESL_SP_SQ_mSR_SU_bEUlT_E_NS1_11comp_targetILNS1_3genE5ELNS1_11target_archE942ELNS1_3gpuE9ELNS1_3repE0EEENS1_30default_config_static_selectorELNS0_4arch9wavefront6targetE1EEEvSO_.kd
    .uniform_work_group_size: 1
    .uses_dynamic_stack: false
    .vgpr_count:     0
    .vgpr_spill_count: 0
    .wavefront_size: 64
  - .agpr_count:     0
    .args:
      - .offset:         0
        .size:           56
        .value_kind:     by_value
      - .offset:         56
        .size:           4
        .value_kind:     hidden_block_count_x
      - .offset:         60
        .size:           4
        .value_kind:     hidden_block_count_y
      - .offset:         64
        .size:           4
        .value_kind:     hidden_block_count_z
      - .offset:         68
        .size:           2
        .value_kind:     hidden_group_size_x
      - .offset:         70
        .size:           2
        .value_kind:     hidden_group_size_y
      - .offset:         72
        .size:           2
        .value_kind:     hidden_group_size_z
      - .offset:         74
        .size:           2
        .value_kind:     hidden_remainder_x
      - .offset:         76
        .size:           2
        .value_kind:     hidden_remainder_y
      - .offset:         78
        .size:           2
        .value_kind:     hidden_remainder_z
      - .offset:         96
        .size:           8
        .value_kind:     hidden_global_offset_x
      - .offset:         104
        .size:           8
        .value_kind:     hidden_global_offset_y
      - .offset:         112
        .size:           8
        .value_kind:     hidden_global_offset_z
      - .offset:         120
        .size:           2
        .value_kind:     hidden_grid_dims
    .group_segment_fixed_size: 0
    .kernarg_segment_align: 8
    .kernarg_segment_size: 312
    .language:       OpenCL C
    .language_version:
      - 2
      - 0
    .max_flat_workgroup_size: 256
    .name:           _ZN7rocprim17ROCPRIM_400000_NS6detail17trampoline_kernelINS0_14default_configENS1_29binary_search_config_selectorIsbEEZNS1_14transform_implILb0ES3_S5_N6thrust23THRUST_200600_302600_NS17counting_iteratorIsNS8_11use_defaultESA_SA_EEPbZNS1_13binary_searchIS3_S5_PsSB_SC_NS1_16binary_search_opENS8_6detail16wrapped_functionINS0_4lessIvEEbEEEE10hipError_tPvRmT1_T2_T3_mmT4_T5_P12ihipStream_tbEUlRKsE_EESL_SP_SQ_mSR_SU_bEUlT_E_NS1_11comp_targetILNS1_3genE4ELNS1_11target_archE910ELNS1_3gpuE8ELNS1_3repE0EEENS1_30default_config_static_selectorELNS0_4arch9wavefront6targetE1EEEvSO_
    .private_segment_fixed_size: 0
    .sgpr_count:     22
    .sgpr_spill_count: 0
    .symbol:         _ZN7rocprim17ROCPRIM_400000_NS6detail17trampoline_kernelINS0_14default_configENS1_29binary_search_config_selectorIsbEEZNS1_14transform_implILb0ES3_S5_N6thrust23THRUST_200600_302600_NS17counting_iteratorIsNS8_11use_defaultESA_SA_EEPbZNS1_13binary_searchIS3_S5_PsSB_SC_NS1_16binary_search_opENS8_6detail16wrapped_functionINS0_4lessIvEEbEEEE10hipError_tPvRmT1_T2_T3_mmT4_T5_P12ihipStream_tbEUlRKsE_EESL_SP_SQ_mSR_SU_bEUlT_E_NS1_11comp_targetILNS1_3genE4ELNS1_11target_archE910ELNS1_3gpuE8ELNS1_3repE0EEENS1_30default_config_static_selectorELNS0_4arch9wavefront6targetE1EEEvSO_.kd
    .uniform_work_group_size: 1
    .uses_dynamic_stack: false
    .vgpr_count:     12
    .vgpr_spill_count: 0
    .wavefront_size: 64
  - .agpr_count:     0
    .args:
      - .offset:         0
        .size:           56
        .value_kind:     by_value
    .group_segment_fixed_size: 0
    .kernarg_segment_align: 8
    .kernarg_segment_size: 56
    .language:       OpenCL C
    .language_version:
      - 2
      - 0
    .max_flat_workgroup_size: 128
    .name:           _ZN7rocprim17ROCPRIM_400000_NS6detail17trampoline_kernelINS0_14default_configENS1_29binary_search_config_selectorIsbEEZNS1_14transform_implILb0ES3_S5_N6thrust23THRUST_200600_302600_NS17counting_iteratorIsNS8_11use_defaultESA_SA_EEPbZNS1_13binary_searchIS3_S5_PsSB_SC_NS1_16binary_search_opENS8_6detail16wrapped_functionINS0_4lessIvEEbEEEE10hipError_tPvRmT1_T2_T3_mmT4_T5_P12ihipStream_tbEUlRKsE_EESL_SP_SQ_mSR_SU_bEUlT_E_NS1_11comp_targetILNS1_3genE3ELNS1_11target_archE908ELNS1_3gpuE7ELNS1_3repE0EEENS1_30default_config_static_selectorELNS0_4arch9wavefront6targetE1EEEvSO_
    .private_segment_fixed_size: 0
    .sgpr_count:     4
    .sgpr_spill_count: 0
    .symbol:         _ZN7rocprim17ROCPRIM_400000_NS6detail17trampoline_kernelINS0_14default_configENS1_29binary_search_config_selectorIsbEEZNS1_14transform_implILb0ES3_S5_N6thrust23THRUST_200600_302600_NS17counting_iteratorIsNS8_11use_defaultESA_SA_EEPbZNS1_13binary_searchIS3_S5_PsSB_SC_NS1_16binary_search_opENS8_6detail16wrapped_functionINS0_4lessIvEEbEEEE10hipError_tPvRmT1_T2_T3_mmT4_T5_P12ihipStream_tbEUlRKsE_EESL_SP_SQ_mSR_SU_bEUlT_E_NS1_11comp_targetILNS1_3genE3ELNS1_11target_archE908ELNS1_3gpuE7ELNS1_3repE0EEENS1_30default_config_static_selectorELNS0_4arch9wavefront6targetE1EEEvSO_.kd
    .uniform_work_group_size: 1
    .uses_dynamic_stack: false
    .vgpr_count:     0
    .vgpr_spill_count: 0
    .wavefront_size: 64
  - .agpr_count:     0
    .args:
      - .offset:         0
        .size:           56
        .value_kind:     by_value
    .group_segment_fixed_size: 0
    .kernarg_segment_align: 8
    .kernarg_segment_size: 56
    .language:       OpenCL C
    .language_version:
      - 2
      - 0
    .max_flat_workgroup_size: 256
    .name:           _ZN7rocprim17ROCPRIM_400000_NS6detail17trampoline_kernelINS0_14default_configENS1_29binary_search_config_selectorIsbEEZNS1_14transform_implILb0ES3_S5_N6thrust23THRUST_200600_302600_NS17counting_iteratorIsNS8_11use_defaultESA_SA_EEPbZNS1_13binary_searchIS3_S5_PsSB_SC_NS1_16binary_search_opENS8_6detail16wrapped_functionINS0_4lessIvEEbEEEE10hipError_tPvRmT1_T2_T3_mmT4_T5_P12ihipStream_tbEUlRKsE_EESL_SP_SQ_mSR_SU_bEUlT_E_NS1_11comp_targetILNS1_3genE2ELNS1_11target_archE906ELNS1_3gpuE6ELNS1_3repE0EEENS1_30default_config_static_selectorELNS0_4arch9wavefront6targetE1EEEvSO_
    .private_segment_fixed_size: 0
    .sgpr_count:     4
    .sgpr_spill_count: 0
    .symbol:         _ZN7rocprim17ROCPRIM_400000_NS6detail17trampoline_kernelINS0_14default_configENS1_29binary_search_config_selectorIsbEEZNS1_14transform_implILb0ES3_S5_N6thrust23THRUST_200600_302600_NS17counting_iteratorIsNS8_11use_defaultESA_SA_EEPbZNS1_13binary_searchIS3_S5_PsSB_SC_NS1_16binary_search_opENS8_6detail16wrapped_functionINS0_4lessIvEEbEEEE10hipError_tPvRmT1_T2_T3_mmT4_T5_P12ihipStream_tbEUlRKsE_EESL_SP_SQ_mSR_SU_bEUlT_E_NS1_11comp_targetILNS1_3genE2ELNS1_11target_archE906ELNS1_3gpuE6ELNS1_3repE0EEENS1_30default_config_static_selectorELNS0_4arch9wavefront6targetE1EEEvSO_.kd
    .uniform_work_group_size: 1
    .uses_dynamic_stack: false
    .vgpr_count:     0
    .vgpr_spill_count: 0
    .wavefront_size: 64
  - .agpr_count:     0
    .args:
      - .offset:         0
        .size:           56
        .value_kind:     by_value
    .group_segment_fixed_size: 0
    .kernarg_segment_align: 8
    .kernarg_segment_size: 56
    .language:       OpenCL C
    .language_version:
      - 2
      - 0
    .max_flat_workgroup_size: 256
    .name:           _ZN7rocprim17ROCPRIM_400000_NS6detail17trampoline_kernelINS0_14default_configENS1_29binary_search_config_selectorIsbEEZNS1_14transform_implILb0ES3_S5_N6thrust23THRUST_200600_302600_NS17counting_iteratorIsNS8_11use_defaultESA_SA_EEPbZNS1_13binary_searchIS3_S5_PsSB_SC_NS1_16binary_search_opENS8_6detail16wrapped_functionINS0_4lessIvEEbEEEE10hipError_tPvRmT1_T2_T3_mmT4_T5_P12ihipStream_tbEUlRKsE_EESL_SP_SQ_mSR_SU_bEUlT_E_NS1_11comp_targetILNS1_3genE10ELNS1_11target_archE1201ELNS1_3gpuE5ELNS1_3repE0EEENS1_30default_config_static_selectorELNS0_4arch9wavefront6targetE1EEEvSO_
    .private_segment_fixed_size: 0
    .sgpr_count:     4
    .sgpr_spill_count: 0
    .symbol:         _ZN7rocprim17ROCPRIM_400000_NS6detail17trampoline_kernelINS0_14default_configENS1_29binary_search_config_selectorIsbEEZNS1_14transform_implILb0ES3_S5_N6thrust23THRUST_200600_302600_NS17counting_iteratorIsNS8_11use_defaultESA_SA_EEPbZNS1_13binary_searchIS3_S5_PsSB_SC_NS1_16binary_search_opENS8_6detail16wrapped_functionINS0_4lessIvEEbEEEE10hipError_tPvRmT1_T2_T3_mmT4_T5_P12ihipStream_tbEUlRKsE_EESL_SP_SQ_mSR_SU_bEUlT_E_NS1_11comp_targetILNS1_3genE10ELNS1_11target_archE1201ELNS1_3gpuE5ELNS1_3repE0EEENS1_30default_config_static_selectorELNS0_4arch9wavefront6targetE1EEEvSO_.kd
    .uniform_work_group_size: 1
    .uses_dynamic_stack: false
    .vgpr_count:     0
    .vgpr_spill_count: 0
    .wavefront_size: 64
  - .agpr_count:     0
    .args:
      - .offset:         0
        .size:           56
        .value_kind:     by_value
    .group_segment_fixed_size: 0
    .kernarg_segment_align: 8
    .kernarg_segment_size: 56
    .language:       OpenCL C
    .language_version:
      - 2
      - 0
    .max_flat_workgroup_size: 256
    .name:           _ZN7rocprim17ROCPRIM_400000_NS6detail17trampoline_kernelINS0_14default_configENS1_29binary_search_config_selectorIsbEEZNS1_14transform_implILb0ES3_S5_N6thrust23THRUST_200600_302600_NS17counting_iteratorIsNS8_11use_defaultESA_SA_EEPbZNS1_13binary_searchIS3_S5_PsSB_SC_NS1_16binary_search_opENS8_6detail16wrapped_functionINS0_4lessIvEEbEEEE10hipError_tPvRmT1_T2_T3_mmT4_T5_P12ihipStream_tbEUlRKsE_EESL_SP_SQ_mSR_SU_bEUlT_E_NS1_11comp_targetILNS1_3genE10ELNS1_11target_archE1200ELNS1_3gpuE4ELNS1_3repE0EEENS1_30default_config_static_selectorELNS0_4arch9wavefront6targetE1EEEvSO_
    .private_segment_fixed_size: 0
    .sgpr_count:     4
    .sgpr_spill_count: 0
    .symbol:         _ZN7rocprim17ROCPRIM_400000_NS6detail17trampoline_kernelINS0_14default_configENS1_29binary_search_config_selectorIsbEEZNS1_14transform_implILb0ES3_S5_N6thrust23THRUST_200600_302600_NS17counting_iteratorIsNS8_11use_defaultESA_SA_EEPbZNS1_13binary_searchIS3_S5_PsSB_SC_NS1_16binary_search_opENS8_6detail16wrapped_functionINS0_4lessIvEEbEEEE10hipError_tPvRmT1_T2_T3_mmT4_T5_P12ihipStream_tbEUlRKsE_EESL_SP_SQ_mSR_SU_bEUlT_E_NS1_11comp_targetILNS1_3genE10ELNS1_11target_archE1200ELNS1_3gpuE4ELNS1_3repE0EEENS1_30default_config_static_selectorELNS0_4arch9wavefront6targetE1EEEvSO_.kd
    .uniform_work_group_size: 1
    .uses_dynamic_stack: false
    .vgpr_count:     0
    .vgpr_spill_count: 0
    .wavefront_size: 64
  - .agpr_count:     0
    .args:
      - .offset:         0
        .size:           56
        .value_kind:     by_value
    .group_segment_fixed_size: 0
    .kernarg_segment_align: 8
    .kernarg_segment_size: 56
    .language:       OpenCL C
    .language_version:
      - 2
      - 0
    .max_flat_workgroup_size: 64
    .name:           _ZN7rocprim17ROCPRIM_400000_NS6detail17trampoline_kernelINS0_14default_configENS1_29binary_search_config_selectorIsbEEZNS1_14transform_implILb0ES3_S5_N6thrust23THRUST_200600_302600_NS17counting_iteratorIsNS8_11use_defaultESA_SA_EEPbZNS1_13binary_searchIS3_S5_PsSB_SC_NS1_16binary_search_opENS8_6detail16wrapped_functionINS0_4lessIvEEbEEEE10hipError_tPvRmT1_T2_T3_mmT4_T5_P12ihipStream_tbEUlRKsE_EESL_SP_SQ_mSR_SU_bEUlT_E_NS1_11comp_targetILNS1_3genE9ELNS1_11target_archE1100ELNS1_3gpuE3ELNS1_3repE0EEENS1_30default_config_static_selectorELNS0_4arch9wavefront6targetE1EEEvSO_
    .private_segment_fixed_size: 0
    .sgpr_count:     4
    .sgpr_spill_count: 0
    .symbol:         _ZN7rocprim17ROCPRIM_400000_NS6detail17trampoline_kernelINS0_14default_configENS1_29binary_search_config_selectorIsbEEZNS1_14transform_implILb0ES3_S5_N6thrust23THRUST_200600_302600_NS17counting_iteratorIsNS8_11use_defaultESA_SA_EEPbZNS1_13binary_searchIS3_S5_PsSB_SC_NS1_16binary_search_opENS8_6detail16wrapped_functionINS0_4lessIvEEbEEEE10hipError_tPvRmT1_T2_T3_mmT4_T5_P12ihipStream_tbEUlRKsE_EESL_SP_SQ_mSR_SU_bEUlT_E_NS1_11comp_targetILNS1_3genE9ELNS1_11target_archE1100ELNS1_3gpuE3ELNS1_3repE0EEENS1_30default_config_static_selectorELNS0_4arch9wavefront6targetE1EEEvSO_.kd
    .uniform_work_group_size: 1
    .uses_dynamic_stack: false
    .vgpr_count:     0
    .vgpr_spill_count: 0
    .wavefront_size: 64
  - .agpr_count:     0
    .args:
      - .offset:         0
        .size:           56
        .value_kind:     by_value
    .group_segment_fixed_size: 0
    .kernarg_segment_align: 8
    .kernarg_segment_size: 56
    .language:       OpenCL C
    .language_version:
      - 2
      - 0
    .max_flat_workgroup_size: 128
    .name:           _ZN7rocprim17ROCPRIM_400000_NS6detail17trampoline_kernelINS0_14default_configENS1_29binary_search_config_selectorIsbEEZNS1_14transform_implILb0ES3_S5_N6thrust23THRUST_200600_302600_NS17counting_iteratorIsNS8_11use_defaultESA_SA_EEPbZNS1_13binary_searchIS3_S5_PsSB_SC_NS1_16binary_search_opENS8_6detail16wrapped_functionINS0_4lessIvEEbEEEE10hipError_tPvRmT1_T2_T3_mmT4_T5_P12ihipStream_tbEUlRKsE_EESL_SP_SQ_mSR_SU_bEUlT_E_NS1_11comp_targetILNS1_3genE8ELNS1_11target_archE1030ELNS1_3gpuE2ELNS1_3repE0EEENS1_30default_config_static_selectorELNS0_4arch9wavefront6targetE1EEEvSO_
    .private_segment_fixed_size: 0
    .sgpr_count:     4
    .sgpr_spill_count: 0
    .symbol:         _ZN7rocprim17ROCPRIM_400000_NS6detail17trampoline_kernelINS0_14default_configENS1_29binary_search_config_selectorIsbEEZNS1_14transform_implILb0ES3_S5_N6thrust23THRUST_200600_302600_NS17counting_iteratorIsNS8_11use_defaultESA_SA_EEPbZNS1_13binary_searchIS3_S5_PsSB_SC_NS1_16binary_search_opENS8_6detail16wrapped_functionINS0_4lessIvEEbEEEE10hipError_tPvRmT1_T2_T3_mmT4_T5_P12ihipStream_tbEUlRKsE_EESL_SP_SQ_mSR_SU_bEUlT_E_NS1_11comp_targetILNS1_3genE8ELNS1_11target_archE1030ELNS1_3gpuE2ELNS1_3repE0EEENS1_30default_config_static_selectorELNS0_4arch9wavefront6targetE1EEEvSO_.kd
    .uniform_work_group_size: 1
    .uses_dynamic_stack: false
    .vgpr_count:     0
    .vgpr_spill_count: 0
    .wavefront_size: 64
  - .agpr_count:     0
    .args:
      - .offset:         0
        .size:           24
        .value_kind:     by_value
      - .offset:         24
        .size:           8
        .value_kind:     by_value
      - .offset:         32
        .size:           8
        .value_kind:     by_value
    .group_segment_fixed_size: 0
    .kernarg_segment_align: 8
    .kernarg_segment_size: 40
    .language:       OpenCL C
    .language_version:
      - 2
      - 0
    .max_flat_workgroup_size: 256
    .name:           _ZN6thrust23THRUST_200600_302600_NS11hip_rocprim14__parallel_for6kernelILj256ENS1_10__tabulate7functorINS0_6detail15normal_iteratorINS0_10device_ptrIdEEEENS0_6system6detail7generic6detail22compute_sequence_valueIdvEElEElLj1EEEvT0_T1_SJ_
    .private_segment_fixed_size: 0
    .sgpr_count:     20
    .sgpr_spill_count: 0
    .symbol:         _ZN6thrust23THRUST_200600_302600_NS11hip_rocprim14__parallel_for6kernelILj256ENS1_10__tabulate7functorINS0_6detail15normal_iteratorINS0_10device_ptrIdEEEENS0_6system6detail7generic6detail22compute_sequence_valueIdvEElEElLj1EEEvT0_T1_SJ_.kd
    .uniform_work_group_size: 1
    .uses_dynamic_stack: false
    .vgpr_count:     8
    .vgpr_spill_count: 0
    .wavefront_size: 64
  - .agpr_count:     0
    .args:
      - .offset:         0
        .size:           16
        .value_kind:     by_value
      - .offset:         16
        .size:           8
        .value_kind:     by_value
      - .offset:         24
        .size:           8
        .value_kind:     by_value
    .group_segment_fixed_size: 0
    .kernarg_segment_align: 8
    .kernarg_segment_size: 32
    .language:       OpenCL C
    .language_version:
      - 2
      - 0
    .max_flat_workgroup_size: 256
    .name:           _ZN6thrust23THRUST_200600_302600_NS11hip_rocprim14__parallel_for6kernelILj256ENS1_20__uninitialized_fill7functorINS0_10device_ptrIiEEiEEmLj1EEEvT0_T1_SA_
    .private_segment_fixed_size: 0
    .sgpr_count:     16
    .sgpr_spill_count: 0
    .symbol:         _ZN6thrust23THRUST_200600_302600_NS11hip_rocprim14__parallel_for6kernelILj256ENS1_20__uninitialized_fill7functorINS0_10device_ptrIiEEiEEmLj1EEEvT0_T1_SA_.kd
    .uniform_work_group_size: 1
    .uses_dynamic_stack: false
    .vgpr_count:     4
    .vgpr_spill_count: 0
    .wavefront_size: 64
  - .agpr_count:     0
    .args:
      - .offset:         0
        .size:           56
        .value_kind:     by_value
    .group_segment_fixed_size: 0
    .kernarg_segment_align: 8
    .kernarg_segment_size: 56
    .language:       OpenCL C
    .language_version:
      - 2
      - 0
    .max_flat_workgroup_size: 128
    .name:           _ZN7rocprim17ROCPRIM_400000_NS6detail17trampoline_kernelINS0_14default_configENS1_27lower_bound_config_selectorIdiEEZNS1_14transform_implILb0ES3_S5_N6thrust23THRUST_200600_302600_NS6detail15normal_iteratorINS8_10device_ptrIdEEEENSA_INSB_IiEEEEZNS1_13binary_searchIS3_S5_SD_SD_SF_NS1_21lower_bound_search_opENS9_16wrapped_functionINS0_4lessIvEEbEEEE10hipError_tPvRmT1_T2_T3_mmT4_T5_P12ihipStream_tbEUlRKdE_EESM_SQ_SR_mSS_SV_bEUlT_E_NS1_11comp_targetILNS1_3genE0ELNS1_11target_archE4294967295ELNS1_3gpuE0ELNS1_3repE0EEENS1_30default_config_static_selectorELNS0_4arch9wavefront6targetE1EEEvSP_
    .private_segment_fixed_size: 0
    .sgpr_count:     4
    .sgpr_spill_count: 0
    .symbol:         _ZN7rocprim17ROCPRIM_400000_NS6detail17trampoline_kernelINS0_14default_configENS1_27lower_bound_config_selectorIdiEEZNS1_14transform_implILb0ES3_S5_N6thrust23THRUST_200600_302600_NS6detail15normal_iteratorINS8_10device_ptrIdEEEENSA_INSB_IiEEEEZNS1_13binary_searchIS3_S5_SD_SD_SF_NS1_21lower_bound_search_opENS9_16wrapped_functionINS0_4lessIvEEbEEEE10hipError_tPvRmT1_T2_T3_mmT4_T5_P12ihipStream_tbEUlRKdE_EESM_SQ_SR_mSS_SV_bEUlT_E_NS1_11comp_targetILNS1_3genE0ELNS1_11target_archE4294967295ELNS1_3gpuE0ELNS1_3repE0EEENS1_30default_config_static_selectorELNS0_4arch9wavefront6targetE1EEEvSP_.kd
    .uniform_work_group_size: 1
    .uses_dynamic_stack: false
    .vgpr_count:     0
    .vgpr_spill_count: 0
    .wavefront_size: 64
  - .agpr_count:     0
    .args:
      - .offset:         0
        .size:           56
        .value_kind:     by_value
    .group_segment_fixed_size: 0
    .kernarg_segment_align: 8
    .kernarg_segment_size: 56
    .language:       OpenCL C
    .language_version:
      - 2
      - 0
    .max_flat_workgroup_size: 64
    .name:           _ZN7rocprim17ROCPRIM_400000_NS6detail17trampoline_kernelINS0_14default_configENS1_27lower_bound_config_selectorIdiEEZNS1_14transform_implILb0ES3_S5_N6thrust23THRUST_200600_302600_NS6detail15normal_iteratorINS8_10device_ptrIdEEEENSA_INSB_IiEEEEZNS1_13binary_searchIS3_S5_SD_SD_SF_NS1_21lower_bound_search_opENS9_16wrapped_functionINS0_4lessIvEEbEEEE10hipError_tPvRmT1_T2_T3_mmT4_T5_P12ihipStream_tbEUlRKdE_EESM_SQ_SR_mSS_SV_bEUlT_E_NS1_11comp_targetILNS1_3genE5ELNS1_11target_archE942ELNS1_3gpuE9ELNS1_3repE0EEENS1_30default_config_static_selectorELNS0_4arch9wavefront6targetE1EEEvSP_
    .private_segment_fixed_size: 0
    .sgpr_count:     4
    .sgpr_spill_count: 0
    .symbol:         _ZN7rocprim17ROCPRIM_400000_NS6detail17trampoline_kernelINS0_14default_configENS1_27lower_bound_config_selectorIdiEEZNS1_14transform_implILb0ES3_S5_N6thrust23THRUST_200600_302600_NS6detail15normal_iteratorINS8_10device_ptrIdEEEENSA_INSB_IiEEEEZNS1_13binary_searchIS3_S5_SD_SD_SF_NS1_21lower_bound_search_opENS9_16wrapped_functionINS0_4lessIvEEbEEEE10hipError_tPvRmT1_T2_T3_mmT4_T5_P12ihipStream_tbEUlRKdE_EESM_SQ_SR_mSS_SV_bEUlT_E_NS1_11comp_targetILNS1_3genE5ELNS1_11target_archE942ELNS1_3gpuE9ELNS1_3repE0EEENS1_30default_config_static_selectorELNS0_4arch9wavefront6targetE1EEEvSP_.kd
    .uniform_work_group_size: 1
    .uses_dynamic_stack: false
    .vgpr_count:     0
    .vgpr_spill_count: 0
    .wavefront_size: 64
  - .agpr_count:     0
    .args:
      - .offset:         0
        .size:           56
        .value_kind:     by_value
      - .offset:         56
        .size:           4
        .value_kind:     hidden_block_count_x
      - .offset:         60
        .size:           4
        .value_kind:     hidden_block_count_y
      - .offset:         64
        .size:           4
        .value_kind:     hidden_block_count_z
      - .offset:         68
        .size:           2
        .value_kind:     hidden_group_size_x
      - .offset:         70
        .size:           2
        .value_kind:     hidden_group_size_y
      - .offset:         72
        .size:           2
        .value_kind:     hidden_group_size_z
      - .offset:         74
        .size:           2
        .value_kind:     hidden_remainder_x
      - .offset:         76
        .size:           2
        .value_kind:     hidden_remainder_y
      - .offset:         78
        .size:           2
        .value_kind:     hidden_remainder_z
      - .offset:         96
        .size:           8
        .value_kind:     hidden_global_offset_x
      - .offset:         104
        .size:           8
        .value_kind:     hidden_global_offset_y
      - .offset:         112
        .size:           8
        .value_kind:     hidden_global_offset_z
      - .offset:         120
        .size:           2
        .value_kind:     hidden_grid_dims
    .group_segment_fixed_size: 0
    .kernarg_segment_align: 8
    .kernarg_segment_size: 312
    .language:       OpenCL C
    .language_version:
      - 2
      - 0
    .max_flat_workgroup_size: 64
    .name:           _ZN7rocprim17ROCPRIM_400000_NS6detail17trampoline_kernelINS0_14default_configENS1_27lower_bound_config_selectorIdiEEZNS1_14transform_implILb0ES3_S5_N6thrust23THRUST_200600_302600_NS6detail15normal_iteratorINS8_10device_ptrIdEEEENSA_INSB_IiEEEEZNS1_13binary_searchIS3_S5_SD_SD_SF_NS1_21lower_bound_search_opENS9_16wrapped_functionINS0_4lessIvEEbEEEE10hipError_tPvRmT1_T2_T3_mmT4_T5_P12ihipStream_tbEUlRKdE_EESM_SQ_SR_mSS_SV_bEUlT_E_NS1_11comp_targetILNS1_3genE4ELNS1_11target_archE910ELNS1_3gpuE8ELNS1_3repE0EEENS1_30default_config_static_selectorELNS0_4arch9wavefront6targetE1EEEvSP_
    .private_segment_fixed_size: 0
    .sgpr_count:     24
    .sgpr_spill_count: 0
    .symbol:         _ZN7rocprim17ROCPRIM_400000_NS6detail17trampoline_kernelINS0_14default_configENS1_27lower_bound_config_selectorIdiEEZNS1_14transform_implILb0ES3_S5_N6thrust23THRUST_200600_302600_NS6detail15normal_iteratorINS8_10device_ptrIdEEEENSA_INSB_IiEEEEZNS1_13binary_searchIS3_S5_SD_SD_SF_NS1_21lower_bound_search_opENS9_16wrapped_functionINS0_4lessIvEEbEEEE10hipError_tPvRmT1_T2_T3_mmT4_T5_P12ihipStream_tbEUlRKdE_EESM_SQ_SR_mSS_SV_bEUlT_E_NS1_11comp_targetILNS1_3genE4ELNS1_11target_archE910ELNS1_3gpuE8ELNS1_3repE0EEENS1_30default_config_static_selectorELNS0_4arch9wavefront6targetE1EEEvSP_.kd
    .uniform_work_group_size: 1
    .uses_dynamic_stack: false
    .vgpr_count:     14
    .vgpr_spill_count: 0
    .wavefront_size: 64
  - .agpr_count:     0
    .args:
      - .offset:         0
        .size:           56
        .value_kind:     by_value
    .group_segment_fixed_size: 0
    .kernarg_segment_align: 8
    .kernarg_segment_size: 56
    .language:       OpenCL C
    .language_version:
      - 2
      - 0
    .max_flat_workgroup_size: 128
    .name:           _ZN7rocprim17ROCPRIM_400000_NS6detail17trampoline_kernelINS0_14default_configENS1_27lower_bound_config_selectorIdiEEZNS1_14transform_implILb0ES3_S5_N6thrust23THRUST_200600_302600_NS6detail15normal_iteratorINS8_10device_ptrIdEEEENSA_INSB_IiEEEEZNS1_13binary_searchIS3_S5_SD_SD_SF_NS1_21lower_bound_search_opENS9_16wrapped_functionINS0_4lessIvEEbEEEE10hipError_tPvRmT1_T2_T3_mmT4_T5_P12ihipStream_tbEUlRKdE_EESM_SQ_SR_mSS_SV_bEUlT_E_NS1_11comp_targetILNS1_3genE3ELNS1_11target_archE908ELNS1_3gpuE7ELNS1_3repE0EEENS1_30default_config_static_selectorELNS0_4arch9wavefront6targetE1EEEvSP_
    .private_segment_fixed_size: 0
    .sgpr_count:     4
    .sgpr_spill_count: 0
    .symbol:         _ZN7rocprim17ROCPRIM_400000_NS6detail17trampoline_kernelINS0_14default_configENS1_27lower_bound_config_selectorIdiEEZNS1_14transform_implILb0ES3_S5_N6thrust23THRUST_200600_302600_NS6detail15normal_iteratorINS8_10device_ptrIdEEEENSA_INSB_IiEEEEZNS1_13binary_searchIS3_S5_SD_SD_SF_NS1_21lower_bound_search_opENS9_16wrapped_functionINS0_4lessIvEEbEEEE10hipError_tPvRmT1_T2_T3_mmT4_T5_P12ihipStream_tbEUlRKdE_EESM_SQ_SR_mSS_SV_bEUlT_E_NS1_11comp_targetILNS1_3genE3ELNS1_11target_archE908ELNS1_3gpuE7ELNS1_3repE0EEENS1_30default_config_static_selectorELNS0_4arch9wavefront6targetE1EEEvSP_.kd
    .uniform_work_group_size: 1
    .uses_dynamic_stack: false
    .vgpr_count:     0
    .vgpr_spill_count: 0
    .wavefront_size: 64
  - .agpr_count:     0
    .args:
      - .offset:         0
        .size:           56
        .value_kind:     by_value
    .group_segment_fixed_size: 0
    .kernarg_segment_align: 8
    .kernarg_segment_size: 56
    .language:       OpenCL C
    .language_version:
      - 2
      - 0
    .max_flat_workgroup_size: 256
    .name:           _ZN7rocprim17ROCPRIM_400000_NS6detail17trampoline_kernelINS0_14default_configENS1_27lower_bound_config_selectorIdiEEZNS1_14transform_implILb0ES3_S5_N6thrust23THRUST_200600_302600_NS6detail15normal_iteratorINS8_10device_ptrIdEEEENSA_INSB_IiEEEEZNS1_13binary_searchIS3_S5_SD_SD_SF_NS1_21lower_bound_search_opENS9_16wrapped_functionINS0_4lessIvEEbEEEE10hipError_tPvRmT1_T2_T3_mmT4_T5_P12ihipStream_tbEUlRKdE_EESM_SQ_SR_mSS_SV_bEUlT_E_NS1_11comp_targetILNS1_3genE2ELNS1_11target_archE906ELNS1_3gpuE6ELNS1_3repE0EEENS1_30default_config_static_selectorELNS0_4arch9wavefront6targetE1EEEvSP_
    .private_segment_fixed_size: 0
    .sgpr_count:     4
    .sgpr_spill_count: 0
    .symbol:         _ZN7rocprim17ROCPRIM_400000_NS6detail17trampoline_kernelINS0_14default_configENS1_27lower_bound_config_selectorIdiEEZNS1_14transform_implILb0ES3_S5_N6thrust23THRUST_200600_302600_NS6detail15normal_iteratorINS8_10device_ptrIdEEEENSA_INSB_IiEEEEZNS1_13binary_searchIS3_S5_SD_SD_SF_NS1_21lower_bound_search_opENS9_16wrapped_functionINS0_4lessIvEEbEEEE10hipError_tPvRmT1_T2_T3_mmT4_T5_P12ihipStream_tbEUlRKdE_EESM_SQ_SR_mSS_SV_bEUlT_E_NS1_11comp_targetILNS1_3genE2ELNS1_11target_archE906ELNS1_3gpuE6ELNS1_3repE0EEENS1_30default_config_static_selectorELNS0_4arch9wavefront6targetE1EEEvSP_.kd
    .uniform_work_group_size: 1
    .uses_dynamic_stack: false
    .vgpr_count:     0
    .vgpr_spill_count: 0
    .wavefront_size: 64
  - .agpr_count:     0
    .args:
      - .offset:         0
        .size:           56
        .value_kind:     by_value
    .group_segment_fixed_size: 0
    .kernarg_segment_align: 8
    .kernarg_segment_size: 56
    .language:       OpenCL C
    .language_version:
      - 2
      - 0
    .max_flat_workgroup_size: 128
    .name:           _ZN7rocprim17ROCPRIM_400000_NS6detail17trampoline_kernelINS0_14default_configENS1_27lower_bound_config_selectorIdiEEZNS1_14transform_implILb0ES3_S5_N6thrust23THRUST_200600_302600_NS6detail15normal_iteratorINS8_10device_ptrIdEEEENSA_INSB_IiEEEEZNS1_13binary_searchIS3_S5_SD_SD_SF_NS1_21lower_bound_search_opENS9_16wrapped_functionINS0_4lessIvEEbEEEE10hipError_tPvRmT1_T2_T3_mmT4_T5_P12ihipStream_tbEUlRKdE_EESM_SQ_SR_mSS_SV_bEUlT_E_NS1_11comp_targetILNS1_3genE10ELNS1_11target_archE1201ELNS1_3gpuE5ELNS1_3repE0EEENS1_30default_config_static_selectorELNS0_4arch9wavefront6targetE1EEEvSP_
    .private_segment_fixed_size: 0
    .sgpr_count:     4
    .sgpr_spill_count: 0
    .symbol:         _ZN7rocprim17ROCPRIM_400000_NS6detail17trampoline_kernelINS0_14default_configENS1_27lower_bound_config_selectorIdiEEZNS1_14transform_implILb0ES3_S5_N6thrust23THRUST_200600_302600_NS6detail15normal_iteratorINS8_10device_ptrIdEEEENSA_INSB_IiEEEEZNS1_13binary_searchIS3_S5_SD_SD_SF_NS1_21lower_bound_search_opENS9_16wrapped_functionINS0_4lessIvEEbEEEE10hipError_tPvRmT1_T2_T3_mmT4_T5_P12ihipStream_tbEUlRKdE_EESM_SQ_SR_mSS_SV_bEUlT_E_NS1_11comp_targetILNS1_3genE10ELNS1_11target_archE1201ELNS1_3gpuE5ELNS1_3repE0EEENS1_30default_config_static_selectorELNS0_4arch9wavefront6targetE1EEEvSP_.kd
    .uniform_work_group_size: 1
    .uses_dynamic_stack: false
    .vgpr_count:     0
    .vgpr_spill_count: 0
    .wavefront_size: 64
  - .agpr_count:     0
    .args:
      - .offset:         0
        .size:           56
        .value_kind:     by_value
    .group_segment_fixed_size: 0
    .kernarg_segment_align: 8
    .kernarg_segment_size: 56
    .language:       OpenCL C
    .language_version:
      - 2
      - 0
    .max_flat_workgroup_size: 128
    .name:           _ZN7rocprim17ROCPRIM_400000_NS6detail17trampoline_kernelINS0_14default_configENS1_27lower_bound_config_selectorIdiEEZNS1_14transform_implILb0ES3_S5_N6thrust23THRUST_200600_302600_NS6detail15normal_iteratorINS8_10device_ptrIdEEEENSA_INSB_IiEEEEZNS1_13binary_searchIS3_S5_SD_SD_SF_NS1_21lower_bound_search_opENS9_16wrapped_functionINS0_4lessIvEEbEEEE10hipError_tPvRmT1_T2_T3_mmT4_T5_P12ihipStream_tbEUlRKdE_EESM_SQ_SR_mSS_SV_bEUlT_E_NS1_11comp_targetILNS1_3genE10ELNS1_11target_archE1200ELNS1_3gpuE4ELNS1_3repE0EEENS1_30default_config_static_selectorELNS0_4arch9wavefront6targetE1EEEvSP_
    .private_segment_fixed_size: 0
    .sgpr_count:     4
    .sgpr_spill_count: 0
    .symbol:         _ZN7rocprim17ROCPRIM_400000_NS6detail17trampoline_kernelINS0_14default_configENS1_27lower_bound_config_selectorIdiEEZNS1_14transform_implILb0ES3_S5_N6thrust23THRUST_200600_302600_NS6detail15normal_iteratorINS8_10device_ptrIdEEEENSA_INSB_IiEEEEZNS1_13binary_searchIS3_S5_SD_SD_SF_NS1_21lower_bound_search_opENS9_16wrapped_functionINS0_4lessIvEEbEEEE10hipError_tPvRmT1_T2_T3_mmT4_T5_P12ihipStream_tbEUlRKdE_EESM_SQ_SR_mSS_SV_bEUlT_E_NS1_11comp_targetILNS1_3genE10ELNS1_11target_archE1200ELNS1_3gpuE4ELNS1_3repE0EEENS1_30default_config_static_selectorELNS0_4arch9wavefront6targetE1EEEvSP_.kd
    .uniform_work_group_size: 1
    .uses_dynamic_stack: false
    .vgpr_count:     0
    .vgpr_spill_count: 0
    .wavefront_size: 64
  - .agpr_count:     0
    .args:
      - .offset:         0
        .size:           56
        .value_kind:     by_value
    .group_segment_fixed_size: 0
    .kernarg_segment_align: 8
    .kernarg_segment_size: 56
    .language:       OpenCL C
    .language_version:
      - 2
      - 0
    .max_flat_workgroup_size: 256
    .name:           _ZN7rocprim17ROCPRIM_400000_NS6detail17trampoline_kernelINS0_14default_configENS1_27lower_bound_config_selectorIdiEEZNS1_14transform_implILb0ES3_S5_N6thrust23THRUST_200600_302600_NS6detail15normal_iteratorINS8_10device_ptrIdEEEENSA_INSB_IiEEEEZNS1_13binary_searchIS3_S5_SD_SD_SF_NS1_21lower_bound_search_opENS9_16wrapped_functionINS0_4lessIvEEbEEEE10hipError_tPvRmT1_T2_T3_mmT4_T5_P12ihipStream_tbEUlRKdE_EESM_SQ_SR_mSS_SV_bEUlT_E_NS1_11comp_targetILNS1_3genE9ELNS1_11target_archE1100ELNS1_3gpuE3ELNS1_3repE0EEENS1_30default_config_static_selectorELNS0_4arch9wavefront6targetE1EEEvSP_
    .private_segment_fixed_size: 0
    .sgpr_count:     4
    .sgpr_spill_count: 0
    .symbol:         _ZN7rocprim17ROCPRIM_400000_NS6detail17trampoline_kernelINS0_14default_configENS1_27lower_bound_config_selectorIdiEEZNS1_14transform_implILb0ES3_S5_N6thrust23THRUST_200600_302600_NS6detail15normal_iteratorINS8_10device_ptrIdEEEENSA_INSB_IiEEEEZNS1_13binary_searchIS3_S5_SD_SD_SF_NS1_21lower_bound_search_opENS9_16wrapped_functionINS0_4lessIvEEbEEEE10hipError_tPvRmT1_T2_T3_mmT4_T5_P12ihipStream_tbEUlRKdE_EESM_SQ_SR_mSS_SV_bEUlT_E_NS1_11comp_targetILNS1_3genE9ELNS1_11target_archE1100ELNS1_3gpuE3ELNS1_3repE0EEENS1_30default_config_static_selectorELNS0_4arch9wavefront6targetE1EEEvSP_.kd
    .uniform_work_group_size: 1
    .uses_dynamic_stack: false
    .vgpr_count:     0
    .vgpr_spill_count: 0
    .wavefront_size: 64
  - .agpr_count:     0
    .args:
      - .offset:         0
        .size:           56
        .value_kind:     by_value
    .group_segment_fixed_size: 0
    .kernarg_segment_align: 8
    .kernarg_segment_size: 56
    .language:       OpenCL C
    .language_version:
      - 2
      - 0
    .max_flat_workgroup_size: 256
    .name:           _ZN7rocprim17ROCPRIM_400000_NS6detail17trampoline_kernelINS0_14default_configENS1_27lower_bound_config_selectorIdiEEZNS1_14transform_implILb0ES3_S5_N6thrust23THRUST_200600_302600_NS6detail15normal_iteratorINS8_10device_ptrIdEEEENSA_INSB_IiEEEEZNS1_13binary_searchIS3_S5_SD_SD_SF_NS1_21lower_bound_search_opENS9_16wrapped_functionINS0_4lessIvEEbEEEE10hipError_tPvRmT1_T2_T3_mmT4_T5_P12ihipStream_tbEUlRKdE_EESM_SQ_SR_mSS_SV_bEUlT_E_NS1_11comp_targetILNS1_3genE8ELNS1_11target_archE1030ELNS1_3gpuE2ELNS1_3repE0EEENS1_30default_config_static_selectorELNS0_4arch9wavefront6targetE1EEEvSP_
    .private_segment_fixed_size: 0
    .sgpr_count:     4
    .sgpr_spill_count: 0
    .symbol:         _ZN7rocprim17ROCPRIM_400000_NS6detail17trampoline_kernelINS0_14default_configENS1_27lower_bound_config_selectorIdiEEZNS1_14transform_implILb0ES3_S5_N6thrust23THRUST_200600_302600_NS6detail15normal_iteratorINS8_10device_ptrIdEEEENSA_INSB_IiEEEEZNS1_13binary_searchIS3_S5_SD_SD_SF_NS1_21lower_bound_search_opENS9_16wrapped_functionINS0_4lessIvEEbEEEE10hipError_tPvRmT1_T2_T3_mmT4_T5_P12ihipStream_tbEUlRKdE_EESM_SQ_SR_mSS_SV_bEUlT_E_NS1_11comp_targetILNS1_3genE8ELNS1_11target_archE1030ELNS1_3gpuE2ELNS1_3repE0EEENS1_30default_config_static_selectorELNS0_4arch9wavefront6targetE1EEEvSP_.kd
    .uniform_work_group_size: 1
    .uses_dynamic_stack: false
    .vgpr_count:     0
    .vgpr_spill_count: 0
    .wavefront_size: 64
  - .agpr_count:     0
    .args:
      - .offset:         0
        .size:           16
        .value_kind:     by_value
      - .offset:         16
        .size:           8
        .value_kind:     by_value
      - .offset:         24
        .size:           8
        .value_kind:     by_value
    .group_segment_fixed_size: 0
    .kernarg_segment_align: 8
    .kernarg_segment_size: 32
    .language:       OpenCL C
    .language_version:
      - 2
      - 0
    .max_flat_workgroup_size: 256
    .name:           _ZN6thrust23THRUST_200600_302600_NS11hip_rocprim14__parallel_for6kernelILj256ENS1_10__tabulate7functorINS0_6detail15normal_iteratorINS0_10device_ptrIfEEEENS0_6system6detail7generic6detail22compute_sequence_valueIfvEElEElLj1EEEvT0_T1_SJ_
    .private_segment_fixed_size: 0
    .sgpr_count:     20
    .sgpr_spill_count: 0
    .symbol:         _ZN6thrust23THRUST_200600_302600_NS11hip_rocprim14__parallel_for6kernelILj256ENS1_10__tabulate7functorINS0_6detail15normal_iteratorINS0_10device_ptrIfEEEENS0_6system6detail7generic6detail22compute_sequence_valueIfvEElEElLj1EEEvT0_T1_SJ_.kd
    .uniform_work_group_size: 1
    .uses_dynamic_stack: false
    .vgpr_count:     8
    .vgpr_spill_count: 0
    .wavefront_size: 64
  - .agpr_count:     0
    .args:
      - .offset:         0
        .size:           56
        .value_kind:     by_value
    .group_segment_fixed_size: 0
    .kernarg_segment_align: 8
    .kernarg_segment_size: 56
    .language:       OpenCL C
    .language_version:
      - 2
      - 0
    .max_flat_workgroup_size: 64
    .name:           _ZN7rocprim17ROCPRIM_400000_NS6detail17trampoline_kernelINS0_14default_configENS1_27lower_bound_config_selectorIfiEEZNS1_14transform_implILb0ES3_S5_N6thrust23THRUST_200600_302600_NS6detail15normal_iteratorINS8_10device_ptrIfEEEENSA_INSB_IiEEEEZNS1_13binary_searchIS3_S5_SD_SD_SF_NS1_21lower_bound_search_opENS9_16wrapped_functionINS0_4lessIvEEbEEEE10hipError_tPvRmT1_T2_T3_mmT4_T5_P12ihipStream_tbEUlRKfE_EESM_SQ_SR_mSS_SV_bEUlT_E_NS1_11comp_targetILNS1_3genE0ELNS1_11target_archE4294967295ELNS1_3gpuE0ELNS1_3repE0EEENS1_30default_config_static_selectorELNS0_4arch9wavefront6targetE1EEEvSP_
    .private_segment_fixed_size: 0
    .sgpr_count:     4
    .sgpr_spill_count: 0
    .symbol:         _ZN7rocprim17ROCPRIM_400000_NS6detail17trampoline_kernelINS0_14default_configENS1_27lower_bound_config_selectorIfiEEZNS1_14transform_implILb0ES3_S5_N6thrust23THRUST_200600_302600_NS6detail15normal_iteratorINS8_10device_ptrIfEEEENSA_INSB_IiEEEEZNS1_13binary_searchIS3_S5_SD_SD_SF_NS1_21lower_bound_search_opENS9_16wrapped_functionINS0_4lessIvEEbEEEE10hipError_tPvRmT1_T2_T3_mmT4_T5_P12ihipStream_tbEUlRKfE_EESM_SQ_SR_mSS_SV_bEUlT_E_NS1_11comp_targetILNS1_3genE0ELNS1_11target_archE4294967295ELNS1_3gpuE0ELNS1_3repE0EEENS1_30default_config_static_selectorELNS0_4arch9wavefront6targetE1EEEvSP_.kd
    .uniform_work_group_size: 1
    .uses_dynamic_stack: false
    .vgpr_count:     0
    .vgpr_spill_count: 0
    .wavefront_size: 64
  - .agpr_count:     0
    .args:
      - .offset:         0
        .size:           56
        .value_kind:     by_value
    .group_segment_fixed_size: 0
    .kernarg_segment_align: 8
    .kernarg_segment_size: 56
    .language:       OpenCL C
    .language_version:
      - 2
      - 0
    .max_flat_workgroup_size: 256
    .name:           _ZN7rocprim17ROCPRIM_400000_NS6detail17trampoline_kernelINS0_14default_configENS1_27lower_bound_config_selectorIfiEEZNS1_14transform_implILb0ES3_S5_N6thrust23THRUST_200600_302600_NS6detail15normal_iteratorINS8_10device_ptrIfEEEENSA_INSB_IiEEEEZNS1_13binary_searchIS3_S5_SD_SD_SF_NS1_21lower_bound_search_opENS9_16wrapped_functionINS0_4lessIvEEbEEEE10hipError_tPvRmT1_T2_T3_mmT4_T5_P12ihipStream_tbEUlRKfE_EESM_SQ_SR_mSS_SV_bEUlT_E_NS1_11comp_targetILNS1_3genE5ELNS1_11target_archE942ELNS1_3gpuE9ELNS1_3repE0EEENS1_30default_config_static_selectorELNS0_4arch9wavefront6targetE1EEEvSP_
    .private_segment_fixed_size: 0
    .sgpr_count:     4
    .sgpr_spill_count: 0
    .symbol:         _ZN7rocprim17ROCPRIM_400000_NS6detail17trampoline_kernelINS0_14default_configENS1_27lower_bound_config_selectorIfiEEZNS1_14transform_implILb0ES3_S5_N6thrust23THRUST_200600_302600_NS6detail15normal_iteratorINS8_10device_ptrIfEEEENSA_INSB_IiEEEEZNS1_13binary_searchIS3_S5_SD_SD_SF_NS1_21lower_bound_search_opENS9_16wrapped_functionINS0_4lessIvEEbEEEE10hipError_tPvRmT1_T2_T3_mmT4_T5_P12ihipStream_tbEUlRKfE_EESM_SQ_SR_mSS_SV_bEUlT_E_NS1_11comp_targetILNS1_3genE5ELNS1_11target_archE942ELNS1_3gpuE9ELNS1_3repE0EEENS1_30default_config_static_selectorELNS0_4arch9wavefront6targetE1EEEvSP_.kd
    .uniform_work_group_size: 1
    .uses_dynamic_stack: false
    .vgpr_count:     0
    .vgpr_spill_count: 0
    .wavefront_size: 64
  - .agpr_count:     0
    .args:
      - .offset:         0
        .size:           56
        .value_kind:     by_value
      - .offset:         56
        .size:           4
        .value_kind:     hidden_block_count_x
      - .offset:         60
        .size:           4
        .value_kind:     hidden_block_count_y
      - .offset:         64
        .size:           4
        .value_kind:     hidden_block_count_z
      - .offset:         68
        .size:           2
        .value_kind:     hidden_group_size_x
      - .offset:         70
        .size:           2
        .value_kind:     hidden_group_size_y
      - .offset:         72
        .size:           2
        .value_kind:     hidden_group_size_z
      - .offset:         74
        .size:           2
        .value_kind:     hidden_remainder_x
      - .offset:         76
        .size:           2
        .value_kind:     hidden_remainder_y
      - .offset:         78
        .size:           2
        .value_kind:     hidden_remainder_z
      - .offset:         96
        .size:           8
        .value_kind:     hidden_global_offset_x
      - .offset:         104
        .size:           8
        .value_kind:     hidden_global_offset_y
      - .offset:         112
        .size:           8
        .value_kind:     hidden_global_offset_z
      - .offset:         120
        .size:           2
        .value_kind:     hidden_grid_dims
    .group_segment_fixed_size: 0
    .kernarg_segment_align: 8
    .kernarg_segment_size: 312
    .language:       OpenCL C
    .language_version:
      - 2
      - 0
    .max_flat_workgroup_size: 256
    .name:           _ZN7rocprim17ROCPRIM_400000_NS6detail17trampoline_kernelINS0_14default_configENS1_27lower_bound_config_selectorIfiEEZNS1_14transform_implILb0ES3_S5_N6thrust23THRUST_200600_302600_NS6detail15normal_iteratorINS8_10device_ptrIfEEEENSA_INSB_IiEEEEZNS1_13binary_searchIS3_S5_SD_SD_SF_NS1_21lower_bound_search_opENS9_16wrapped_functionINS0_4lessIvEEbEEEE10hipError_tPvRmT1_T2_T3_mmT4_T5_P12ihipStream_tbEUlRKfE_EESM_SQ_SR_mSS_SV_bEUlT_E_NS1_11comp_targetILNS1_3genE4ELNS1_11target_archE910ELNS1_3gpuE8ELNS1_3repE0EEENS1_30default_config_static_selectorELNS0_4arch9wavefront6targetE1EEEvSP_
    .private_segment_fixed_size: 0
    .sgpr_count:     22
    .sgpr_spill_count: 0
    .symbol:         _ZN7rocprim17ROCPRIM_400000_NS6detail17trampoline_kernelINS0_14default_configENS1_27lower_bound_config_selectorIfiEEZNS1_14transform_implILb0ES3_S5_N6thrust23THRUST_200600_302600_NS6detail15normal_iteratorINS8_10device_ptrIfEEEENSA_INSB_IiEEEEZNS1_13binary_searchIS3_S5_SD_SD_SF_NS1_21lower_bound_search_opENS9_16wrapped_functionINS0_4lessIvEEbEEEE10hipError_tPvRmT1_T2_T3_mmT4_T5_P12ihipStream_tbEUlRKfE_EESM_SQ_SR_mSS_SV_bEUlT_E_NS1_11comp_targetILNS1_3genE4ELNS1_11target_archE910ELNS1_3gpuE8ELNS1_3repE0EEENS1_30default_config_static_selectorELNS0_4arch9wavefront6targetE1EEEvSP_.kd
    .uniform_work_group_size: 1
    .uses_dynamic_stack: false
    .vgpr_count:     12
    .vgpr_spill_count: 0
    .wavefront_size: 64
  - .agpr_count:     0
    .args:
      - .offset:         0
        .size:           56
        .value_kind:     by_value
    .group_segment_fixed_size: 0
    .kernarg_segment_align: 8
    .kernarg_segment_size: 56
    .language:       OpenCL C
    .language_version:
      - 2
      - 0
    .max_flat_workgroup_size: 64
    .name:           _ZN7rocprim17ROCPRIM_400000_NS6detail17trampoline_kernelINS0_14default_configENS1_27lower_bound_config_selectorIfiEEZNS1_14transform_implILb0ES3_S5_N6thrust23THRUST_200600_302600_NS6detail15normal_iteratorINS8_10device_ptrIfEEEENSA_INSB_IiEEEEZNS1_13binary_searchIS3_S5_SD_SD_SF_NS1_21lower_bound_search_opENS9_16wrapped_functionINS0_4lessIvEEbEEEE10hipError_tPvRmT1_T2_T3_mmT4_T5_P12ihipStream_tbEUlRKfE_EESM_SQ_SR_mSS_SV_bEUlT_E_NS1_11comp_targetILNS1_3genE3ELNS1_11target_archE908ELNS1_3gpuE7ELNS1_3repE0EEENS1_30default_config_static_selectorELNS0_4arch9wavefront6targetE1EEEvSP_
    .private_segment_fixed_size: 0
    .sgpr_count:     4
    .sgpr_spill_count: 0
    .symbol:         _ZN7rocprim17ROCPRIM_400000_NS6detail17trampoline_kernelINS0_14default_configENS1_27lower_bound_config_selectorIfiEEZNS1_14transform_implILb0ES3_S5_N6thrust23THRUST_200600_302600_NS6detail15normal_iteratorINS8_10device_ptrIfEEEENSA_INSB_IiEEEEZNS1_13binary_searchIS3_S5_SD_SD_SF_NS1_21lower_bound_search_opENS9_16wrapped_functionINS0_4lessIvEEbEEEE10hipError_tPvRmT1_T2_T3_mmT4_T5_P12ihipStream_tbEUlRKfE_EESM_SQ_SR_mSS_SV_bEUlT_E_NS1_11comp_targetILNS1_3genE3ELNS1_11target_archE908ELNS1_3gpuE7ELNS1_3repE0EEENS1_30default_config_static_selectorELNS0_4arch9wavefront6targetE1EEEvSP_.kd
    .uniform_work_group_size: 1
    .uses_dynamic_stack: false
    .vgpr_count:     0
    .vgpr_spill_count: 0
    .wavefront_size: 64
  - .agpr_count:     0
    .args:
      - .offset:         0
        .size:           56
        .value_kind:     by_value
    .group_segment_fixed_size: 0
    .kernarg_segment_align: 8
    .kernarg_segment_size: 56
    .language:       OpenCL C
    .language_version:
      - 2
      - 0
    .max_flat_workgroup_size: 256
    .name:           _ZN7rocprim17ROCPRIM_400000_NS6detail17trampoline_kernelINS0_14default_configENS1_27lower_bound_config_selectorIfiEEZNS1_14transform_implILb0ES3_S5_N6thrust23THRUST_200600_302600_NS6detail15normal_iteratorINS8_10device_ptrIfEEEENSA_INSB_IiEEEEZNS1_13binary_searchIS3_S5_SD_SD_SF_NS1_21lower_bound_search_opENS9_16wrapped_functionINS0_4lessIvEEbEEEE10hipError_tPvRmT1_T2_T3_mmT4_T5_P12ihipStream_tbEUlRKfE_EESM_SQ_SR_mSS_SV_bEUlT_E_NS1_11comp_targetILNS1_3genE2ELNS1_11target_archE906ELNS1_3gpuE6ELNS1_3repE0EEENS1_30default_config_static_selectorELNS0_4arch9wavefront6targetE1EEEvSP_
    .private_segment_fixed_size: 0
    .sgpr_count:     4
    .sgpr_spill_count: 0
    .symbol:         _ZN7rocprim17ROCPRIM_400000_NS6detail17trampoline_kernelINS0_14default_configENS1_27lower_bound_config_selectorIfiEEZNS1_14transform_implILb0ES3_S5_N6thrust23THRUST_200600_302600_NS6detail15normal_iteratorINS8_10device_ptrIfEEEENSA_INSB_IiEEEEZNS1_13binary_searchIS3_S5_SD_SD_SF_NS1_21lower_bound_search_opENS9_16wrapped_functionINS0_4lessIvEEbEEEE10hipError_tPvRmT1_T2_T3_mmT4_T5_P12ihipStream_tbEUlRKfE_EESM_SQ_SR_mSS_SV_bEUlT_E_NS1_11comp_targetILNS1_3genE2ELNS1_11target_archE906ELNS1_3gpuE6ELNS1_3repE0EEENS1_30default_config_static_selectorELNS0_4arch9wavefront6targetE1EEEvSP_.kd
    .uniform_work_group_size: 1
    .uses_dynamic_stack: false
    .vgpr_count:     0
    .vgpr_spill_count: 0
    .wavefront_size: 64
  - .agpr_count:     0
    .args:
      - .offset:         0
        .size:           56
        .value_kind:     by_value
    .group_segment_fixed_size: 0
    .kernarg_segment_align: 8
    .kernarg_segment_size: 56
    .language:       OpenCL C
    .language_version:
      - 2
      - 0
    .max_flat_workgroup_size: 128
    .name:           _ZN7rocprim17ROCPRIM_400000_NS6detail17trampoline_kernelINS0_14default_configENS1_27lower_bound_config_selectorIfiEEZNS1_14transform_implILb0ES3_S5_N6thrust23THRUST_200600_302600_NS6detail15normal_iteratorINS8_10device_ptrIfEEEENSA_INSB_IiEEEEZNS1_13binary_searchIS3_S5_SD_SD_SF_NS1_21lower_bound_search_opENS9_16wrapped_functionINS0_4lessIvEEbEEEE10hipError_tPvRmT1_T2_T3_mmT4_T5_P12ihipStream_tbEUlRKfE_EESM_SQ_SR_mSS_SV_bEUlT_E_NS1_11comp_targetILNS1_3genE10ELNS1_11target_archE1201ELNS1_3gpuE5ELNS1_3repE0EEENS1_30default_config_static_selectorELNS0_4arch9wavefront6targetE1EEEvSP_
    .private_segment_fixed_size: 0
    .sgpr_count:     4
    .sgpr_spill_count: 0
    .symbol:         _ZN7rocprim17ROCPRIM_400000_NS6detail17trampoline_kernelINS0_14default_configENS1_27lower_bound_config_selectorIfiEEZNS1_14transform_implILb0ES3_S5_N6thrust23THRUST_200600_302600_NS6detail15normal_iteratorINS8_10device_ptrIfEEEENSA_INSB_IiEEEEZNS1_13binary_searchIS3_S5_SD_SD_SF_NS1_21lower_bound_search_opENS9_16wrapped_functionINS0_4lessIvEEbEEEE10hipError_tPvRmT1_T2_T3_mmT4_T5_P12ihipStream_tbEUlRKfE_EESM_SQ_SR_mSS_SV_bEUlT_E_NS1_11comp_targetILNS1_3genE10ELNS1_11target_archE1201ELNS1_3gpuE5ELNS1_3repE0EEENS1_30default_config_static_selectorELNS0_4arch9wavefront6targetE1EEEvSP_.kd
    .uniform_work_group_size: 1
    .uses_dynamic_stack: false
    .vgpr_count:     0
    .vgpr_spill_count: 0
    .wavefront_size: 64
  - .agpr_count:     0
    .args:
      - .offset:         0
        .size:           56
        .value_kind:     by_value
    .group_segment_fixed_size: 0
    .kernarg_segment_align: 8
    .kernarg_segment_size: 56
    .language:       OpenCL C
    .language_version:
      - 2
      - 0
    .max_flat_workgroup_size: 128
    .name:           _ZN7rocprim17ROCPRIM_400000_NS6detail17trampoline_kernelINS0_14default_configENS1_27lower_bound_config_selectorIfiEEZNS1_14transform_implILb0ES3_S5_N6thrust23THRUST_200600_302600_NS6detail15normal_iteratorINS8_10device_ptrIfEEEENSA_INSB_IiEEEEZNS1_13binary_searchIS3_S5_SD_SD_SF_NS1_21lower_bound_search_opENS9_16wrapped_functionINS0_4lessIvEEbEEEE10hipError_tPvRmT1_T2_T3_mmT4_T5_P12ihipStream_tbEUlRKfE_EESM_SQ_SR_mSS_SV_bEUlT_E_NS1_11comp_targetILNS1_3genE10ELNS1_11target_archE1200ELNS1_3gpuE4ELNS1_3repE0EEENS1_30default_config_static_selectorELNS0_4arch9wavefront6targetE1EEEvSP_
    .private_segment_fixed_size: 0
    .sgpr_count:     4
    .sgpr_spill_count: 0
    .symbol:         _ZN7rocprim17ROCPRIM_400000_NS6detail17trampoline_kernelINS0_14default_configENS1_27lower_bound_config_selectorIfiEEZNS1_14transform_implILb0ES3_S5_N6thrust23THRUST_200600_302600_NS6detail15normal_iteratorINS8_10device_ptrIfEEEENSA_INSB_IiEEEEZNS1_13binary_searchIS3_S5_SD_SD_SF_NS1_21lower_bound_search_opENS9_16wrapped_functionINS0_4lessIvEEbEEEE10hipError_tPvRmT1_T2_T3_mmT4_T5_P12ihipStream_tbEUlRKfE_EESM_SQ_SR_mSS_SV_bEUlT_E_NS1_11comp_targetILNS1_3genE10ELNS1_11target_archE1200ELNS1_3gpuE4ELNS1_3repE0EEENS1_30default_config_static_selectorELNS0_4arch9wavefront6targetE1EEEvSP_.kd
    .uniform_work_group_size: 1
    .uses_dynamic_stack: false
    .vgpr_count:     0
    .vgpr_spill_count: 0
    .wavefront_size: 64
  - .agpr_count:     0
    .args:
      - .offset:         0
        .size:           56
        .value_kind:     by_value
    .group_segment_fixed_size: 0
    .kernarg_segment_align: 8
    .kernarg_segment_size: 56
    .language:       OpenCL C
    .language_version:
      - 2
      - 0
    .max_flat_workgroup_size: 128
    .name:           _ZN7rocprim17ROCPRIM_400000_NS6detail17trampoline_kernelINS0_14default_configENS1_27lower_bound_config_selectorIfiEEZNS1_14transform_implILb0ES3_S5_N6thrust23THRUST_200600_302600_NS6detail15normal_iteratorINS8_10device_ptrIfEEEENSA_INSB_IiEEEEZNS1_13binary_searchIS3_S5_SD_SD_SF_NS1_21lower_bound_search_opENS9_16wrapped_functionINS0_4lessIvEEbEEEE10hipError_tPvRmT1_T2_T3_mmT4_T5_P12ihipStream_tbEUlRKfE_EESM_SQ_SR_mSS_SV_bEUlT_E_NS1_11comp_targetILNS1_3genE9ELNS1_11target_archE1100ELNS1_3gpuE3ELNS1_3repE0EEENS1_30default_config_static_selectorELNS0_4arch9wavefront6targetE1EEEvSP_
    .private_segment_fixed_size: 0
    .sgpr_count:     4
    .sgpr_spill_count: 0
    .symbol:         _ZN7rocprim17ROCPRIM_400000_NS6detail17trampoline_kernelINS0_14default_configENS1_27lower_bound_config_selectorIfiEEZNS1_14transform_implILb0ES3_S5_N6thrust23THRUST_200600_302600_NS6detail15normal_iteratorINS8_10device_ptrIfEEEENSA_INSB_IiEEEEZNS1_13binary_searchIS3_S5_SD_SD_SF_NS1_21lower_bound_search_opENS9_16wrapped_functionINS0_4lessIvEEbEEEE10hipError_tPvRmT1_T2_T3_mmT4_T5_P12ihipStream_tbEUlRKfE_EESM_SQ_SR_mSS_SV_bEUlT_E_NS1_11comp_targetILNS1_3genE9ELNS1_11target_archE1100ELNS1_3gpuE3ELNS1_3repE0EEENS1_30default_config_static_selectorELNS0_4arch9wavefront6targetE1EEEvSP_.kd
    .uniform_work_group_size: 1
    .uses_dynamic_stack: false
    .vgpr_count:     0
    .vgpr_spill_count: 0
    .wavefront_size: 64
  - .agpr_count:     0
    .args:
      - .offset:         0
        .size:           56
        .value_kind:     by_value
    .group_segment_fixed_size: 0
    .kernarg_segment_align: 8
    .kernarg_segment_size: 56
    .language:       OpenCL C
    .language_version:
      - 2
      - 0
    .max_flat_workgroup_size: 256
    .name:           _ZN7rocprim17ROCPRIM_400000_NS6detail17trampoline_kernelINS0_14default_configENS1_27lower_bound_config_selectorIfiEEZNS1_14transform_implILb0ES3_S5_N6thrust23THRUST_200600_302600_NS6detail15normal_iteratorINS8_10device_ptrIfEEEENSA_INSB_IiEEEEZNS1_13binary_searchIS3_S5_SD_SD_SF_NS1_21lower_bound_search_opENS9_16wrapped_functionINS0_4lessIvEEbEEEE10hipError_tPvRmT1_T2_T3_mmT4_T5_P12ihipStream_tbEUlRKfE_EESM_SQ_SR_mSS_SV_bEUlT_E_NS1_11comp_targetILNS1_3genE8ELNS1_11target_archE1030ELNS1_3gpuE2ELNS1_3repE0EEENS1_30default_config_static_selectorELNS0_4arch9wavefront6targetE1EEEvSP_
    .private_segment_fixed_size: 0
    .sgpr_count:     4
    .sgpr_spill_count: 0
    .symbol:         _ZN7rocprim17ROCPRIM_400000_NS6detail17trampoline_kernelINS0_14default_configENS1_27lower_bound_config_selectorIfiEEZNS1_14transform_implILb0ES3_S5_N6thrust23THRUST_200600_302600_NS6detail15normal_iteratorINS8_10device_ptrIfEEEENSA_INSB_IiEEEEZNS1_13binary_searchIS3_S5_SD_SD_SF_NS1_21lower_bound_search_opENS9_16wrapped_functionINS0_4lessIvEEbEEEE10hipError_tPvRmT1_T2_T3_mmT4_T5_P12ihipStream_tbEUlRKfE_EESM_SQ_SR_mSS_SV_bEUlT_E_NS1_11comp_targetILNS1_3genE8ELNS1_11target_archE1030ELNS1_3gpuE2ELNS1_3repE0EEENS1_30default_config_static_selectorELNS0_4arch9wavefront6targetE1EEEvSP_.kd
    .uniform_work_group_size: 1
    .uses_dynamic_stack: false
    .vgpr_count:     0
    .vgpr_spill_count: 0
    .wavefront_size: 64
  - .agpr_count:     0
    .args:
      - .offset:         0
        .size:           24
        .value_kind:     by_value
      - .offset:         24
        .size:           8
        .value_kind:     by_value
      - .offset:         32
        .size:           8
        .value_kind:     by_value
    .group_segment_fixed_size: 0
    .kernarg_segment_align: 8
    .kernarg_segment_size: 40
    .language:       OpenCL C
    .language_version:
      - 2
      - 0
    .max_flat_workgroup_size: 256
    .name:           _ZN6thrust23THRUST_200600_302600_NS11hip_rocprim14__parallel_for6kernelILj256ENS1_10__tabulate7functorINS0_6detail15normal_iteratorINS0_10device_ptrIyEEEENS0_6system6detail7generic6detail22compute_sequence_valueIyvEElEElLj1EEEvT0_T1_SJ_
    .private_segment_fixed_size: 0
    .sgpr_count:     16
    .sgpr_spill_count: 0
    .symbol:         _ZN6thrust23THRUST_200600_302600_NS11hip_rocprim14__parallel_for6kernelILj256ENS1_10__tabulate7functorINS0_6detail15normal_iteratorINS0_10device_ptrIyEEEENS0_6system6detail7generic6detail22compute_sequence_valueIyvEElEElLj1EEEvT0_T1_SJ_.kd
    .uniform_work_group_size: 1
    .uses_dynamic_stack: false
    .vgpr_count:     6
    .vgpr_spill_count: 0
    .wavefront_size: 64
  - .agpr_count:     0
    .args:
      - .offset:         0
        .size:           56
        .value_kind:     by_value
    .group_segment_fixed_size: 0
    .kernarg_segment_align: 8
    .kernarg_segment_size: 56
    .language:       OpenCL C
    .language_version:
      - 2
      - 0
    .max_flat_workgroup_size: 256
    .name:           _ZN7rocprim17ROCPRIM_400000_NS6detail17trampoline_kernelINS0_14default_configENS1_27lower_bound_config_selectorIyiEEZNS1_14transform_implILb0ES3_S5_N6thrust23THRUST_200600_302600_NS6detail15normal_iteratorINS8_10device_ptrIyEEEENSA_INSB_IiEEEEZNS1_13binary_searchIS3_S5_SD_SD_SF_NS1_21lower_bound_search_opENS9_16wrapped_functionINS0_4lessIvEEbEEEE10hipError_tPvRmT1_T2_T3_mmT4_T5_P12ihipStream_tbEUlRKyE_EESM_SQ_SR_mSS_SV_bEUlT_E_NS1_11comp_targetILNS1_3genE0ELNS1_11target_archE4294967295ELNS1_3gpuE0ELNS1_3repE0EEENS1_30default_config_static_selectorELNS0_4arch9wavefront6targetE1EEEvSP_
    .private_segment_fixed_size: 0
    .sgpr_count:     4
    .sgpr_spill_count: 0
    .symbol:         _ZN7rocprim17ROCPRIM_400000_NS6detail17trampoline_kernelINS0_14default_configENS1_27lower_bound_config_selectorIyiEEZNS1_14transform_implILb0ES3_S5_N6thrust23THRUST_200600_302600_NS6detail15normal_iteratorINS8_10device_ptrIyEEEENSA_INSB_IiEEEEZNS1_13binary_searchIS3_S5_SD_SD_SF_NS1_21lower_bound_search_opENS9_16wrapped_functionINS0_4lessIvEEbEEEE10hipError_tPvRmT1_T2_T3_mmT4_T5_P12ihipStream_tbEUlRKyE_EESM_SQ_SR_mSS_SV_bEUlT_E_NS1_11comp_targetILNS1_3genE0ELNS1_11target_archE4294967295ELNS1_3gpuE0ELNS1_3repE0EEENS1_30default_config_static_selectorELNS0_4arch9wavefront6targetE1EEEvSP_.kd
    .uniform_work_group_size: 1
    .uses_dynamic_stack: false
    .vgpr_count:     0
    .vgpr_spill_count: 0
    .wavefront_size: 64
  - .agpr_count:     0
    .args:
      - .offset:         0
        .size:           56
        .value_kind:     by_value
    .group_segment_fixed_size: 0
    .kernarg_segment_align: 8
    .kernarg_segment_size: 56
    .language:       OpenCL C
    .language_version:
      - 2
      - 0
    .max_flat_workgroup_size: 64
    .name:           _ZN7rocprim17ROCPRIM_400000_NS6detail17trampoline_kernelINS0_14default_configENS1_27lower_bound_config_selectorIyiEEZNS1_14transform_implILb0ES3_S5_N6thrust23THRUST_200600_302600_NS6detail15normal_iteratorINS8_10device_ptrIyEEEENSA_INSB_IiEEEEZNS1_13binary_searchIS3_S5_SD_SD_SF_NS1_21lower_bound_search_opENS9_16wrapped_functionINS0_4lessIvEEbEEEE10hipError_tPvRmT1_T2_T3_mmT4_T5_P12ihipStream_tbEUlRKyE_EESM_SQ_SR_mSS_SV_bEUlT_E_NS1_11comp_targetILNS1_3genE5ELNS1_11target_archE942ELNS1_3gpuE9ELNS1_3repE0EEENS1_30default_config_static_selectorELNS0_4arch9wavefront6targetE1EEEvSP_
    .private_segment_fixed_size: 0
    .sgpr_count:     4
    .sgpr_spill_count: 0
    .symbol:         _ZN7rocprim17ROCPRIM_400000_NS6detail17trampoline_kernelINS0_14default_configENS1_27lower_bound_config_selectorIyiEEZNS1_14transform_implILb0ES3_S5_N6thrust23THRUST_200600_302600_NS6detail15normal_iteratorINS8_10device_ptrIyEEEENSA_INSB_IiEEEEZNS1_13binary_searchIS3_S5_SD_SD_SF_NS1_21lower_bound_search_opENS9_16wrapped_functionINS0_4lessIvEEbEEEE10hipError_tPvRmT1_T2_T3_mmT4_T5_P12ihipStream_tbEUlRKyE_EESM_SQ_SR_mSS_SV_bEUlT_E_NS1_11comp_targetILNS1_3genE5ELNS1_11target_archE942ELNS1_3gpuE9ELNS1_3repE0EEENS1_30default_config_static_selectorELNS0_4arch9wavefront6targetE1EEEvSP_.kd
    .uniform_work_group_size: 1
    .uses_dynamic_stack: false
    .vgpr_count:     0
    .vgpr_spill_count: 0
    .wavefront_size: 64
  - .agpr_count:     0
    .args:
      - .offset:         0
        .size:           56
        .value_kind:     by_value
      - .offset:         56
        .size:           4
        .value_kind:     hidden_block_count_x
      - .offset:         60
        .size:           4
        .value_kind:     hidden_block_count_y
      - .offset:         64
        .size:           4
        .value_kind:     hidden_block_count_z
      - .offset:         68
        .size:           2
        .value_kind:     hidden_group_size_x
      - .offset:         70
        .size:           2
        .value_kind:     hidden_group_size_y
      - .offset:         72
        .size:           2
        .value_kind:     hidden_group_size_z
      - .offset:         74
        .size:           2
        .value_kind:     hidden_remainder_x
      - .offset:         76
        .size:           2
        .value_kind:     hidden_remainder_y
      - .offset:         78
        .size:           2
        .value_kind:     hidden_remainder_z
      - .offset:         96
        .size:           8
        .value_kind:     hidden_global_offset_x
      - .offset:         104
        .size:           8
        .value_kind:     hidden_global_offset_y
      - .offset:         112
        .size:           8
        .value_kind:     hidden_global_offset_z
      - .offset:         120
        .size:           2
        .value_kind:     hidden_grid_dims
    .group_segment_fixed_size: 0
    .kernarg_segment_align: 8
    .kernarg_segment_size: 312
    .language:       OpenCL C
    .language_version:
      - 2
      - 0
    .max_flat_workgroup_size: 64
    .name:           _ZN7rocprim17ROCPRIM_400000_NS6detail17trampoline_kernelINS0_14default_configENS1_27lower_bound_config_selectorIyiEEZNS1_14transform_implILb0ES3_S5_N6thrust23THRUST_200600_302600_NS6detail15normal_iteratorINS8_10device_ptrIyEEEENSA_INSB_IiEEEEZNS1_13binary_searchIS3_S5_SD_SD_SF_NS1_21lower_bound_search_opENS9_16wrapped_functionINS0_4lessIvEEbEEEE10hipError_tPvRmT1_T2_T3_mmT4_T5_P12ihipStream_tbEUlRKyE_EESM_SQ_SR_mSS_SV_bEUlT_E_NS1_11comp_targetILNS1_3genE4ELNS1_11target_archE910ELNS1_3gpuE8ELNS1_3repE0EEENS1_30default_config_static_selectorELNS0_4arch9wavefront6targetE1EEEvSP_
    .private_segment_fixed_size: 0
    .sgpr_count:     24
    .sgpr_spill_count: 0
    .symbol:         _ZN7rocprim17ROCPRIM_400000_NS6detail17trampoline_kernelINS0_14default_configENS1_27lower_bound_config_selectorIyiEEZNS1_14transform_implILb0ES3_S5_N6thrust23THRUST_200600_302600_NS6detail15normal_iteratorINS8_10device_ptrIyEEEENSA_INSB_IiEEEEZNS1_13binary_searchIS3_S5_SD_SD_SF_NS1_21lower_bound_search_opENS9_16wrapped_functionINS0_4lessIvEEbEEEE10hipError_tPvRmT1_T2_T3_mmT4_T5_P12ihipStream_tbEUlRKyE_EESM_SQ_SR_mSS_SV_bEUlT_E_NS1_11comp_targetILNS1_3genE4ELNS1_11target_archE910ELNS1_3gpuE8ELNS1_3repE0EEENS1_30default_config_static_selectorELNS0_4arch9wavefront6targetE1EEEvSP_.kd
    .uniform_work_group_size: 1
    .uses_dynamic_stack: false
    .vgpr_count:     14
    .vgpr_spill_count: 0
    .wavefront_size: 64
  - .agpr_count:     0
    .args:
      - .offset:         0
        .size:           56
        .value_kind:     by_value
    .group_segment_fixed_size: 0
    .kernarg_segment_align: 8
    .kernarg_segment_size: 56
    .language:       OpenCL C
    .language_version:
      - 2
      - 0
    .max_flat_workgroup_size: 256
    .name:           _ZN7rocprim17ROCPRIM_400000_NS6detail17trampoline_kernelINS0_14default_configENS1_27lower_bound_config_selectorIyiEEZNS1_14transform_implILb0ES3_S5_N6thrust23THRUST_200600_302600_NS6detail15normal_iteratorINS8_10device_ptrIyEEEENSA_INSB_IiEEEEZNS1_13binary_searchIS3_S5_SD_SD_SF_NS1_21lower_bound_search_opENS9_16wrapped_functionINS0_4lessIvEEbEEEE10hipError_tPvRmT1_T2_T3_mmT4_T5_P12ihipStream_tbEUlRKyE_EESM_SQ_SR_mSS_SV_bEUlT_E_NS1_11comp_targetILNS1_3genE3ELNS1_11target_archE908ELNS1_3gpuE7ELNS1_3repE0EEENS1_30default_config_static_selectorELNS0_4arch9wavefront6targetE1EEEvSP_
    .private_segment_fixed_size: 0
    .sgpr_count:     4
    .sgpr_spill_count: 0
    .symbol:         _ZN7rocprim17ROCPRIM_400000_NS6detail17trampoline_kernelINS0_14default_configENS1_27lower_bound_config_selectorIyiEEZNS1_14transform_implILb0ES3_S5_N6thrust23THRUST_200600_302600_NS6detail15normal_iteratorINS8_10device_ptrIyEEEENSA_INSB_IiEEEEZNS1_13binary_searchIS3_S5_SD_SD_SF_NS1_21lower_bound_search_opENS9_16wrapped_functionINS0_4lessIvEEbEEEE10hipError_tPvRmT1_T2_T3_mmT4_T5_P12ihipStream_tbEUlRKyE_EESM_SQ_SR_mSS_SV_bEUlT_E_NS1_11comp_targetILNS1_3genE3ELNS1_11target_archE908ELNS1_3gpuE7ELNS1_3repE0EEENS1_30default_config_static_selectorELNS0_4arch9wavefront6targetE1EEEvSP_.kd
    .uniform_work_group_size: 1
    .uses_dynamic_stack: false
    .vgpr_count:     0
    .vgpr_spill_count: 0
    .wavefront_size: 64
  - .agpr_count:     0
    .args:
      - .offset:         0
        .size:           56
        .value_kind:     by_value
    .group_segment_fixed_size: 0
    .kernarg_segment_align: 8
    .kernarg_segment_size: 56
    .language:       OpenCL C
    .language_version:
      - 2
      - 0
    .max_flat_workgroup_size: 256
    .name:           _ZN7rocprim17ROCPRIM_400000_NS6detail17trampoline_kernelINS0_14default_configENS1_27lower_bound_config_selectorIyiEEZNS1_14transform_implILb0ES3_S5_N6thrust23THRUST_200600_302600_NS6detail15normal_iteratorINS8_10device_ptrIyEEEENSA_INSB_IiEEEEZNS1_13binary_searchIS3_S5_SD_SD_SF_NS1_21lower_bound_search_opENS9_16wrapped_functionINS0_4lessIvEEbEEEE10hipError_tPvRmT1_T2_T3_mmT4_T5_P12ihipStream_tbEUlRKyE_EESM_SQ_SR_mSS_SV_bEUlT_E_NS1_11comp_targetILNS1_3genE2ELNS1_11target_archE906ELNS1_3gpuE6ELNS1_3repE0EEENS1_30default_config_static_selectorELNS0_4arch9wavefront6targetE1EEEvSP_
    .private_segment_fixed_size: 0
    .sgpr_count:     4
    .sgpr_spill_count: 0
    .symbol:         _ZN7rocprim17ROCPRIM_400000_NS6detail17trampoline_kernelINS0_14default_configENS1_27lower_bound_config_selectorIyiEEZNS1_14transform_implILb0ES3_S5_N6thrust23THRUST_200600_302600_NS6detail15normal_iteratorINS8_10device_ptrIyEEEENSA_INSB_IiEEEEZNS1_13binary_searchIS3_S5_SD_SD_SF_NS1_21lower_bound_search_opENS9_16wrapped_functionINS0_4lessIvEEbEEEE10hipError_tPvRmT1_T2_T3_mmT4_T5_P12ihipStream_tbEUlRKyE_EESM_SQ_SR_mSS_SV_bEUlT_E_NS1_11comp_targetILNS1_3genE2ELNS1_11target_archE906ELNS1_3gpuE6ELNS1_3repE0EEENS1_30default_config_static_selectorELNS0_4arch9wavefront6targetE1EEEvSP_.kd
    .uniform_work_group_size: 1
    .uses_dynamic_stack: false
    .vgpr_count:     0
    .vgpr_spill_count: 0
    .wavefront_size: 64
  - .agpr_count:     0
    .args:
      - .offset:         0
        .size:           56
        .value_kind:     by_value
    .group_segment_fixed_size: 0
    .kernarg_segment_align: 8
    .kernarg_segment_size: 56
    .language:       OpenCL C
    .language_version:
      - 2
      - 0
    .max_flat_workgroup_size: 128
    .name:           _ZN7rocprim17ROCPRIM_400000_NS6detail17trampoline_kernelINS0_14default_configENS1_27lower_bound_config_selectorIyiEEZNS1_14transform_implILb0ES3_S5_N6thrust23THRUST_200600_302600_NS6detail15normal_iteratorINS8_10device_ptrIyEEEENSA_INSB_IiEEEEZNS1_13binary_searchIS3_S5_SD_SD_SF_NS1_21lower_bound_search_opENS9_16wrapped_functionINS0_4lessIvEEbEEEE10hipError_tPvRmT1_T2_T3_mmT4_T5_P12ihipStream_tbEUlRKyE_EESM_SQ_SR_mSS_SV_bEUlT_E_NS1_11comp_targetILNS1_3genE10ELNS1_11target_archE1201ELNS1_3gpuE5ELNS1_3repE0EEENS1_30default_config_static_selectorELNS0_4arch9wavefront6targetE1EEEvSP_
    .private_segment_fixed_size: 0
    .sgpr_count:     4
    .sgpr_spill_count: 0
    .symbol:         _ZN7rocprim17ROCPRIM_400000_NS6detail17trampoline_kernelINS0_14default_configENS1_27lower_bound_config_selectorIyiEEZNS1_14transform_implILb0ES3_S5_N6thrust23THRUST_200600_302600_NS6detail15normal_iteratorINS8_10device_ptrIyEEEENSA_INSB_IiEEEEZNS1_13binary_searchIS3_S5_SD_SD_SF_NS1_21lower_bound_search_opENS9_16wrapped_functionINS0_4lessIvEEbEEEE10hipError_tPvRmT1_T2_T3_mmT4_T5_P12ihipStream_tbEUlRKyE_EESM_SQ_SR_mSS_SV_bEUlT_E_NS1_11comp_targetILNS1_3genE10ELNS1_11target_archE1201ELNS1_3gpuE5ELNS1_3repE0EEENS1_30default_config_static_selectorELNS0_4arch9wavefront6targetE1EEEvSP_.kd
    .uniform_work_group_size: 1
    .uses_dynamic_stack: false
    .vgpr_count:     0
    .vgpr_spill_count: 0
    .wavefront_size: 64
  - .agpr_count:     0
    .args:
      - .offset:         0
        .size:           56
        .value_kind:     by_value
    .group_segment_fixed_size: 0
    .kernarg_segment_align: 8
    .kernarg_segment_size: 56
    .language:       OpenCL C
    .language_version:
      - 2
      - 0
    .max_flat_workgroup_size: 128
    .name:           _ZN7rocprim17ROCPRIM_400000_NS6detail17trampoline_kernelINS0_14default_configENS1_27lower_bound_config_selectorIyiEEZNS1_14transform_implILb0ES3_S5_N6thrust23THRUST_200600_302600_NS6detail15normal_iteratorINS8_10device_ptrIyEEEENSA_INSB_IiEEEEZNS1_13binary_searchIS3_S5_SD_SD_SF_NS1_21lower_bound_search_opENS9_16wrapped_functionINS0_4lessIvEEbEEEE10hipError_tPvRmT1_T2_T3_mmT4_T5_P12ihipStream_tbEUlRKyE_EESM_SQ_SR_mSS_SV_bEUlT_E_NS1_11comp_targetILNS1_3genE10ELNS1_11target_archE1200ELNS1_3gpuE4ELNS1_3repE0EEENS1_30default_config_static_selectorELNS0_4arch9wavefront6targetE1EEEvSP_
    .private_segment_fixed_size: 0
    .sgpr_count:     4
    .sgpr_spill_count: 0
    .symbol:         _ZN7rocprim17ROCPRIM_400000_NS6detail17trampoline_kernelINS0_14default_configENS1_27lower_bound_config_selectorIyiEEZNS1_14transform_implILb0ES3_S5_N6thrust23THRUST_200600_302600_NS6detail15normal_iteratorINS8_10device_ptrIyEEEENSA_INSB_IiEEEEZNS1_13binary_searchIS3_S5_SD_SD_SF_NS1_21lower_bound_search_opENS9_16wrapped_functionINS0_4lessIvEEbEEEE10hipError_tPvRmT1_T2_T3_mmT4_T5_P12ihipStream_tbEUlRKyE_EESM_SQ_SR_mSS_SV_bEUlT_E_NS1_11comp_targetILNS1_3genE10ELNS1_11target_archE1200ELNS1_3gpuE4ELNS1_3repE0EEENS1_30default_config_static_selectorELNS0_4arch9wavefront6targetE1EEEvSP_.kd
    .uniform_work_group_size: 1
    .uses_dynamic_stack: false
    .vgpr_count:     0
    .vgpr_spill_count: 0
    .wavefront_size: 64
  - .agpr_count:     0
    .args:
      - .offset:         0
        .size:           56
        .value_kind:     by_value
    .group_segment_fixed_size: 0
    .kernarg_segment_align: 8
    .kernarg_segment_size: 56
    .language:       OpenCL C
    .language_version:
      - 2
      - 0
    .max_flat_workgroup_size: 64
    .name:           _ZN7rocprim17ROCPRIM_400000_NS6detail17trampoline_kernelINS0_14default_configENS1_27lower_bound_config_selectorIyiEEZNS1_14transform_implILb0ES3_S5_N6thrust23THRUST_200600_302600_NS6detail15normal_iteratorINS8_10device_ptrIyEEEENSA_INSB_IiEEEEZNS1_13binary_searchIS3_S5_SD_SD_SF_NS1_21lower_bound_search_opENS9_16wrapped_functionINS0_4lessIvEEbEEEE10hipError_tPvRmT1_T2_T3_mmT4_T5_P12ihipStream_tbEUlRKyE_EESM_SQ_SR_mSS_SV_bEUlT_E_NS1_11comp_targetILNS1_3genE9ELNS1_11target_archE1100ELNS1_3gpuE3ELNS1_3repE0EEENS1_30default_config_static_selectorELNS0_4arch9wavefront6targetE1EEEvSP_
    .private_segment_fixed_size: 0
    .sgpr_count:     4
    .sgpr_spill_count: 0
    .symbol:         _ZN7rocprim17ROCPRIM_400000_NS6detail17trampoline_kernelINS0_14default_configENS1_27lower_bound_config_selectorIyiEEZNS1_14transform_implILb0ES3_S5_N6thrust23THRUST_200600_302600_NS6detail15normal_iteratorINS8_10device_ptrIyEEEENSA_INSB_IiEEEEZNS1_13binary_searchIS3_S5_SD_SD_SF_NS1_21lower_bound_search_opENS9_16wrapped_functionINS0_4lessIvEEbEEEE10hipError_tPvRmT1_T2_T3_mmT4_T5_P12ihipStream_tbEUlRKyE_EESM_SQ_SR_mSS_SV_bEUlT_E_NS1_11comp_targetILNS1_3genE9ELNS1_11target_archE1100ELNS1_3gpuE3ELNS1_3repE0EEENS1_30default_config_static_selectorELNS0_4arch9wavefront6targetE1EEEvSP_.kd
    .uniform_work_group_size: 1
    .uses_dynamic_stack: false
    .vgpr_count:     0
    .vgpr_spill_count: 0
    .wavefront_size: 64
  - .agpr_count:     0
    .args:
      - .offset:         0
        .size:           56
        .value_kind:     by_value
    .group_segment_fixed_size: 0
    .kernarg_segment_align: 8
    .kernarg_segment_size: 56
    .language:       OpenCL C
    .language_version:
      - 2
      - 0
    .max_flat_workgroup_size: 256
    .name:           _ZN7rocprim17ROCPRIM_400000_NS6detail17trampoline_kernelINS0_14default_configENS1_27lower_bound_config_selectorIyiEEZNS1_14transform_implILb0ES3_S5_N6thrust23THRUST_200600_302600_NS6detail15normal_iteratorINS8_10device_ptrIyEEEENSA_INSB_IiEEEEZNS1_13binary_searchIS3_S5_SD_SD_SF_NS1_21lower_bound_search_opENS9_16wrapped_functionINS0_4lessIvEEbEEEE10hipError_tPvRmT1_T2_T3_mmT4_T5_P12ihipStream_tbEUlRKyE_EESM_SQ_SR_mSS_SV_bEUlT_E_NS1_11comp_targetILNS1_3genE8ELNS1_11target_archE1030ELNS1_3gpuE2ELNS1_3repE0EEENS1_30default_config_static_selectorELNS0_4arch9wavefront6targetE1EEEvSP_
    .private_segment_fixed_size: 0
    .sgpr_count:     4
    .sgpr_spill_count: 0
    .symbol:         _ZN7rocprim17ROCPRIM_400000_NS6detail17trampoline_kernelINS0_14default_configENS1_27lower_bound_config_selectorIyiEEZNS1_14transform_implILb0ES3_S5_N6thrust23THRUST_200600_302600_NS6detail15normal_iteratorINS8_10device_ptrIyEEEENSA_INSB_IiEEEEZNS1_13binary_searchIS3_S5_SD_SD_SF_NS1_21lower_bound_search_opENS9_16wrapped_functionINS0_4lessIvEEbEEEE10hipError_tPvRmT1_T2_T3_mmT4_T5_P12ihipStream_tbEUlRKyE_EESM_SQ_SR_mSS_SV_bEUlT_E_NS1_11comp_targetILNS1_3genE8ELNS1_11target_archE1030ELNS1_3gpuE2ELNS1_3repE0EEENS1_30default_config_static_selectorELNS0_4arch9wavefront6targetE1EEEvSP_.kd
    .uniform_work_group_size: 1
    .uses_dynamic_stack: false
    .vgpr_count:     0
    .vgpr_spill_count: 0
    .wavefront_size: 64
  - .agpr_count:     0
    .args:
      - .offset:         0
        .size:           16
        .value_kind:     by_value
      - .offset:         16
        .size:           8
        .value_kind:     by_value
      - .offset:         24
        .size:           8
        .value_kind:     by_value
    .group_segment_fixed_size: 0
    .kernarg_segment_align: 8
    .kernarg_segment_size: 32
    .language:       OpenCL C
    .language_version:
      - 2
      - 0
    .max_flat_workgroup_size: 256
    .name:           _ZN6thrust23THRUST_200600_302600_NS11hip_rocprim14__parallel_for6kernelILj256ENS1_10__tabulate7functorINS0_6detail15normal_iteratorINS0_10device_ptrIjEEEENS0_6system6detail7generic6detail22compute_sequence_valueIjvEElEElLj1EEEvT0_T1_SJ_
    .private_segment_fixed_size: 0
    .sgpr_count:     16
    .sgpr_spill_count: 0
    .symbol:         _ZN6thrust23THRUST_200600_302600_NS11hip_rocprim14__parallel_for6kernelILj256ENS1_10__tabulate7functorINS0_6detail15normal_iteratorINS0_10device_ptrIjEEEENS0_6system6detail7generic6detail22compute_sequence_valueIjvEElEElLj1EEEvT0_T1_SJ_.kd
    .uniform_work_group_size: 1
    .uses_dynamic_stack: false
    .vgpr_count:     4
    .vgpr_spill_count: 0
    .wavefront_size: 64
  - .agpr_count:     0
    .args:
      - .offset:         0
        .size:           56
        .value_kind:     by_value
    .group_segment_fixed_size: 0
    .kernarg_segment_align: 8
    .kernarg_segment_size: 56
    .language:       OpenCL C
    .language_version:
      - 2
      - 0
    .max_flat_workgroup_size: 64
    .name:           _ZN7rocprim17ROCPRIM_400000_NS6detail17trampoline_kernelINS0_14default_configENS1_27lower_bound_config_selectorIjiEEZNS1_14transform_implILb0ES3_S5_N6thrust23THRUST_200600_302600_NS6detail15normal_iteratorINS8_10device_ptrIjEEEENSA_INSB_IiEEEEZNS1_13binary_searchIS3_S5_SD_SD_SF_NS1_21lower_bound_search_opENS9_16wrapped_functionINS0_4lessIvEEbEEEE10hipError_tPvRmT1_T2_T3_mmT4_T5_P12ihipStream_tbEUlRKjE_EESM_SQ_SR_mSS_SV_bEUlT_E_NS1_11comp_targetILNS1_3genE0ELNS1_11target_archE4294967295ELNS1_3gpuE0ELNS1_3repE0EEENS1_30default_config_static_selectorELNS0_4arch9wavefront6targetE1EEEvSP_
    .private_segment_fixed_size: 0
    .sgpr_count:     4
    .sgpr_spill_count: 0
    .symbol:         _ZN7rocprim17ROCPRIM_400000_NS6detail17trampoline_kernelINS0_14default_configENS1_27lower_bound_config_selectorIjiEEZNS1_14transform_implILb0ES3_S5_N6thrust23THRUST_200600_302600_NS6detail15normal_iteratorINS8_10device_ptrIjEEEENSA_INSB_IiEEEEZNS1_13binary_searchIS3_S5_SD_SD_SF_NS1_21lower_bound_search_opENS9_16wrapped_functionINS0_4lessIvEEbEEEE10hipError_tPvRmT1_T2_T3_mmT4_T5_P12ihipStream_tbEUlRKjE_EESM_SQ_SR_mSS_SV_bEUlT_E_NS1_11comp_targetILNS1_3genE0ELNS1_11target_archE4294967295ELNS1_3gpuE0ELNS1_3repE0EEENS1_30default_config_static_selectorELNS0_4arch9wavefront6targetE1EEEvSP_.kd
    .uniform_work_group_size: 1
    .uses_dynamic_stack: false
    .vgpr_count:     0
    .vgpr_spill_count: 0
    .wavefront_size: 64
  - .agpr_count:     0
    .args:
      - .offset:         0
        .size:           56
        .value_kind:     by_value
    .group_segment_fixed_size: 0
    .kernarg_segment_align: 8
    .kernarg_segment_size: 56
    .language:       OpenCL C
    .language_version:
      - 2
      - 0
    .max_flat_workgroup_size: 256
    .name:           _ZN7rocprim17ROCPRIM_400000_NS6detail17trampoline_kernelINS0_14default_configENS1_27lower_bound_config_selectorIjiEEZNS1_14transform_implILb0ES3_S5_N6thrust23THRUST_200600_302600_NS6detail15normal_iteratorINS8_10device_ptrIjEEEENSA_INSB_IiEEEEZNS1_13binary_searchIS3_S5_SD_SD_SF_NS1_21lower_bound_search_opENS9_16wrapped_functionINS0_4lessIvEEbEEEE10hipError_tPvRmT1_T2_T3_mmT4_T5_P12ihipStream_tbEUlRKjE_EESM_SQ_SR_mSS_SV_bEUlT_E_NS1_11comp_targetILNS1_3genE5ELNS1_11target_archE942ELNS1_3gpuE9ELNS1_3repE0EEENS1_30default_config_static_selectorELNS0_4arch9wavefront6targetE1EEEvSP_
    .private_segment_fixed_size: 0
    .sgpr_count:     4
    .sgpr_spill_count: 0
    .symbol:         _ZN7rocprim17ROCPRIM_400000_NS6detail17trampoline_kernelINS0_14default_configENS1_27lower_bound_config_selectorIjiEEZNS1_14transform_implILb0ES3_S5_N6thrust23THRUST_200600_302600_NS6detail15normal_iteratorINS8_10device_ptrIjEEEENSA_INSB_IiEEEEZNS1_13binary_searchIS3_S5_SD_SD_SF_NS1_21lower_bound_search_opENS9_16wrapped_functionINS0_4lessIvEEbEEEE10hipError_tPvRmT1_T2_T3_mmT4_T5_P12ihipStream_tbEUlRKjE_EESM_SQ_SR_mSS_SV_bEUlT_E_NS1_11comp_targetILNS1_3genE5ELNS1_11target_archE942ELNS1_3gpuE9ELNS1_3repE0EEENS1_30default_config_static_selectorELNS0_4arch9wavefront6targetE1EEEvSP_.kd
    .uniform_work_group_size: 1
    .uses_dynamic_stack: false
    .vgpr_count:     0
    .vgpr_spill_count: 0
    .wavefront_size: 64
  - .agpr_count:     0
    .args:
      - .offset:         0
        .size:           56
        .value_kind:     by_value
      - .offset:         56
        .size:           4
        .value_kind:     hidden_block_count_x
      - .offset:         60
        .size:           4
        .value_kind:     hidden_block_count_y
      - .offset:         64
        .size:           4
        .value_kind:     hidden_block_count_z
      - .offset:         68
        .size:           2
        .value_kind:     hidden_group_size_x
      - .offset:         70
        .size:           2
        .value_kind:     hidden_group_size_y
      - .offset:         72
        .size:           2
        .value_kind:     hidden_group_size_z
      - .offset:         74
        .size:           2
        .value_kind:     hidden_remainder_x
      - .offset:         76
        .size:           2
        .value_kind:     hidden_remainder_y
      - .offset:         78
        .size:           2
        .value_kind:     hidden_remainder_z
      - .offset:         96
        .size:           8
        .value_kind:     hidden_global_offset_x
      - .offset:         104
        .size:           8
        .value_kind:     hidden_global_offset_y
      - .offset:         112
        .size:           8
        .value_kind:     hidden_global_offset_z
      - .offset:         120
        .size:           2
        .value_kind:     hidden_grid_dims
    .group_segment_fixed_size: 0
    .kernarg_segment_align: 8
    .kernarg_segment_size: 312
    .language:       OpenCL C
    .language_version:
      - 2
      - 0
    .max_flat_workgroup_size: 256
    .name:           _ZN7rocprim17ROCPRIM_400000_NS6detail17trampoline_kernelINS0_14default_configENS1_27lower_bound_config_selectorIjiEEZNS1_14transform_implILb0ES3_S5_N6thrust23THRUST_200600_302600_NS6detail15normal_iteratorINS8_10device_ptrIjEEEENSA_INSB_IiEEEEZNS1_13binary_searchIS3_S5_SD_SD_SF_NS1_21lower_bound_search_opENS9_16wrapped_functionINS0_4lessIvEEbEEEE10hipError_tPvRmT1_T2_T3_mmT4_T5_P12ihipStream_tbEUlRKjE_EESM_SQ_SR_mSS_SV_bEUlT_E_NS1_11comp_targetILNS1_3genE4ELNS1_11target_archE910ELNS1_3gpuE8ELNS1_3repE0EEENS1_30default_config_static_selectorELNS0_4arch9wavefront6targetE1EEEvSP_
    .private_segment_fixed_size: 0
    .sgpr_count:     22
    .sgpr_spill_count: 0
    .symbol:         _ZN7rocprim17ROCPRIM_400000_NS6detail17trampoline_kernelINS0_14default_configENS1_27lower_bound_config_selectorIjiEEZNS1_14transform_implILb0ES3_S5_N6thrust23THRUST_200600_302600_NS6detail15normal_iteratorINS8_10device_ptrIjEEEENSA_INSB_IiEEEEZNS1_13binary_searchIS3_S5_SD_SD_SF_NS1_21lower_bound_search_opENS9_16wrapped_functionINS0_4lessIvEEbEEEE10hipError_tPvRmT1_T2_T3_mmT4_T5_P12ihipStream_tbEUlRKjE_EESM_SQ_SR_mSS_SV_bEUlT_E_NS1_11comp_targetILNS1_3genE4ELNS1_11target_archE910ELNS1_3gpuE8ELNS1_3repE0EEENS1_30default_config_static_selectorELNS0_4arch9wavefront6targetE1EEEvSP_.kd
    .uniform_work_group_size: 1
    .uses_dynamic_stack: false
    .vgpr_count:     12
    .vgpr_spill_count: 0
    .wavefront_size: 64
  - .agpr_count:     0
    .args:
      - .offset:         0
        .size:           56
        .value_kind:     by_value
    .group_segment_fixed_size: 0
    .kernarg_segment_align: 8
    .kernarg_segment_size: 56
    .language:       OpenCL C
    .language_version:
      - 2
      - 0
    .max_flat_workgroup_size: 64
    .name:           _ZN7rocprim17ROCPRIM_400000_NS6detail17trampoline_kernelINS0_14default_configENS1_27lower_bound_config_selectorIjiEEZNS1_14transform_implILb0ES3_S5_N6thrust23THRUST_200600_302600_NS6detail15normal_iteratorINS8_10device_ptrIjEEEENSA_INSB_IiEEEEZNS1_13binary_searchIS3_S5_SD_SD_SF_NS1_21lower_bound_search_opENS9_16wrapped_functionINS0_4lessIvEEbEEEE10hipError_tPvRmT1_T2_T3_mmT4_T5_P12ihipStream_tbEUlRKjE_EESM_SQ_SR_mSS_SV_bEUlT_E_NS1_11comp_targetILNS1_3genE3ELNS1_11target_archE908ELNS1_3gpuE7ELNS1_3repE0EEENS1_30default_config_static_selectorELNS0_4arch9wavefront6targetE1EEEvSP_
    .private_segment_fixed_size: 0
    .sgpr_count:     4
    .sgpr_spill_count: 0
    .symbol:         _ZN7rocprim17ROCPRIM_400000_NS6detail17trampoline_kernelINS0_14default_configENS1_27lower_bound_config_selectorIjiEEZNS1_14transform_implILb0ES3_S5_N6thrust23THRUST_200600_302600_NS6detail15normal_iteratorINS8_10device_ptrIjEEEENSA_INSB_IiEEEEZNS1_13binary_searchIS3_S5_SD_SD_SF_NS1_21lower_bound_search_opENS9_16wrapped_functionINS0_4lessIvEEbEEEE10hipError_tPvRmT1_T2_T3_mmT4_T5_P12ihipStream_tbEUlRKjE_EESM_SQ_SR_mSS_SV_bEUlT_E_NS1_11comp_targetILNS1_3genE3ELNS1_11target_archE908ELNS1_3gpuE7ELNS1_3repE0EEENS1_30default_config_static_selectorELNS0_4arch9wavefront6targetE1EEEvSP_.kd
    .uniform_work_group_size: 1
    .uses_dynamic_stack: false
    .vgpr_count:     0
    .vgpr_spill_count: 0
    .wavefront_size: 64
  - .agpr_count:     0
    .args:
      - .offset:         0
        .size:           56
        .value_kind:     by_value
    .group_segment_fixed_size: 0
    .kernarg_segment_align: 8
    .kernarg_segment_size: 56
    .language:       OpenCL C
    .language_version:
      - 2
      - 0
    .max_flat_workgroup_size: 256
    .name:           _ZN7rocprim17ROCPRIM_400000_NS6detail17trampoline_kernelINS0_14default_configENS1_27lower_bound_config_selectorIjiEEZNS1_14transform_implILb0ES3_S5_N6thrust23THRUST_200600_302600_NS6detail15normal_iteratorINS8_10device_ptrIjEEEENSA_INSB_IiEEEEZNS1_13binary_searchIS3_S5_SD_SD_SF_NS1_21lower_bound_search_opENS9_16wrapped_functionINS0_4lessIvEEbEEEE10hipError_tPvRmT1_T2_T3_mmT4_T5_P12ihipStream_tbEUlRKjE_EESM_SQ_SR_mSS_SV_bEUlT_E_NS1_11comp_targetILNS1_3genE2ELNS1_11target_archE906ELNS1_3gpuE6ELNS1_3repE0EEENS1_30default_config_static_selectorELNS0_4arch9wavefront6targetE1EEEvSP_
    .private_segment_fixed_size: 0
    .sgpr_count:     4
    .sgpr_spill_count: 0
    .symbol:         _ZN7rocprim17ROCPRIM_400000_NS6detail17trampoline_kernelINS0_14default_configENS1_27lower_bound_config_selectorIjiEEZNS1_14transform_implILb0ES3_S5_N6thrust23THRUST_200600_302600_NS6detail15normal_iteratorINS8_10device_ptrIjEEEENSA_INSB_IiEEEEZNS1_13binary_searchIS3_S5_SD_SD_SF_NS1_21lower_bound_search_opENS9_16wrapped_functionINS0_4lessIvEEbEEEE10hipError_tPvRmT1_T2_T3_mmT4_T5_P12ihipStream_tbEUlRKjE_EESM_SQ_SR_mSS_SV_bEUlT_E_NS1_11comp_targetILNS1_3genE2ELNS1_11target_archE906ELNS1_3gpuE6ELNS1_3repE0EEENS1_30default_config_static_selectorELNS0_4arch9wavefront6targetE1EEEvSP_.kd
    .uniform_work_group_size: 1
    .uses_dynamic_stack: false
    .vgpr_count:     0
    .vgpr_spill_count: 0
    .wavefront_size: 64
  - .agpr_count:     0
    .args:
      - .offset:         0
        .size:           56
        .value_kind:     by_value
    .group_segment_fixed_size: 0
    .kernarg_segment_align: 8
    .kernarg_segment_size: 56
    .language:       OpenCL C
    .language_version:
      - 2
      - 0
    .max_flat_workgroup_size: 128
    .name:           _ZN7rocprim17ROCPRIM_400000_NS6detail17trampoline_kernelINS0_14default_configENS1_27lower_bound_config_selectorIjiEEZNS1_14transform_implILb0ES3_S5_N6thrust23THRUST_200600_302600_NS6detail15normal_iteratorINS8_10device_ptrIjEEEENSA_INSB_IiEEEEZNS1_13binary_searchIS3_S5_SD_SD_SF_NS1_21lower_bound_search_opENS9_16wrapped_functionINS0_4lessIvEEbEEEE10hipError_tPvRmT1_T2_T3_mmT4_T5_P12ihipStream_tbEUlRKjE_EESM_SQ_SR_mSS_SV_bEUlT_E_NS1_11comp_targetILNS1_3genE10ELNS1_11target_archE1201ELNS1_3gpuE5ELNS1_3repE0EEENS1_30default_config_static_selectorELNS0_4arch9wavefront6targetE1EEEvSP_
    .private_segment_fixed_size: 0
    .sgpr_count:     4
    .sgpr_spill_count: 0
    .symbol:         _ZN7rocprim17ROCPRIM_400000_NS6detail17trampoline_kernelINS0_14default_configENS1_27lower_bound_config_selectorIjiEEZNS1_14transform_implILb0ES3_S5_N6thrust23THRUST_200600_302600_NS6detail15normal_iteratorINS8_10device_ptrIjEEEENSA_INSB_IiEEEEZNS1_13binary_searchIS3_S5_SD_SD_SF_NS1_21lower_bound_search_opENS9_16wrapped_functionINS0_4lessIvEEbEEEE10hipError_tPvRmT1_T2_T3_mmT4_T5_P12ihipStream_tbEUlRKjE_EESM_SQ_SR_mSS_SV_bEUlT_E_NS1_11comp_targetILNS1_3genE10ELNS1_11target_archE1201ELNS1_3gpuE5ELNS1_3repE0EEENS1_30default_config_static_selectorELNS0_4arch9wavefront6targetE1EEEvSP_.kd
    .uniform_work_group_size: 1
    .uses_dynamic_stack: false
    .vgpr_count:     0
    .vgpr_spill_count: 0
    .wavefront_size: 64
  - .agpr_count:     0
    .args:
      - .offset:         0
        .size:           56
        .value_kind:     by_value
    .group_segment_fixed_size: 0
    .kernarg_segment_align: 8
    .kernarg_segment_size: 56
    .language:       OpenCL C
    .language_version:
      - 2
      - 0
    .max_flat_workgroup_size: 128
    .name:           _ZN7rocprim17ROCPRIM_400000_NS6detail17trampoline_kernelINS0_14default_configENS1_27lower_bound_config_selectorIjiEEZNS1_14transform_implILb0ES3_S5_N6thrust23THRUST_200600_302600_NS6detail15normal_iteratorINS8_10device_ptrIjEEEENSA_INSB_IiEEEEZNS1_13binary_searchIS3_S5_SD_SD_SF_NS1_21lower_bound_search_opENS9_16wrapped_functionINS0_4lessIvEEbEEEE10hipError_tPvRmT1_T2_T3_mmT4_T5_P12ihipStream_tbEUlRKjE_EESM_SQ_SR_mSS_SV_bEUlT_E_NS1_11comp_targetILNS1_3genE10ELNS1_11target_archE1200ELNS1_3gpuE4ELNS1_3repE0EEENS1_30default_config_static_selectorELNS0_4arch9wavefront6targetE1EEEvSP_
    .private_segment_fixed_size: 0
    .sgpr_count:     4
    .sgpr_spill_count: 0
    .symbol:         _ZN7rocprim17ROCPRIM_400000_NS6detail17trampoline_kernelINS0_14default_configENS1_27lower_bound_config_selectorIjiEEZNS1_14transform_implILb0ES3_S5_N6thrust23THRUST_200600_302600_NS6detail15normal_iteratorINS8_10device_ptrIjEEEENSA_INSB_IiEEEEZNS1_13binary_searchIS3_S5_SD_SD_SF_NS1_21lower_bound_search_opENS9_16wrapped_functionINS0_4lessIvEEbEEEE10hipError_tPvRmT1_T2_T3_mmT4_T5_P12ihipStream_tbEUlRKjE_EESM_SQ_SR_mSS_SV_bEUlT_E_NS1_11comp_targetILNS1_3genE10ELNS1_11target_archE1200ELNS1_3gpuE4ELNS1_3repE0EEENS1_30default_config_static_selectorELNS0_4arch9wavefront6targetE1EEEvSP_.kd
    .uniform_work_group_size: 1
    .uses_dynamic_stack: false
    .vgpr_count:     0
    .vgpr_spill_count: 0
    .wavefront_size: 64
  - .agpr_count:     0
    .args:
      - .offset:         0
        .size:           56
        .value_kind:     by_value
    .group_segment_fixed_size: 0
    .kernarg_segment_align: 8
    .kernarg_segment_size: 56
    .language:       OpenCL C
    .language_version:
      - 2
      - 0
    .max_flat_workgroup_size: 128
    .name:           _ZN7rocprim17ROCPRIM_400000_NS6detail17trampoline_kernelINS0_14default_configENS1_27lower_bound_config_selectorIjiEEZNS1_14transform_implILb0ES3_S5_N6thrust23THRUST_200600_302600_NS6detail15normal_iteratorINS8_10device_ptrIjEEEENSA_INSB_IiEEEEZNS1_13binary_searchIS3_S5_SD_SD_SF_NS1_21lower_bound_search_opENS9_16wrapped_functionINS0_4lessIvEEbEEEE10hipError_tPvRmT1_T2_T3_mmT4_T5_P12ihipStream_tbEUlRKjE_EESM_SQ_SR_mSS_SV_bEUlT_E_NS1_11comp_targetILNS1_3genE9ELNS1_11target_archE1100ELNS1_3gpuE3ELNS1_3repE0EEENS1_30default_config_static_selectorELNS0_4arch9wavefront6targetE1EEEvSP_
    .private_segment_fixed_size: 0
    .sgpr_count:     4
    .sgpr_spill_count: 0
    .symbol:         _ZN7rocprim17ROCPRIM_400000_NS6detail17trampoline_kernelINS0_14default_configENS1_27lower_bound_config_selectorIjiEEZNS1_14transform_implILb0ES3_S5_N6thrust23THRUST_200600_302600_NS6detail15normal_iteratorINS8_10device_ptrIjEEEENSA_INSB_IiEEEEZNS1_13binary_searchIS3_S5_SD_SD_SF_NS1_21lower_bound_search_opENS9_16wrapped_functionINS0_4lessIvEEbEEEE10hipError_tPvRmT1_T2_T3_mmT4_T5_P12ihipStream_tbEUlRKjE_EESM_SQ_SR_mSS_SV_bEUlT_E_NS1_11comp_targetILNS1_3genE9ELNS1_11target_archE1100ELNS1_3gpuE3ELNS1_3repE0EEENS1_30default_config_static_selectorELNS0_4arch9wavefront6targetE1EEEvSP_.kd
    .uniform_work_group_size: 1
    .uses_dynamic_stack: false
    .vgpr_count:     0
    .vgpr_spill_count: 0
    .wavefront_size: 64
  - .agpr_count:     0
    .args:
      - .offset:         0
        .size:           56
        .value_kind:     by_value
    .group_segment_fixed_size: 0
    .kernarg_segment_align: 8
    .kernarg_segment_size: 56
    .language:       OpenCL C
    .language_version:
      - 2
      - 0
    .max_flat_workgroup_size: 256
    .name:           _ZN7rocprim17ROCPRIM_400000_NS6detail17trampoline_kernelINS0_14default_configENS1_27lower_bound_config_selectorIjiEEZNS1_14transform_implILb0ES3_S5_N6thrust23THRUST_200600_302600_NS6detail15normal_iteratorINS8_10device_ptrIjEEEENSA_INSB_IiEEEEZNS1_13binary_searchIS3_S5_SD_SD_SF_NS1_21lower_bound_search_opENS9_16wrapped_functionINS0_4lessIvEEbEEEE10hipError_tPvRmT1_T2_T3_mmT4_T5_P12ihipStream_tbEUlRKjE_EESM_SQ_SR_mSS_SV_bEUlT_E_NS1_11comp_targetILNS1_3genE8ELNS1_11target_archE1030ELNS1_3gpuE2ELNS1_3repE0EEENS1_30default_config_static_selectorELNS0_4arch9wavefront6targetE1EEEvSP_
    .private_segment_fixed_size: 0
    .sgpr_count:     4
    .sgpr_spill_count: 0
    .symbol:         _ZN7rocprim17ROCPRIM_400000_NS6detail17trampoline_kernelINS0_14default_configENS1_27lower_bound_config_selectorIjiEEZNS1_14transform_implILb0ES3_S5_N6thrust23THRUST_200600_302600_NS6detail15normal_iteratorINS8_10device_ptrIjEEEENSA_INSB_IiEEEEZNS1_13binary_searchIS3_S5_SD_SD_SF_NS1_21lower_bound_search_opENS9_16wrapped_functionINS0_4lessIvEEbEEEE10hipError_tPvRmT1_T2_T3_mmT4_T5_P12ihipStream_tbEUlRKjE_EESM_SQ_SR_mSS_SV_bEUlT_E_NS1_11comp_targetILNS1_3genE8ELNS1_11target_archE1030ELNS1_3gpuE2ELNS1_3repE0EEENS1_30default_config_static_selectorELNS0_4arch9wavefront6targetE1EEEvSP_.kd
    .uniform_work_group_size: 1
    .uses_dynamic_stack: false
    .vgpr_count:     0
    .vgpr_spill_count: 0
    .wavefront_size: 64
  - .agpr_count:     0
    .args:
      - .offset:         0
        .size:           16
        .value_kind:     by_value
      - .offset:         16
        .size:           8
        .value_kind:     by_value
      - .offset:         24
        .size:           8
        .value_kind:     by_value
    .group_segment_fixed_size: 0
    .kernarg_segment_align: 8
    .kernarg_segment_size: 32
    .language:       OpenCL C
    .language_version:
      - 2
      - 0
    .max_flat_workgroup_size: 256
    .name:           _ZN6thrust23THRUST_200600_302600_NS11hip_rocprim14__parallel_for6kernelILj256ENS1_10__tabulate7functorINS0_6detail15normal_iteratorINS0_10device_ptrItEEEENS0_6system6detail7generic6detail22compute_sequence_valueItvEElEElLj1EEEvT0_T1_SJ_
    .private_segment_fixed_size: 0
    .sgpr_count:     16
    .sgpr_spill_count: 0
    .symbol:         _ZN6thrust23THRUST_200600_302600_NS11hip_rocprim14__parallel_for6kernelILj256ENS1_10__tabulate7functorINS0_6detail15normal_iteratorINS0_10device_ptrItEEEENS0_6system6detail7generic6detail22compute_sequence_valueItvEElEElLj1EEEvT0_T1_SJ_.kd
    .uniform_work_group_size: 1
    .uses_dynamic_stack: false
    .vgpr_count:     4
    .vgpr_spill_count: 0
    .wavefront_size: 64
  - .agpr_count:     0
    .args:
      - .offset:         0
        .size:           56
        .value_kind:     by_value
    .group_segment_fixed_size: 0
    .kernarg_segment_align: 8
    .kernarg_segment_size: 56
    .language:       OpenCL C
    .language_version:
      - 2
      - 0
    .max_flat_workgroup_size: 256
    .name:           _ZN7rocprim17ROCPRIM_400000_NS6detail17trampoline_kernelINS0_14default_configENS1_27lower_bound_config_selectorItiEEZNS1_14transform_implILb0ES3_S5_N6thrust23THRUST_200600_302600_NS6detail15normal_iteratorINS8_10device_ptrItEEEENSA_INSB_IiEEEEZNS1_13binary_searchIS3_S5_SD_SD_SF_NS1_21lower_bound_search_opENS9_16wrapped_functionINS0_4lessIvEEbEEEE10hipError_tPvRmT1_T2_T3_mmT4_T5_P12ihipStream_tbEUlRKtE_EESM_SQ_SR_mSS_SV_bEUlT_E_NS1_11comp_targetILNS1_3genE0ELNS1_11target_archE4294967295ELNS1_3gpuE0ELNS1_3repE0EEENS1_30default_config_static_selectorELNS0_4arch9wavefront6targetE1EEEvSP_
    .private_segment_fixed_size: 0
    .sgpr_count:     4
    .sgpr_spill_count: 0
    .symbol:         _ZN7rocprim17ROCPRIM_400000_NS6detail17trampoline_kernelINS0_14default_configENS1_27lower_bound_config_selectorItiEEZNS1_14transform_implILb0ES3_S5_N6thrust23THRUST_200600_302600_NS6detail15normal_iteratorINS8_10device_ptrItEEEENSA_INSB_IiEEEEZNS1_13binary_searchIS3_S5_SD_SD_SF_NS1_21lower_bound_search_opENS9_16wrapped_functionINS0_4lessIvEEbEEEE10hipError_tPvRmT1_T2_T3_mmT4_T5_P12ihipStream_tbEUlRKtE_EESM_SQ_SR_mSS_SV_bEUlT_E_NS1_11comp_targetILNS1_3genE0ELNS1_11target_archE4294967295ELNS1_3gpuE0ELNS1_3repE0EEENS1_30default_config_static_selectorELNS0_4arch9wavefront6targetE1EEEvSP_.kd
    .uniform_work_group_size: 1
    .uses_dynamic_stack: false
    .vgpr_count:     0
    .vgpr_spill_count: 0
    .wavefront_size: 64
  - .agpr_count:     0
    .args:
      - .offset:         0
        .size:           56
        .value_kind:     by_value
    .group_segment_fixed_size: 0
    .kernarg_segment_align: 8
    .kernarg_segment_size: 56
    .language:       OpenCL C
    .language_version:
      - 2
      - 0
    .max_flat_workgroup_size: 256
    .name:           _ZN7rocprim17ROCPRIM_400000_NS6detail17trampoline_kernelINS0_14default_configENS1_27lower_bound_config_selectorItiEEZNS1_14transform_implILb0ES3_S5_N6thrust23THRUST_200600_302600_NS6detail15normal_iteratorINS8_10device_ptrItEEEENSA_INSB_IiEEEEZNS1_13binary_searchIS3_S5_SD_SD_SF_NS1_21lower_bound_search_opENS9_16wrapped_functionINS0_4lessIvEEbEEEE10hipError_tPvRmT1_T2_T3_mmT4_T5_P12ihipStream_tbEUlRKtE_EESM_SQ_SR_mSS_SV_bEUlT_E_NS1_11comp_targetILNS1_3genE5ELNS1_11target_archE942ELNS1_3gpuE9ELNS1_3repE0EEENS1_30default_config_static_selectorELNS0_4arch9wavefront6targetE1EEEvSP_
    .private_segment_fixed_size: 0
    .sgpr_count:     4
    .sgpr_spill_count: 0
    .symbol:         _ZN7rocprim17ROCPRIM_400000_NS6detail17trampoline_kernelINS0_14default_configENS1_27lower_bound_config_selectorItiEEZNS1_14transform_implILb0ES3_S5_N6thrust23THRUST_200600_302600_NS6detail15normal_iteratorINS8_10device_ptrItEEEENSA_INSB_IiEEEEZNS1_13binary_searchIS3_S5_SD_SD_SF_NS1_21lower_bound_search_opENS9_16wrapped_functionINS0_4lessIvEEbEEEE10hipError_tPvRmT1_T2_T3_mmT4_T5_P12ihipStream_tbEUlRKtE_EESM_SQ_SR_mSS_SV_bEUlT_E_NS1_11comp_targetILNS1_3genE5ELNS1_11target_archE942ELNS1_3gpuE9ELNS1_3repE0EEENS1_30default_config_static_selectorELNS0_4arch9wavefront6targetE1EEEvSP_.kd
    .uniform_work_group_size: 1
    .uses_dynamic_stack: false
    .vgpr_count:     0
    .vgpr_spill_count: 0
    .wavefront_size: 64
  - .agpr_count:     0
    .args:
      - .offset:         0
        .size:           56
        .value_kind:     by_value
      - .offset:         56
        .size:           4
        .value_kind:     hidden_block_count_x
      - .offset:         60
        .size:           4
        .value_kind:     hidden_block_count_y
      - .offset:         64
        .size:           4
        .value_kind:     hidden_block_count_z
      - .offset:         68
        .size:           2
        .value_kind:     hidden_group_size_x
      - .offset:         70
        .size:           2
        .value_kind:     hidden_group_size_y
      - .offset:         72
        .size:           2
        .value_kind:     hidden_group_size_z
      - .offset:         74
        .size:           2
        .value_kind:     hidden_remainder_x
      - .offset:         76
        .size:           2
        .value_kind:     hidden_remainder_y
      - .offset:         78
        .size:           2
        .value_kind:     hidden_remainder_z
      - .offset:         96
        .size:           8
        .value_kind:     hidden_global_offset_x
      - .offset:         104
        .size:           8
        .value_kind:     hidden_global_offset_y
      - .offset:         112
        .size:           8
        .value_kind:     hidden_global_offset_z
      - .offset:         120
        .size:           2
        .value_kind:     hidden_grid_dims
    .group_segment_fixed_size: 0
    .kernarg_segment_align: 8
    .kernarg_segment_size: 312
    .language:       OpenCL C
    .language_version:
      - 2
      - 0
    .max_flat_workgroup_size: 256
    .name:           _ZN7rocprim17ROCPRIM_400000_NS6detail17trampoline_kernelINS0_14default_configENS1_27lower_bound_config_selectorItiEEZNS1_14transform_implILb0ES3_S5_N6thrust23THRUST_200600_302600_NS6detail15normal_iteratorINS8_10device_ptrItEEEENSA_INSB_IiEEEEZNS1_13binary_searchIS3_S5_SD_SD_SF_NS1_21lower_bound_search_opENS9_16wrapped_functionINS0_4lessIvEEbEEEE10hipError_tPvRmT1_T2_T3_mmT4_T5_P12ihipStream_tbEUlRKtE_EESM_SQ_SR_mSS_SV_bEUlT_E_NS1_11comp_targetILNS1_3genE4ELNS1_11target_archE910ELNS1_3gpuE8ELNS1_3repE0EEENS1_30default_config_static_selectorELNS0_4arch9wavefront6targetE1EEEvSP_
    .private_segment_fixed_size: 0
    .sgpr_count:     24
    .sgpr_spill_count: 0
    .symbol:         _ZN7rocprim17ROCPRIM_400000_NS6detail17trampoline_kernelINS0_14default_configENS1_27lower_bound_config_selectorItiEEZNS1_14transform_implILb0ES3_S5_N6thrust23THRUST_200600_302600_NS6detail15normal_iteratorINS8_10device_ptrItEEEENSA_INSB_IiEEEEZNS1_13binary_searchIS3_S5_SD_SD_SF_NS1_21lower_bound_search_opENS9_16wrapped_functionINS0_4lessIvEEbEEEE10hipError_tPvRmT1_T2_T3_mmT4_T5_P12ihipStream_tbEUlRKtE_EESM_SQ_SR_mSS_SV_bEUlT_E_NS1_11comp_targetILNS1_3genE4ELNS1_11target_archE910ELNS1_3gpuE8ELNS1_3repE0EEENS1_30default_config_static_selectorELNS0_4arch9wavefront6targetE1EEEvSP_.kd
    .uniform_work_group_size: 1
    .uses_dynamic_stack: false
    .vgpr_count:     12
    .vgpr_spill_count: 0
    .wavefront_size: 64
  - .agpr_count:     0
    .args:
      - .offset:         0
        .size:           56
        .value_kind:     by_value
    .group_segment_fixed_size: 0
    .kernarg_segment_align: 8
    .kernarg_segment_size: 56
    .language:       OpenCL C
    .language_version:
      - 2
      - 0
    .max_flat_workgroup_size: 256
    .name:           _ZN7rocprim17ROCPRIM_400000_NS6detail17trampoline_kernelINS0_14default_configENS1_27lower_bound_config_selectorItiEEZNS1_14transform_implILb0ES3_S5_N6thrust23THRUST_200600_302600_NS6detail15normal_iteratorINS8_10device_ptrItEEEENSA_INSB_IiEEEEZNS1_13binary_searchIS3_S5_SD_SD_SF_NS1_21lower_bound_search_opENS9_16wrapped_functionINS0_4lessIvEEbEEEE10hipError_tPvRmT1_T2_T3_mmT4_T5_P12ihipStream_tbEUlRKtE_EESM_SQ_SR_mSS_SV_bEUlT_E_NS1_11comp_targetILNS1_3genE3ELNS1_11target_archE908ELNS1_3gpuE7ELNS1_3repE0EEENS1_30default_config_static_selectorELNS0_4arch9wavefront6targetE1EEEvSP_
    .private_segment_fixed_size: 0
    .sgpr_count:     4
    .sgpr_spill_count: 0
    .symbol:         _ZN7rocprim17ROCPRIM_400000_NS6detail17trampoline_kernelINS0_14default_configENS1_27lower_bound_config_selectorItiEEZNS1_14transform_implILb0ES3_S5_N6thrust23THRUST_200600_302600_NS6detail15normal_iteratorINS8_10device_ptrItEEEENSA_INSB_IiEEEEZNS1_13binary_searchIS3_S5_SD_SD_SF_NS1_21lower_bound_search_opENS9_16wrapped_functionINS0_4lessIvEEbEEEE10hipError_tPvRmT1_T2_T3_mmT4_T5_P12ihipStream_tbEUlRKtE_EESM_SQ_SR_mSS_SV_bEUlT_E_NS1_11comp_targetILNS1_3genE3ELNS1_11target_archE908ELNS1_3gpuE7ELNS1_3repE0EEENS1_30default_config_static_selectorELNS0_4arch9wavefront6targetE1EEEvSP_.kd
    .uniform_work_group_size: 1
    .uses_dynamic_stack: false
    .vgpr_count:     0
    .vgpr_spill_count: 0
    .wavefront_size: 64
  - .agpr_count:     0
    .args:
      - .offset:         0
        .size:           56
        .value_kind:     by_value
    .group_segment_fixed_size: 0
    .kernarg_segment_align: 8
    .kernarg_segment_size: 56
    .language:       OpenCL C
    .language_version:
      - 2
      - 0
    .max_flat_workgroup_size: 256
    .name:           _ZN7rocprim17ROCPRIM_400000_NS6detail17trampoline_kernelINS0_14default_configENS1_27lower_bound_config_selectorItiEEZNS1_14transform_implILb0ES3_S5_N6thrust23THRUST_200600_302600_NS6detail15normal_iteratorINS8_10device_ptrItEEEENSA_INSB_IiEEEEZNS1_13binary_searchIS3_S5_SD_SD_SF_NS1_21lower_bound_search_opENS9_16wrapped_functionINS0_4lessIvEEbEEEE10hipError_tPvRmT1_T2_T3_mmT4_T5_P12ihipStream_tbEUlRKtE_EESM_SQ_SR_mSS_SV_bEUlT_E_NS1_11comp_targetILNS1_3genE2ELNS1_11target_archE906ELNS1_3gpuE6ELNS1_3repE0EEENS1_30default_config_static_selectorELNS0_4arch9wavefront6targetE1EEEvSP_
    .private_segment_fixed_size: 0
    .sgpr_count:     4
    .sgpr_spill_count: 0
    .symbol:         _ZN7rocprim17ROCPRIM_400000_NS6detail17trampoline_kernelINS0_14default_configENS1_27lower_bound_config_selectorItiEEZNS1_14transform_implILb0ES3_S5_N6thrust23THRUST_200600_302600_NS6detail15normal_iteratorINS8_10device_ptrItEEEENSA_INSB_IiEEEEZNS1_13binary_searchIS3_S5_SD_SD_SF_NS1_21lower_bound_search_opENS9_16wrapped_functionINS0_4lessIvEEbEEEE10hipError_tPvRmT1_T2_T3_mmT4_T5_P12ihipStream_tbEUlRKtE_EESM_SQ_SR_mSS_SV_bEUlT_E_NS1_11comp_targetILNS1_3genE2ELNS1_11target_archE906ELNS1_3gpuE6ELNS1_3repE0EEENS1_30default_config_static_selectorELNS0_4arch9wavefront6targetE1EEEvSP_.kd
    .uniform_work_group_size: 1
    .uses_dynamic_stack: false
    .vgpr_count:     0
    .vgpr_spill_count: 0
    .wavefront_size: 64
  - .agpr_count:     0
    .args:
      - .offset:         0
        .size:           56
        .value_kind:     by_value
    .group_segment_fixed_size: 0
    .kernarg_segment_align: 8
    .kernarg_segment_size: 56
    .language:       OpenCL C
    .language_version:
      - 2
      - 0
    .max_flat_workgroup_size: 256
    .name:           _ZN7rocprim17ROCPRIM_400000_NS6detail17trampoline_kernelINS0_14default_configENS1_27lower_bound_config_selectorItiEEZNS1_14transform_implILb0ES3_S5_N6thrust23THRUST_200600_302600_NS6detail15normal_iteratorINS8_10device_ptrItEEEENSA_INSB_IiEEEEZNS1_13binary_searchIS3_S5_SD_SD_SF_NS1_21lower_bound_search_opENS9_16wrapped_functionINS0_4lessIvEEbEEEE10hipError_tPvRmT1_T2_T3_mmT4_T5_P12ihipStream_tbEUlRKtE_EESM_SQ_SR_mSS_SV_bEUlT_E_NS1_11comp_targetILNS1_3genE10ELNS1_11target_archE1201ELNS1_3gpuE5ELNS1_3repE0EEENS1_30default_config_static_selectorELNS0_4arch9wavefront6targetE1EEEvSP_
    .private_segment_fixed_size: 0
    .sgpr_count:     4
    .sgpr_spill_count: 0
    .symbol:         _ZN7rocprim17ROCPRIM_400000_NS6detail17trampoline_kernelINS0_14default_configENS1_27lower_bound_config_selectorItiEEZNS1_14transform_implILb0ES3_S5_N6thrust23THRUST_200600_302600_NS6detail15normal_iteratorINS8_10device_ptrItEEEENSA_INSB_IiEEEEZNS1_13binary_searchIS3_S5_SD_SD_SF_NS1_21lower_bound_search_opENS9_16wrapped_functionINS0_4lessIvEEbEEEE10hipError_tPvRmT1_T2_T3_mmT4_T5_P12ihipStream_tbEUlRKtE_EESM_SQ_SR_mSS_SV_bEUlT_E_NS1_11comp_targetILNS1_3genE10ELNS1_11target_archE1201ELNS1_3gpuE5ELNS1_3repE0EEENS1_30default_config_static_selectorELNS0_4arch9wavefront6targetE1EEEvSP_.kd
    .uniform_work_group_size: 1
    .uses_dynamic_stack: false
    .vgpr_count:     0
    .vgpr_spill_count: 0
    .wavefront_size: 64
  - .agpr_count:     0
    .args:
      - .offset:         0
        .size:           56
        .value_kind:     by_value
    .group_segment_fixed_size: 0
    .kernarg_segment_align: 8
    .kernarg_segment_size: 56
    .language:       OpenCL C
    .language_version:
      - 2
      - 0
    .max_flat_workgroup_size: 256
    .name:           _ZN7rocprim17ROCPRIM_400000_NS6detail17trampoline_kernelINS0_14default_configENS1_27lower_bound_config_selectorItiEEZNS1_14transform_implILb0ES3_S5_N6thrust23THRUST_200600_302600_NS6detail15normal_iteratorINS8_10device_ptrItEEEENSA_INSB_IiEEEEZNS1_13binary_searchIS3_S5_SD_SD_SF_NS1_21lower_bound_search_opENS9_16wrapped_functionINS0_4lessIvEEbEEEE10hipError_tPvRmT1_T2_T3_mmT4_T5_P12ihipStream_tbEUlRKtE_EESM_SQ_SR_mSS_SV_bEUlT_E_NS1_11comp_targetILNS1_3genE10ELNS1_11target_archE1200ELNS1_3gpuE4ELNS1_3repE0EEENS1_30default_config_static_selectorELNS0_4arch9wavefront6targetE1EEEvSP_
    .private_segment_fixed_size: 0
    .sgpr_count:     4
    .sgpr_spill_count: 0
    .symbol:         _ZN7rocprim17ROCPRIM_400000_NS6detail17trampoline_kernelINS0_14default_configENS1_27lower_bound_config_selectorItiEEZNS1_14transform_implILb0ES3_S5_N6thrust23THRUST_200600_302600_NS6detail15normal_iteratorINS8_10device_ptrItEEEENSA_INSB_IiEEEEZNS1_13binary_searchIS3_S5_SD_SD_SF_NS1_21lower_bound_search_opENS9_16wrapped_functionINS0_4lessIvEEbEEEE10hipError_tPvRmT1_T2_T3_mmT4_T5_P12ihipStream_tbEUlRKtE_EESM_SQ_SR_mSS_SV_bEUlT_E_NS1_11comp_targetILNS1_3genE10ELNS1_11target_archE1200ELNS1_3gpuE4ELNS1_3repE0EEENS1_30default_config_static_selectorELNS0_4arch9wavefront6targetE1EEEvSP_.kd
    .uniform_work_group_size: 1
    .uses_dynamic_stack: false
    .vgpr_count:     0
    .vgpr_spill_count: 0
    .wavefront_size: 64
  - .agpr_count:     0
    .args:
      - .offset:         0
        .size:           56
        .value_kind:     by_value
    .group_segment_fixed_size: 0
    .kernarg_segment_align: 8
    .kernarg_segment_size: 56
    .language:       OpenCL C
    .language_version:
      - 2
      - 0
    .max_flat_workgroup_size: 64
    .name:           _ZN7rocprim17ROCPRIM_400000_NS6detail17trampoline_kernelINS0_14default_configENS1_27lower_bound_config_selectorItiEEZNS1_14transform_implILb0ES3_S5_N6thrust23THRUST_200600_302600_NS6detail15normal_iteratorINS8_10device_ptrItEEEENSA_INSB_IiEEEEZNS1_13binary_searchIS3_S5_SD_SD_SF_NS1_21lower_bound_search_opENS9_16wrapped_functionINS0_4lessIvEEbEEEE10hipError_tPvRmT1_T2_T3_mmT4_T5_P12ihipStream_tbEUlRKtE_EESM_SQ_SR_mSS_SV_bEUlT_E_NS1_11comp_targetILNS1_3genE9ELNS1_11target_archE1100ELNS1_3gpuE3ELNS1_3repE0EEENS1_30default_config_static_selectorELNS0_4arch9wavefront6targetE1EEEvSP_
    .private_segment_fixed_size: 0
    .sgpr_count:     4
    .sgpr_spill_count: 0
    .symbol:         _ZN7rocprim17ROCPRIM_400000_NS6detail17trampoline_kernelINS0_14default_configENS1_27lower_bound_config_selectorItiEEZNS1_14transform_implILb0ES3_S5_N6thrust23THRUST_200600_302600_NS6detail15normal_iteratorINS8_10device_ptrItEEEENSA_INSB_IiEEEEZNS1_13binary_searchIS3_S5_SD_SD_SF_NS1_21lower_bound_search_opENS9_16wrapped_functionINS0_4lessIvEEbEEEE10hipError_tPvRmT1_T2_T3_mmT4_T5_P12ihipStream_tbEUlRKtE_EESM_SQ_SR_mSS_SV_bEUlT_E_NS1_11comp_targetILNS1_3genE9ELNS1_11target_archE1100ELNS1_3gpuE3ELNS1_3repE0EEENS1_30default_config_static_selectorELNS0_4arch9wavefront6targetE1EEEvSP_.kd
    .uniform_work_group_size: 1
    .uses_dynamic_stack: false
    .vgpr_count:     0
    .vgpr_spill_count: 0
    .wavefront_size: 64
  - .agpr_count:     0
    .args:
      - .offset:         0
        .size:           56
        .value_kind:     by_value
    .group_segment_fixed_size: 0
    .kernarg_segment_align: 8
    .kernarg_segment_size: 56
    .language:       OpenCL C
    .language_version:
      - 2
      - 0
    .max_flat_workgroup_size: 128
    .name:           _ZN7rocprim17ROCPRIM_400000_NS6detail17trampoline_kernelINS0_14default_configENS1_27lower_bound_config_selectorItiEEZNS1_14transform_implILb0ES3_S5_N6thrust23THRUST_200600_302600_NS6detail15normal_iteratorINS8_10device_ptrItEEEENSA_INSB_IiEEEEZNS1_13binary_searchIS3_S5_SD_SD_SF_NS1_21lower_bound_search_opENS9_16wrapped_functionINS0_4lessIvEEbEEEE10hipError_tPvRmT1_T2_T3_mmT4_T5_P12ihipStream_tbEUlRKtE_EESM_SQ_SR_mSS_SV_bEUlT_E_NS1_11comp_targetILNS1_3genE8ELNS1_11target_archE1030ELNS1_3gpuE2ELNS1_3repE0EEENS1_30default_config_static_selectorELNS0_4arch9wavefront6targetE1EEEvSP_
    .private_segment_fixed_size: 0
    .sgpr_count:     4
    .sgpr_spill_count: 0
    .symbol:         _ZN7rocprim17ROCPRIM_400000_NS6detail17trampoline_kernelINS0_14default_configENS1_27lower_bound_config_selectorItiEEZNS1_14transform_implILb0ES3_S5_N6thrust23THRUST_200600_302600_NS6detail15normal_iteratorINS8_10device_ptrItEEEENSA_INSB_IiEEEEZNS1_13binary_searchIS3_S5_SD_SD_SF_NS1_21lower_bound_search_opENS9_16wrapped_functionINS0_4lessIvEEbEEEE10hipError_tPvRmT1_T2_T3_mmT4_T5_P12ihipStream_tbEUlRKtE_EESM_SQ_SR_mSS_SV_bEUlT_E_NS1_11comp_targetILNS1_3genE8ELNS1_11target_archE1030ELNS1_3gpuE2ELNS1_3repE0EEENS1_30default_config_static_selectorELNS0_4arch9wavefront6targetE1EEEvSP_.kd
    .uniform_work_group_size: 1
    .uses_dynamic_stack: false
    .vgpr_count:     0
    .vgpr_spill_count: 0
    .wavefront_size: 64
  - .agpr_count:     0
    .args:
      - .offset:         0
        .size:           24
        .value_kind:     by_value
      - .offset:         24
        .size:           8
        .value_kind:     by_value
      - .offset:         32
        .size:           8
        .value_kind:     by_value
    .group_segment_fixed_size: 0
    .kernarg_segment_align: 8
    .kernarg_segment_size: 40
    .language:       OpenCL C
    .language_version:
      - 2
      - 0
    .max_flat_workgroup_size: 256
    .name:           _ZN6thrust23THRUST_200600_302600_NS11hip_rocprim14__parallel_for6kernelILj256ENS1_10__tabulate7functorINS0_6detail15normal_iteratorINS0_10device_ptrIxEEEENS0_6system6detail7generic6detail22compute_sequence_valueIxvEElEElLj1EEEvT0_T1_SJ_
    .private_segment_fixed_size: 0
    .sgpr_count:     16
    .sgpr_spill_count: 0
    .symbol:         _ZN6thrust23THRUST_200600_302600_NS11hip_rocprim14__parallel_for6kernelILj256ENS1_10__tabulate7functorINS0_6detail15normal_iteratorINS0_10device_ptrIxEEEENS0_6system6detail7generic6detail22compute_sequence_valueIxvEElEElLj1EEEvT0_T1_SJ_.kd
    .uniform_work_group_size: 1
    .uses_dynamic_stack: false
    .vgpr_count:     6
    .vgpr_spill_count: 0
    .wavefront_size: 64
  - .agpr_count:     0
    .args:
      - .offset:         0
        .size:           56
        .value_kind:     by_value
    .group_segment_fixed_size: 0
    .kernarg_segment_align: 8
    .kernarg_segment_size: 56
    .language:       OpenCL C
    .language_version:
      - 2
      - 0
    .max_flat_workgroup_size: 256
    .name:           _ZN7rocprim17ROCPRIM_400000_NS6detail17trampoline_kernelINS0_14default_configENS1_27lower_bound_config_selectorIxiEEZNS1_14transform_implILb0ES3_S5_N6thrust23THRUST_200600_302600_NS6detail15normal_iteratorINS8_10device_ptrIxEEEENSA_INSB_IiEEEEZNS1_13binary_searchIS3_S5_SD_SD_SF_NS1_21lower_bound_search_opENS9_16wrapped_functionINS0_4lessIvEEbEEEE10hipError_tPvRmT1_T2_T3_mmT4_T5_P12ihipStream_tbEUlRKxE_EESM_SQ_SR_mSS_SV_bEUlT_E_NS1_11comp_targetILNS1_3genE0ELNS1_11target_archE4294967295ELNS1_3gpuE0ELNS1_3repE0EEENS1_30default_config_static_selectorELNS0_4arch9wavefront6targetE1EEEvSP_
    .private_segment_fixed_size: 0
    .sgpr_count:     4
    .sgpr_spill_count: 0
    .symbol:         _ZN7rocprim17ROCPRIM_400000_NS6detail17trampoline_kernelINS0_14default_configENS1_27lower_bound_config_selectorIxiEEZNS1_14transform_implILb0ES3_S5_N6thrust23THRUST_200600_302600_NS6detail15normal_iteratorINS8_10device_ptrIxEEEENSA_INSB_IiEEEEZNS1_13binary_searchIS3_S5_SD_SD_SF_NS1_21lower_bound_search_opENS9_16wrapped_functionINS0_4lessIvEEbEEEE10hipError_tPvRmT1_T2_T3_mmT4_T5_P12ihipStream_tbEUlRKxE_EESM_SQ_SR_mSS_SV_bEUlT_E_NS1_11comp_targetILNS1_3genE0ELNS1_11target_archE4294967295ELNS1_3gpuE0ELNS1_3repE0EEENS1_30default_config_static_selectorELNS0_4arch9wavefront6targetE1EEEvSP_.kd
    .uniform_work_group_size: 1
    .uses_dynamic_stack: false
    .vgpr_count:     0
    .vgpr_spill_count: 0
    .wavefront_size: 64
  - .agpr_count:     0
    .args:
      - .offset:         0
        .size:           56
        .value_kind:     by_value
    .group_segment_fixed_size: 0
    .kernarg_segment_align: 8
    .kernarg_segment_size: 56
    .language:       OpenCL C
    .language_version:
      - 2
      - 0
    .max_flat_workgroup_size: 64
    .name:           _ZN7rocprim17ROCPRIM_400000_NS6detail17trampoline_kernelINS0_14default_configENS1_27lower_bound_config_selectorIxiEEZNS1_14transform_implILb0ES3_S5_N6thrust23THRUST_200600_302600_NS6detail15normal_iteratorINS8_10device_ptrIxEEEENSA_INSB_IiEEEEZNS1_13binary_searchIS3_S5_SD_SD_SF_NS1_21lower_bound_search_opENS9_16wrapped_functionINS0_4lessIvEEbEEEE10hipError_tPvRmT1_T2_T3_mmT4_T5_P12ihipStream_tbEUlRKxE_EESM_SQ_SR_mSS_SV_bEUlT_E_NS1_11comp_targetILNS1_3genE5ELNS1_11target_archE942ELNS1_3gpuE9ELNS1_3repE0EEENS1_30default_config_static_selectorELNS0_4arch9wavefront6targetE1EEEvSP_
    .private_segment_fixed_size: 0
    .sgpr_count:     4
    .sgpr_spill_count: 0
    .symbol:         _ZN7rocprim17ROCPRIM_400000_NS6detail17trampoline_kernelINS0_14default_configENS1_27lower_bound_config_selectorIxiEEZNS1_14transform_implILb0ES3_S5_N6thrust23THRUST_200600_302600_NS6detail15normal_iteratorINS8_10device_ptrIxEEEENSA_INSB_IiEEEEZNS1_13binary_searchIS3_S5_SD_SD_SF_NS1_21lower_bound_search_opENS9_16wrapped_functionINS0_4lessIvEEbEEEE10hipError_tPvRmT1_T2_T3_mmT4_T5_P12ihipStream_tbEUlRKxE_EESM_SQ_SR_mSS_SV_bEUlT_E_NS1_11comp_targetILNS1_3genE5ELNS1_11target_archE942ELNS1_3gpuE9ELNS1_3repE0EEENS1_30default_config_static_selectorELNS0_4arch9wavefront6targetE1EEEvSP_.kd
    .uniform_work_group_size: 1
    .uses_dynamic_stack: false
    .vgpr_count:     0
    .vgpr_spill_count: 0
    .wavefront_size: 64
  - .agpr_count:     0
    .args:
      - .offset:         0
        .size:           56
        .value_kind:     by_value
      - .offset:         56
        .size:           4
        .value_kind:     hidden_block_count_x
      - .offset:         60
        .size:           4
        .value_kind:     hidden_block_count_y
      - .offset:         64
        .size:           4
        .value_kind:     hidden_block_count_z
      - .offset:         68
        .size:           2
        .value_kind:     hidden_group_size_x
      - .offset:         70
        .size:           2
        .value_kind:     hidden_group_size_y
      - .offset:         72
        .size:           2
        .value_kind:     hidden_group_size_z
      - .offset:         74
        .size:           2
        .value_kind:     hidden_remainder_x
      - .offset:         76
        .size:           2
        .value_kind:     hidden_remainder_y
      - .offset:         78
        .size:           2
        .value_kind:     hidden_remainder_z
      - .offset:         96
        .size:           8
        .value_kind:     hidden_global_offset_x
      - .offset:         104
        .size:           8
        .value_kind:     hidden_global_offset_y
      - .offset:         112
        .size:           8
        .value_kind:     hidden_global_offset_z
      - .offset:         120
        .size:           2
        .value_kind:     hidden_grid_dims
    .group_segment_fixed_size: 0
    .kernarg_segment_align: 8
    .kernarg_segment_size: 312
    .language:       OpenCL C
    .language_version:
      - 2
      - 0
    .max_flat_workgroup_size: 64
    .name:           _ZN7rocprim17ROCPRIM_400000_NS6detail17trampoline_kernelINS0_14default_configENS1_27lower_bound_config_selectorIxiEEZNS1_14transform_implILb0ES3_S5_N6thrust23THRUST_200600_302600_NS6detail15normal_iteratorINS8_10device_ptrIxEEEENSA_INSB_IiEEEEZNS1_13binary_searchIS3_S5_SD_SD_SF_NS1_21lower_bound_search_opENS9_16wrapped_functionINS0_4lessIvEEbEEEE10hipError_tPvRmT1_T2_T3_mmT4_T5_P12ihipStream_tbEUlRKxE_EESM_SQ_SR_mSS_SV_bEUlT_E_NS1_11comp_targetILNS1_3genE4ELNS1_11target_archE910ELNS1_3gpuE8ELNS1_3repE0EEENS1_30default_config_static_selectorELNS0_4arch9wavefront6targetE1EEEvSP_
    .private_segment_fixed_size: 0
    .sgpr_count:     24
    .sgpr_spill_count: 0
    .symbol:         _ZN7rocprim17ROCPRIM_400000_NS6detail17trampoline_kernelINS0_14default_configENS1_27lower_bound_config_selectorIxiEEZNS1_14transform_implILb0ES3_S5_N6thrust23THRUST_200600_302600_NS6detail15normal_iteratorINS8_10device_ptrIxEEEENSA_INSB_IiEEEEZNS1_13binary_searchIS3_S5_SD_SD_SF_NS1_21lower_bound_search_opENS9_16wrapped_functionINS0_4lessIvEEbEEEE10hipError_tPvRmT1_T2_T3_mmT4_T5_P12ihipStream_tbEUlRKxE_EESM_SQ_SR_mSS_SV_bEUlT_E_NS1_11comp_targetILNS1_3genE4ELNS1_11target_archE910ELNS1_3gpuE8ELNS1_3repE0EEENS1_30default_config_static_selectorELNS0_4arch9wavefront6targetE1EEEvSP_.kd
    .uniform_work_group_size: 1
    .uses_dynamic_stack: false
    .vgpr_count:     14
    .vgpr_spill_count: 0
    .wavefront_size: 64
  - .agpr_count:     0
    .args:
      - .offset:         0
        .size:           56
        .value_kind:     by_value
    .group_segment_fixed_size: 0
    .kernarg_segment_align: 8
    .kernarg_segment_size: 56
    .language:       OpenCL C
    .language_version:
      - 2
      - 0
    .max_flat_workgroup_size: 256
    .name:           _ZN7rocprim17ROCPRIM_400000_NS6detail17trampoline_kernelINS0_14default_configENS1_27lower_bound_config_selectorIxiEEZNS1_14transform_implILb0ES3_S5_N6thrust23THRUST_200600_302600_NS6detail15normal_iteratorINS8_10device_ptrIxEEEENSA_INSB_IiEEEEZNS1_13binary_searchIS3_S5_SD_SD_SF_NS1_21lower_bound_search_opENS9_16wrapped_functionINS0_4lessIvEEbEEEE10hipError_tPvRmT1_T2_T3_mmT4_T5_P12ihipStream_tbEUlRKxE_EESM_SQ_SR_mSS_SV_bEUlT_E_NS1_11comp_targetILNS1_3genE3ELNS1_11target_archE908ELNS1_3gpuE7ELNS1_3repE0EEENS1_30default_config_static_selectorELNS0_4arch9wavefront6targetE1EEEvSP_
    .private_segment_fixed_size: 0
    .sgpr_count:     4
    .sgpr_spill_count: 0
    .symbol:         _ZN7rocprim17ROCPRIM_400000_NS6detail17trampoline_kernelINS0_14default_configENS1_27lower_bound_config_selectorIxiEEZNS1_14transform_implILb0ES3_S5_N6thrust23THRUST_200600_302600_NS6detail15normal_iteratorINS8_10device_ptrIxEEEENSA_INSB_IiEEEEZNS1_13binary_searchIS3_S5_SD_SD_SF_NS1_21lower_bound_search_opENS9_16wrapped_functionINS0_4lessIvEEbEEEE10hipError_tPvRmT1_T2_T3_mmT4_T5_P12ihipStream_tbEUlRKxE_EESM_SQ_SR_mSS_SV_bEUlT_E_NS1_11comp_targetILNS1_3genE3ELNS1_11target_archE908ELNS1_3gpuE7ELNS1_3repE0EEENS1_30default_config_static_selectorELNS0_4arch9wavefront6targetE1EEEvSP_.kd
    .uniform_work_group_size: 1
    .uses_dynamic_stack: false
    .vgpr_count:     0
    .vgpr_spill_count: 0
    .wavefront_size: 64
  - .agpr_count:     0
    .args:
      - .offset:         0
        .size:           56
        .value_kind:     by_value
    .group_segment_fixed_size: 0
    .kernarg_segment_align: 8
    .kernarg_segment_size: 56
    .language:       OpenCL C
    .language_version:
      - 2
      - 0
    .max_flat_workgroup_size: 256
    .name:           _ZN7rocprim17ROCPRIM_400000_NS6detail17trampoline_kernelINS0_14default_configENS1_27lower_bound_config_selectorIxiEEZNS1_14transform_implILb0ES3_S5_N6thrust23THRUST_200600_302600_NS6detail15normal_iteratorINS8_10device_ptrIxEEEENSA_INSB_IiEEEEZNS1_13binary_searchIS3_S5_SD_SD_SF_NS1_21lower_bound_search_opENS9_16wrapped_functionINS0_4lessIvEEbEEEE10hipError_tPvRmT1_T2_T3_mmT4_T5_P12ihipStream_tbEUlRKxE_EESM_SQ_SR_mSS_SV_bEUlT_E_NS1_11comp_targetILNS1_3genE2ELNS1_11target_archE906ELNS1_3gpuE6ELNS1_3repE0EEENS1_30default_config_static_selectorELNS0_4arch9wavefront6targetE1EEEvSP_
    .private_segment_fixed_size: 0
    .sgpr_count:     4
    .sgpr_spill_count: 0
    .symbol:         _ZN7rocprim17ROCPRIM_400000_NS6detail17trampoline_kernelINS0_14default_configENS1_27lower_bound_config_selectorIxiEEZNS1_14transform_implILb0ES3_S5_N6thrust23THRUST_200600_302600_NS6detail15normal_iteratorINS8_10device_ptrIxEEEENSA_INSB_IiEEEEZNS1_13binary_searchIS3_S5_SD_SD_SF_NS1_21lower_bound_search_opENS9_16wrapped_functionINS0_4lessIvEEbEEEE10hipError_tPvRmT1_T2_T3_mmT4_T5_P12ihipStream_tbEUlRKxE_EESM_SQ_SR_mSS_SV_bEUlT_E_NS1_11comp_targetILNS1_3genE2ELNS1_11target_archE906ELNS1_3gpuE6ELNS1_3repE0EEENS1_30default_config_static_selectorELNS0_4arch9wavefront6targetE1EEEvSP_.kd
    .uniform_work_group_size: 1
    .uses_dynamic_stack: false
    .vgpr_count:     0
    .vgpr_spill_count: 0
    .wavefront_size: 64
  - .agpr_count:     0
    .args:
      - .offset:         0
        .size:           56
        .value_kind:     by_value
    .group_segment_fixed_size: 0
    .kernarg_segment_align: 8
    .kernarg_segment_size: 56
    .language:       OpenCL C
    .language_version:
      - 2
      - 0
    .max_flat_workgroup_size: 128
    .name:           _ZN7rocprim17ROCPRIM_400000_NS6detail17trampoline_kernelINS0_14default_configENS1_27lower_bound_config_selectorIxiEEZNS1_14transform_implILb0ES3_S5_N6thrust23THRUST_200600_302600_NS6detail15normal_iteratorINS8_10device_ptrIxEEEENSA_INSB_IiEEEEZNS1_13binary_searchIS3_S5_SD_SD_SF_NS1_21lower_bound_search_opENS9_16wrapped_functionINS0_4lessIvEEbEEEE10hipError_tPvRmT1_T2_T3_mmT4_T5_P12ihipStream_tbEUlRKxE_EESM_SQ_SR_mSS_SV_bEUlT_E_NS1_11comp_targetILNS1_3genE10ELNS1_11target_archE1201ELNS1_3gpuE5ELNS1_3repE0EEENS1_30default_config_static_selectorELNS0_4arch9wavefront6targetE1EEEvSP_
    .private_segment_fixed_size: 0
    .sgpr_count:     4
    .sgpr_spill_count: 0
    .symbol:         _ZN7rocprim17ROCPRIM_400000_NS6detail17trampoline_kernelINS0_14default_configENS1_27lower_bound_config_selectorIxiEEZNS1_14transform_implILb0ES3_S5_N6thrust23THRUST_200600_302600_NS6detail15normal_iteratorINS8_10device_ptrIxEEEENSA_INSB_IiEEEEZNS1_13binary_searchIS3_S5_SD_SD_SF_NS1_21lower_bound_search_opENS9_16wrapped_functionINS0_4lessIvEEbEEEE10hipError_tPvRmT1_T2_T3_mmT4_T5_P12ihipStream_tbEUlRKxE_EESM_SQ_SR_mSS_SV_bEUlT_E_NS1_11comp_targetILNS1_3genE10ELNS1_11target_archE1201ELNS1_3gpuE5ELNS1_3repE0EEENS1_30default_config_static_selectorELNS0_4arch9wavefront6targetE1EEEvSP_.kd
    .uniform_work_group_size: 1
    .uses_dynamic_stack: false
    .vgpr_count:     0
    .vgpr_spill_count: 0
    .wavefront_size: 64
  - .agpr_count:     0
    .args:
      - .offset:         0
        .size:           56
        .value_kind:     by_value
    .group_segment_fixed_size: 0
    .kernarg_segment_align: 8
    .kernarg_segment_size: 56
    .language:       OpenCL C
    .language_version:
      - 2
      - 0
    .max_flat_workgroup_size: 128
    .name:           _ZN7rocprim17ROCPRIM_400000_NS6detail17trampoline_kernelINS0_14default_configENS1_27lower_bound_config_selectorIxiEEZNS1_14transform_implILb0ES3_S5_N6thrust23THRUST_200600_302600_NS6detail15normal_iteratorINS8_10device_ptrIxEEEENSA_INSB_IiEEEEZNS1_13binary_searchIS3_S5_SD_SD_SF_NS1_21lower_bound_search_opENS9_16wrapped_functionINS0_4lessIvEEbEEEE10hipError_tPvRmT1_T2_T3_mmT4_T5_P12ihipStream_tbEUlRKxE_EESM_SQ_SR_mSS_SV_bEUlT_E_NS1_11comp_targetILNS1_3genE10ELNS1_11target_archE1200ELNS1_3gpuE4ELNS1_3repE0EEENS1_30default_config_static_selectorELNS0_4arch9wavefront6targetE1EEEvSP_
    .private_segment_fixed_size: 0
    .sgpr_count:     4
    .sgpr_spill_count: 0
    .symbol:         _ZN7rocprim17ROCPRIM_400000_NS6detail17trampoline_kernelINS0_14default_configENS1_27lower_bound_config_selectorIxiEEZNS1_14transform_implILb0ES3_S5_N6thrust23THRUST_200600_302600_NS6detail15normal_iteratorINS8_10device_ptrIxEEEENSA_INSB_IiEEEEZNS1_13binary_searchIS3_S5_SD_SD_SF_NS1_21lower_bound_search_opENS9_16wrapped_functionINS0_4lessIvEEbEEEE10hipError_tPvRmT1_T2_T3_mmT4_T5_P12ihipStream_tbEUlRKxE_EESM_SQ_SR_mSS_SV_bEUlT_E_NS1_11comp_targetILNS1_3genE10ELNS1_11target_archE1200ELNS1_3gpuE4ELNS1_3repE0EEENS1_30default_config_static_selectorELNS0_4arch9wavefront6targetE1EEEvSP_.kd
    .uniform_work_group_size: 1
    .uses_dynamic_stack: false
    .vgpr_count:     0
    .vgpr_spill_count: 0
    .wavefront_size: 64
  - .agpr_count:     0
    .args:
      - .offset:         0
        .size:           56
        .value_kind:     by_value
    .group_segment_fixed_size: 0
    .kernarg_segment_align: 8
    .kernarg_segment_size: 56
    .language:       OpenCL C
    .language_version:
      - 2
      - 0
    .max_flat_workgroup_size: 64
    .name:           _ZN7rocprim17ROCPRIM_400000_NS6detail17trampoline_kernelINS0_14default_configENS1_27lower_bound_config_selectorIxiEEZNS1_14transform_implILb0ES3_S5_N6thrust23THRUST_200600_302600_NS6detail15normal_iteratorINS8_10device_ptrIxEEEENSA_INSB_IiEEEEZNS1_13binary_searchIS3_S5_SD_SD_SF_NS1_21lower_bound_search_opENS9_16wrapped_functionINS0_4lessIvEEbEEEE10hipError_tPvRmT1_T2_T3_mmT4_T5_P12ihipStream_tbEUlRKxE_EESM_SQ_SR_mSS_SV_bEUlT_E_NS1_11comp_targetILNS1_3genE9ELNS1_11target_archE1100ELNS1_3gpuE3ELNS1_3repE0EEENS1_30default_config_static_selectorELNS0_4arch9wavefront6targetE1EEEvSP_
    .private_segment_fixed_size: 0
    .sgpr_count:     4
    .sgpr_spill_count: 0
    .symbol:         _ZN7rocprim17ROCPRIM_400000_NS6detail17trampoline_kernelINS0_14default_configENS1_27lower_bound_config_selectorIxiEEZNS1_14transform_implILb0ES3_S5_N6thrust23THRUST_200600_302600_NS6detail15normal_iteratorINS8_10device_ptrIxEEEENSA_INSB_IiEEEEZNS1_13binary_searchIS3_S5_SD_SD_SF_NS1_21lower_bound_search_opENS9_16wrapped_functionINS0_4lessIvEEbEEEE10hipError_tPvRmT1_T2_T3_mmT4_T5_P12ihipStream_tbEUlRKxE_EESM_SQ_SR_mSS_SV_bEUlT_E_NS1_11comp_targetILNS1_3genE9ELNS1_11target_archE1100ELNS1_3gpuE3ELNS1_3repE0EEENS1_30default_config_static_selectorELNS0_4arch9wavefront6targetE1EEEvSP_.kd
    .uniform_work_group_size: 1
    .uses_dynamic_stack: false
    .vgpr_count:     0
    .vgpr_spill_count: 0
    .wavefront_size: 64
  - .agpr_count:     0
    .args:
      - .offset:         0
        .size:           56
        .value_kind:     by_value
    .group_segment_fixed_size: 0
    .kernarg_segment_align: 8
    .kernarg_segment_size: 56
    .language:       OpenCL C
    .language_version:
      - 2
      - 0
    .max_flat_workgroup_size: 256
    .name:           _ZN7rocprim17ROCPRIM_400000_NS6detail17trampoline_kernelINS0_14default_configENS1_27lower_bound_config_selectorIxiEEZNS1_14transform_implILb0ES3_S5_N6thrust23THRUST_200600_302600_NS6detail15normal_iteratorINS8_10device_ptrIxEEEENSA_INSB_IiEEEEZNS1_13binary_searchIS3_S5_SD_SD_SF_NS1_21lower_bound_search_opENS9_16wrapped_functionINS0_4lessIvEEbEEEE10hipError_tPvRmT1_T2_T3_mmT4_T5_P12ihipStream_tbEUlRKxE_EESM_SQ_SR_mSS_SV_bEUlT_E_NS1_11comp_targetILNS1_3genE8ELNS1_11target_archE1030ELNS1_3gpuE2ELNS1_3repE0EEENS1_30default_config_static_selectorELNS0_4arch9wavefront6targetE1EEEvSP_
    .private_segment_fixed_size: 0
    .sgpr_count:     4
    .sgpr_spill_count: 0
    .symbol:         _ZN7rocprim17ROCPRIM_400000_NS6detail17trampoline_kernelINS0_14default_configENS1_27lower_bound_config_selectorIxiEEZNS1_14transform_implILb0ES3_S5_N6thrust23THRUST_200600_302600_NS6detail15normal_iteratorINS8_10device_ptrIxEEEENSA_INSB_IiEEEEZNS1_13binary_searchIS3_S5_SD_SD_SF_NS1_21lower_bound_search_opENS9_16wrapped_functionINS0_4lessIvEEbEEEE10hipError_tPvRmT1_T2_T3_mmT4_T5_P12ihipStream_tbEUlRKxE_EESM_SQ_SR_mSS_SV_bEUlT_E_NS1_11comp_targetILNS1_3genE8ELNS1_11target_archE1030ELNS1_3gpuE2ELNS1_3repE0EEENS1_30default_config_static_selectorELNS0_4arch9wavefront6targetE1EEEvSP_.kd
    .uniform_work_group_size: 1
    .uses_dynamic_stack: false
    .vgpr_count:     0
    .vgpr_spill_count: 0
    .wavefront_size: 64
  - .agpr_count:     0
    .args:
      - .offset:         0
        .size:           16
        .value_kind:     by_value
      - .offset:         16
        .size:           8
        .value_kind:     by_value
      - .offset:         24
        .size:           8
        .value_kind:     by_value
    .group_segment_fixed_size: 0
    .kernarg_segment_align: 8
    .kernarg_segment_size: 32
    .language:       OpenCL C
    .language_version:
      - 2
      - 0
    .max_flat_workgroup_size: 256
    .name:           _ZN6thrust23THRUST_200600_302600_NS11hip_rocprim14__parallel_for6kernelILj256ENS1_10__tabulate7functorINS0_6detail15normal_iteratorINS0_10device_ptrIiEEEENS0_6system6detail7generic6detail22compute_sequence_valueIivEElEElLj1EEEvT0_T1_SJ_
    .private_segment_fixed_size: 0
    .sgpr_count:     16
    .sgpr_spill_count: 0
    .symbol:         _ZN6thrust23THRUST_200600_302600_NS11hip_rocprim14__parallel_for6kernelILj256ENS1_10__tabulate7functorINS0_6detail15normal_iteratorINS0_10device_ptrIiEEEENS0_6system6detail7generic6detail22compute_sequence_valueIivEElEElLj1EEEvT0_T1_SJ_.kd
    .uniform_work_group_size: 1
    .uses_dynamic_stack: false
    .vgpr_count:     4
    .vgpr_spill_count: 0
    .wavefront_size: 64
  - .agpr_count:     0
    .args:
      - .offset:         0
        .size:           56
        .value_kind:     by_value
    .group_segment_fixed_size: 0
    .kernarg_segment_align: 8
    .kernarg_segment_size: 56
    .language:       OpenCL C
    .language_version:
      - 2
      - 0
    .max_flat_workgroup_size: 64
    .name:           _ZN7rocprim17ROCPRIM_400000_NS6detail17trampoline_kernelINS0_14default_configENS1_27lower_bound_config_selectorIiiEEZNS1_14transform_implILb0ES3_S5_N6thrust23THRUST_200600_302600_NS6detail15normal_iteratorINS8_10device_ptrIiEEEESD_ZNS1_13binary_searchIS3_S5_SD_SD_SD_NS1_21lower_bound_search_opENS9_16wrapped_functionINS0_4lessIvEEbEEEE10hipError_tPvRmT1_T2_T3_mmT4_T5_P12ihipStream_tbEUlRKiE_EESK_SO_SP_mSQ_ST_bEUlT_E_NS1_11comp_targetILNS1_3genE0ELNS1_11target_archE4294967295ELNS1_3gpuE0ELNS1_3repE0EEENS1_30default_config_static_selectorELNS0_4arch9wavefront6targetE1EEEvSN_
    .private_segment_fixed_size: 0
    .sgpr_count:     4
    .sgpr_spill_count: 0
    .symbol:         _ZN7rocprim17ROCPRIM_400000_NS6detail17trampoline_kernelINS0_14default_configENS1_27lower_bound_config_selectorIiiEEZNS1_14transform_implILb0ES3_S5_N6thrust23THRUST_200600_302600_NS6detail15normal_iteratorINS8_10device_ptrIiEEEESD_ZNS1_13binary_searchIS3_S5_SD_SD_SD_NS1_21lower_bound_search_opENS9_16wrapped_functionINS0_4lessIvEEbEEEE10hipError_tPvRmT1_T2_T3_mmT4_T5_P12ihipStream_tbEUlRKiE_EESK_SO_SP_mSQ_ST_bEUlT_E_NS1_11comp_targetILNS1_3genE0ELNS1_11target_archE4294967295ELNS1_3gpuE0ELNS1_3repE0EEENS1_30default_config_static_selectorELNS0_4arch9wavefront6targetE1EEEvSN_.kd
    .uniform_work_group_size: 1
    .uses_dynamic_stack: false
    .vgpr_count:     0
    .vgpr_spill_count: 0
    .wavefront_size: 64
  - .agpr_count:     0
    .args:
      - .offset:         0
        .size:           56
        .value_kind:     by_value
    .group_segment_fixed_size: 0
    .kernarg_segment_align: 8
    .kernarg_segment_size: 56
    .language:       OpenCL C
    .language_version:
      - 2
      - 0
    .max_flat_workgroup_size: 256
    .name:           _ZN7rocprim17ROCPRIM_400000_NS6detail17trampoline_kernelINS0_14default_configENS1_27lower_bound_config_selectorIiiEEZNS1_14transform_implILb0ES3_S5_N6thrust23THRUST_200600_302600_NS6detail15normal_iteratorINS8_10device_ptrIiEEEESD_ZNS1_13binary_searchIS3_S5_SD_SD_SD_NS1_21lower_bound_search_opENS9_16wrapped_functionINS0_4lessIvEEbEEEE10hipError_tPvRmT1_T2_T3_mmT4_T5_P12ihipStream_tbEUlRKiE_EESK_SO_SP_mSQ_ST_bEUlT_E_NS1_11comp_targetILNS1_3genE5ELNS1_11target_archE942ELNS1_3gpuE9ELNS1_3repE0EEENS1_30default_config_static_selectorELNS0_4arch9wavefront6targetE1EEEvSN_
    .private_segment_fixed_size: 0
    .sgpr_count:     4
    .sgpr_spill_count: 0
    .symbol:         _ZN7rocprim17ROCPRIM_400000_NS6detail17trampoline_kernelINS0_14default_configENS1_27lower_bound_config_selectorIiiEEZNS1_14transform_implILb0ES3_S5_N6thrust23THRUST_200600_302600_NS6detail15normal_iteratorINS8_10device_ptrIiEEEESD_ZNS1_13binary_searchIS3_S5_SD_SD_SD_NS1_21lower_bound_search_opENS9_16wrapped_functionINS0_4lessIvEEbEEEE10hipError_tPvRmT1_T2_T3_mmT4_T5_P12ihipStream_tbEUlRKiE_EESK_SO_SP_mSQ_ST_bEUlT_E_NS1_11comp_targetILNS1_3genE5ELNS1_11target_archE942ELNS1_3gpuE9ELNS1_3repE0EEENS1_30default_config_static_selectorELNS0_4arch9wavefront6targetE1EEEvSN_.kd
    .uniform_work_group_size: 1
    .uses_dynamic_stack: false
    .vgpr_count:     0
    .vgpr_spill_count: 0
    .wavefront_size: 64
  - .agpr_count:     0
    .args:
      - .offset:         0
        .size:           56
        .value_kind:     by_value
      - .offset:         56
        .size:           4
        .value_kind:     hidden_block_count_x
      - .offset:         60
        .size:           4
        .value_kind:     hidden_block_count_y
      - .offset:         64
        .size:           4
        .value_kind:     hidden_block_count_z
      - .offset:         68
        .size:           2
        .value_kind:     hidden_group_size_x
      - .offset:         70
        .size:           2
        .value_kind:     hidden_group_size_y
      - .offset:         72
        .size:           2
        .value_kind:     hidden_group_size_z
      - .offset:         74
        .size:           2
        .value_kind:     hidden_remainder_x
      - .offset:         76
        .size:           2
        .value_kind:     hidden_remainder_y
      - .offset:         78
        .size:           2
        .value_kind:     hidden_remainder_z
      - .offset:         96
        .size:           8
        .value_kind:     hidden_global_offset_x
      - .offset:         104
        .size:           8
        .value_kind:     hidden_global_offset_y
      - .offset:         112
        .size:           8
        .value_kind:     hidden_global_offset_z
      - .offset:         120
        .size:           2
        .value_kind:     hidden_grid_dims
    .group_segment_fixed_size: 0
    .kernarg_segment_align: 8
    .kernarg_segment_size: 312
    .language:       OpenCL C
    .language_version:
      - 2
      - 0
    .max_flat_workgroup_size: 256
    .name:           _ZN7rocprim17ROCPRIM_400000_NS6detail17trampoline_kernelINS0_14default_configENS1_27lower_bound_config_selectorIiiEEZNS1_14transform_implILb0ES3_S5_N6thrust23THRUST_200600_302600_NS6detail15normal_iteratorINS8_10device_ptrIiEEEESD_ZNS1_13binary_searchIS3_S5_SD_SD_SD_NS1_21lower_bound_search_opENS9_16wrapped_functionINS0_4lessIvEEbEEEE10hipError_tPvRmT1_T2_T3_mmT4_T5_P12ihipStream_tbEUlRKiE_EESK_SO_SP_mSQ_ST_bEUlT_E_NS1_11comp_targetILNS1_3genE4ELNS1_11target_archE910ELNS1_3gpuE8ELNS1_3repE0EEENS1_30default_config_static_selectorELNS0_4arch9wavefront6targetE1EEEvSN_
    .private_segment_fixed_size: 0
    .sgpr_count:     22
    .sgpr_spill_count: 0
    .symbol:         _ZN7rocprim17ROCPRIM_400000_NS6detail17trampoline_kernelINS0_14default_configENS1_27lower_bound_config_selectorIiiEEZNS1_14transform_implILb0ES3_S5_N6thrust23THRUST_200600_302600_NS6detail15normal_iteratorINS8_10device_ptrIiEEEESD_ZNS1_13binary_searchIS3_S5_SD_SD_SD_NS1_21lower_bound_search_opENS9_16wrapped_functionINS0_4lessIvEEbEEEE10hipError_tPvRmT1_T2_T3_mmT4_T5_P12ihipStream_tbEUlRKiE_EESK_SO_SP_mSQ_ST_bEUlT_E_NS1_11comp_targetILNS1_3genE4ELNS1_11target_archE910ELNS1_3gpuE8ELNS1_3repE0EEENS1_30default_config_static_selectorELNS0_4arch9wavefront6targetE1EEEvSN_.kd
    .uniform_work_group_size: 1
    .uses_dynamic_stack: false
    .vgpr_count:     12
    .vgpr_spill_count: 0
    .wavefront_size: 64
  - .agpr_count:     0
    .args:
      - .offset:         0
        .size:           56
        .value_kind:     by_value
    .group_segment_fixed_size: 0
    .kernarg_segment_align: 8
    .kernarg_segment_size: 56
    .language:       OpenCL C
    .language_version:
      - 2
      - 0
    .max_flat_workgroup_size: 64
    .name:           _ZN7rocprim17ROCPRIM_400000_NS6detail17trampoline_kernelINS0_14default_configENS1_27lower_bound_config_selectorIiiEEZNS1_14transform_implILb0ES3_S5_N6thrust23THRUST_200600_302600_NS6detail15normal_iteratorINS8_10device_ptrIiEEEESD_ZNS1_13binary_searchIS3_S5_SD_SD_SD_NS1_21lower_bound_search_opENS9_16wrapped_functionINS0_4lessIvEEbEEEE10hipError_tPvRmT1_T2_T3_mmT4_T5_P12ihipStream_tbEUlRKiE_EESK_SO_SP_mSQ_ST_bEUlT_E_NS1_11comp_targetILNS1_3genE3ELNS1_11target_archE908ELNS1_3gpuE7ELNS1_3repE0EEENS1_30default_config_static_selectorELNS0_4arch9wavefront6targetE1EEEvSN_
    .private_segment_fixed_size: 0
    .sgpr_count:     4
    .sgpr_spill_count: 0
    .symbol:         _ZN7rocprim17ROCPRIM_400000_NS6detail17trampoline_kernelINS0_14default_configENS1_27lower_bound_config_selectorIiiEEZNS1_14transform_implILb0ES3_S5_N6thrust23THRUST_200600_302600_NS6detail15normal_iteratorINS8_10device_ptrIiEEEESD_ZNS1_13binary_searchIS3_S5_SD_SD_SD_NS1_21lower_bound_search_opENS9_16wrapped_functionINS0_4lessIvEEbEEEE10hipError_tPvRmT1_T2_T3_mmT4_T5_P12ihipStream_tbEUlRKiE_EESK_SO_SP_mSQ_ST_bEUlT_E_NS1_11comp_targetILNS1_3genE3ELNS1_11target_archE908ELNS1_3gpuE7ELNS1_3repE0EEENS1_30default_config_static_selectorELNS0_4arch9wavefront6targetE1EEEvSN_.kd
    .uniform_work_group_size: 1
    .uses_dynamic_stack: false
    .vgpr_count:     0
    .vgpr_spill_count: 0
    .wavefront_size: 64
  - .agpr_count:     0
    .args:
      - .offset:         0
        .size:           56
        .value_kind:     by_value
    .group_segment_fixed_size: 0
    .kernarg_segment_align: 8
    .kernarg_segment_size: 56
    .language:       OpenCL C
    .language_version:
      - 2
      - 0
    .max_flat_workgroup_size: 256
    .name:           _ZN7rocprim17ROCPRIM_400000_NS6detail17trampoline_kernelINS0_14default_configENS1_27lower_bound_config_selectorIiiEEZNS1_14transform_implILb0ES3_S5_N6thrust23THRUST_200600_302600_NS6detail15normal_iteratorINS8_10device_ptrIiEEEESD_ZNS1_13binary_searchIS3_S5_SD_SD_SD_NS1_21lower_bound_search_opENS9_16wrapped_functionINS0_4lessIvEEbEEEE10hipError_tPvRmT1_T2_T3_mmT4_T5_P12ihipStream_tbEUlRKiE_EESK_SO_SP_mSQ_ST_bEUlT_E_NS1_11comp_targetILNS1_3genE2ELNS1_11target_archE906ELNS1_3gpuE6ELNS1_3repE0EEENS1_30default_config_static_selectorELNS0_4arch9wavefront6targetE1EEEvSN_
    .private_segment_fixed_size: 0
    .sgpr_count:     4
    .sgpr_spill_count: 0
    .symbol:         _ZN7rocprim17ROCPRIM_400000_NS6detail17trampoline_kernelINS0_14default_configENS1_27lower_bound_config_selectorIiiEEZNS1_14transform_implILb0ES3_S5_N6thrust23THRUST_200600_302600_NS6detail15normal_iteratorINS8_10device_ptrIiEEEESD_ZNS1_13binary_searchIS3_S5_SD_SD_SD_NS1_21lower_bound_search_opENS9_16wrapped_functionINS0_4lessIvEEbEEEE10hipError_tPvRmT1_T2_T3_mmT4_T5_P12ihipStream_tbEUlRKiE_EESK_SO_SP_mSQ_ST_bEUlT_E_NS1_11comp_targetILNS1_3genE2ELNS1_11target_archE906ELNS1_3gpuE6ELNS1_3repE0EEENS1_30default_config_static_selectorELNS0_4arch9wavefront6targetE1EEEvSN_.kd
    .uniform_work_group_size: 1
    .uses_dynamic_stack: false
    .vgpr_count:     0
    .vgpr_spill_count: 0
    .wavefront_size: 64
  - .agpr_count:     0
    .args:
      - .offset:         0
        .size:           56
        .value_kind:     by_value
    .group_segment_fixed_size: 0
    .kernarg_segment_align: 8
    .kernarg_segment_size: 56
    .language:       OpenCL C
    .language_version:
      - 2
      - 0
    .max_flat_workgroup_size: 128
    .name:           _ZN7rocprim17ROCPRIM_400000_NS6detail17trampoline_kernelINS0_14default_configENS1_27lower_bound_config_selectorIiiEEZNS1_14transform_implILb0ES3_S5_N6thrust23THRUST_200600_302600_NS6detail15normal_iteratorINS8_10device_ptrIiEEEESD_ZNS1_13binary_searchIS3_S5_SD_SD_SD_NS1_21lower_bound_search_opENS9_16wrapped_functionINS0_4lessIvEEbEEEE10hipError_tPvRmT1_T2_T3_mmT4_T5_P12ihipStream_tbEUlRKiE_EESK_SO_SP_mSQ_ST_bEUlT_E_NS1_11comp_targetILNS1_3genE10ELNS1_11target_archE1201ELNS1_3gpuE5ELNS1_3repE0EEENS1_30default_config_static_selectorELNS0_4arch9wavefront6targetE1EEEvSN_
    .private_segment_fixed_size: 0
    .sgpr_count:     4
    .sgpr_spill_count: 0
    .symbol:         _ZN7rocprim17ROCPRIM_400000_NS6detail17trampoline_kernelINS0_14default_configENS1_27lower_bound_config_selectorIiiEEZNS1_14transform_implILb0ES3_S5_N6thrust23THRUST_200600_302600_NS6detail15normal_iteratorINS8_10device_ptrIiEEEESD_ZNS1_13binary_searchIS3_S5_SD_SD_SD_NS1_21lower_bound_search_opENS9_16wrapped_functionINS0_4lessIvEEbEEEE10hipError_tPvRmT1_T2_T3_mmT4_T5_P12ihipStream_tbEUlRKiE_EESK_SO_SP_mSQ_ST_bEUlT_E_NS1_11comp_targetILNS1_3genE10ELNS1_11target_archE1201ELNS1_3gpuE5ELNS1_3repE0EEENS1_30default_config_static_selectorELNS0_4arch9wavefront6targetE1EEEvSN_.kd
    .uniform_work_group_size: 1
    .uses_dynamic_stack: false
    .vgpr_count:     0
    .vgpr_spill_count: 0
    .wavefront_size: 64
  - .agpr_count:     0
    .args:
      - .offset:         0
        .size:           56
        .value_kind:     by_value
    .group_segment_fixed_size: 0
    .kernarg_segment_align: 8
    .kernarg_segment_size: 56
    .language:       OpenCL C
    .language_version:
      - 2
      - 0
    .max_flat_workgroup_size: 128
    .name:           _ZN7rocprim17ROCPRIM_400000_NS6detail17trampoline_kernelINS0_14default_configENS1_27lower_bound_config_selectorIiiEEZNS1_14transform_implILb0ES3_S5_N6thrust23THRUST_200600_302600_NS6detail15normal_iteratorINS8_10device_ptrIiEEEESD_ZNS1_13binary_searchIS3_S5_SD_SD_SD_NS1_21lower_bound_search_opENS9_16wrapped_functionINS0_4lessIvEEbEEEE10hipError_tPvRmT1_T2_T3_mmT4_T5_P12ihipStream_tbEUlRKiE_EESK_SO_SP_mSQ_ST_bEUlT_E_NS1_11comp_targetILNS1_3genE10ELNS1_11target_archE1200ELNS1_3gpuE4ELNS1_3repE0EEENS1_30default_config_static_selectorELNS0_4arch9wavefront6targetE1EEEvSN_
    .private_segment_fixed_size: 0
    .sgpr_count:     4
    .sgpr_spill_count: 0
    .symbol:         _ZN7rocprim17ROCPRIM_400000_NS6detail17trampoline_kernelINS0_14default_configENS1_27lower_bound_config_selectorIiiEEZNS1_14transform_implILb0ES3_S5_N6thrust23THRUST_200600_302600_NS6detail15normal_iteratorINS8_10device_ptrIiEEEESD_ZNS1_13binary_searchIS3_S5_SD_SD_SD_NS1_21lower_bound_search_opENS9_16wrapped_functionINS0_4lessIvEEbEEEE10hipError_tPvRmT1_T2_T3_mmT4_T5_P12ihipStream_tbEUlRKiE_EESK_SO_SP_mSQ_ST_bEUlT_E_NS1_11comp_targetILNS1_3genE10ELNS1_11target_archE1200ELNS1_3gpuE4ELNS1_3repE0EEENS1_30default_config_static_selectorELNS0_4arch9wavefront6targetE1EEEvSN_.kd
    .uniform_work_group_size: 1
    .uses_dynamic_stack: false
    .vgpr_count:     0
    .vgpr_spill_count: 0
    .wavefront_size: 64
  - .agpr_count:     0
    .args:
      - .offset:         0
        .size:           56
        .value_kind:     by_value
    .group_segment_fixed_size: 0
    .kernarg_segment_align: 8
    .kernarg_segment_size: 56
    .language:       OpenCL C
    .language_version:
      - 2
      - 0
    .max_flat_workgroup_size: 128
    .name:           _ZN7rocprim17ROCPRIM_400000_NS6detail17trampoline_kernelINS0_14default_configENS1_27lower_bound_config_selectorIiiEEZNS1_14transform_implILb0ES3_S5_N6thrust23THRUST_200600_302600_NS6detail15normal_iteratorINS8_10device_ptrIiEEEESD_ZNS1_13binary_searchIS3_S5_SD_SD_SD_NS1_21lower_bound_search_opENS9_16wrapped_functionINS0_4lessIvEEbEEEE10hipError_tPvRmT1_T2_T3_mmT4_T5_P12ihipStream_tbEUlRKiE_EESK_SO_SP_mSQ_ST_bEUlT_E_NS1_11comp_targetILNS1_3genE9ELNS1_11target_archE1100ELNS1_3gpuE3ELNS1_3repE0EEENS1_30default_config_static_selectorELNS0_4arch9wavefront6targetE1EEEvSN_
    .private_segment_fixed_size: 0
    .sgpr_count:     4
    .sgpr_spill_count: 0
    .symbol:         _ZN7rocprim17ROCPRIM_400000_NS6detail17trampoline_kernelINS0_14default_configENS1_27lower_bound_config_selectorIiiEEZNS1_14transform_implILb0ES3_S5_N6thrust23THRUST_200600_302600_NS6detail15normal_iteratorINS8_10device_ptrIiEEEESD_ZNS1_13binary_searchIS3_S5_SD_SD_SD_NS1_21lower_bound_search_opENS9_16wrapped_functionINS0_4lessIvEEbEEEE10hipError_tPvRmT1_T2_T3_mmT4_T5_P12ihipStream_tbEUlRKiE_EESK_SO_SP_mSQ_ST_bEUlT_E_NS1_11comp_targetILNS1_3genE9ELNS1_11target_archE1100ELNS1_3gpuE3ELNS1_3repE0EEENS1_30default_config_static_selectorELNS0_4arch9wavefront6targetE1EEEvSN_.kd
    .uniform_work_group_size: 1
    .uses_dynamic_stack: false
    .vgpr_count:     0
    .vgpr_spill_count: 0
    .wavefront_size: 64
  - .agpr_count:     0
    .args:
      - .offset:         0
        .size:           56
        .value_kind:     by_value
    .group_segment_fixed_size: 0
    .kernarg_segment_align: 8
    .kernarg_segment_size: 56
    .language:       OpenCL C
    .language_version:
      - 2
      - 0
    .max_flat_workgroup_size: 256
    .name:           _ZN7rocprim17ROCPRIM_400000_NS6detail17trampoline_kernelINS0_14default_configENS1_27lower_bound_config_selectorIiiEEZNS1_14transform_implILb0ES3_S5_N6thrust23THRUST_200600_302600_NS6detail15normal_iteratorINS8_10device_ptrIiEEEESD_ZNS1_13binary_searchIS3_S5_SD_SD_SD_NS1_21lower_bound_search_opENS9_16wrapped_functionINS0_4lessIvEEbEEEE10hipError_tPvRmT1_T2_T3_mmT4_T5_P12ihipStream_tbEUlRKiE_EESK_SO_SP_mSQ_ST_bEUlT_E_NS1_11comp_targetILNS1_3genE8ELNS1_11target_archE1030ELNS1_3gpuE2ELNS1_3repE0EEENS1_30default_config_static_selectorELNS0_4arch9wavefront6targetE1EEEvSN_
    .private_segment_fixed_size: 0
    .sgpr_count:     4
    .sgpr_spill_count: 0
    .symbol:         _ZN7rocprim17ROCPRIM_400000_NS6detail17trampoline_kernelINS0_14default_configENS1_27lower_bound_config_selectorIiiEEZNS1_14transform_implILb0ES3_S5_N6thrust23THRUST_200600_302600_NS6detail15normal_iteratorINS8_10device_ptrIiEEEESD_ZNS1_13binary_searchIS3_S5_SD_SD_SD_NS1_21lower_bound_search_opENS9_16wrapped_functionINS0_4lessIvEEbEEEE10hipError_tPvRmT1_T2_T3_mmT4_T5_P12ihipStream_tbEUlRKiE_EESK_SO_SP_mSQ_ST_bEUlT_E_NS1_11comp_targetILNS1_3genE8ELNS1_11target_archE1030ELNS1_3gpuE2ELNS1_3repE0EEENS1_30default_config_static_selectorELNS0_4arch9wavefront6targetE1EEEvSN_.kd
    .uniform_work_group_size: 1
    .uses_dynamic_stack: false
    .vgpr_count:     0
    .vgpr_spill_count: 0
    .wavefront_size: 64
  - .agpr_count:     0
    .args:
      - .offset:         0
        .size:           16
        .value_kind:     by_value
      - .offset:         16
        .size:           8
        .value_kind:     by_value
      - .offset:         24
        .size:           8
        .value_kind:     by_value
    .group_segment_fixed_size: 0
    .kernarg_segment_align: 8
    .kernarg_segment_size: 32
    .language:       OpenCL C
    .language_version:
      - 2
      - 0
    .max_flat_workgroup_size: 256
    .name:           _ZN6thrust23THRUST_200600_302600_NS11hip_rocprim14__parallel_for6kernelILj256ENS1_10__tabulate7functorINS0_6detail15normal_iteratorINS0_10device_ptrIsEEEENS0_6system6detail7generic6detail22compute_sequence_valueIsvEElEElLj1EEEvT0_T1_SJ_
    .private_segment_fixed_size: 0
    .sgpr_count:     16
    .sgpr_spill_count: 0
    .symbol:         _ZN6thrust23THRUST_200600_302600_NS11hip_rocprim14__parallel_for6kernelILj256ENS1_10__tabulate7functorINS0_6detail15normal_iteratorINS0_10device_ptrIsEEEENS0_6system6detail7generic6detail22compute_sequence_valueIsvEElEElLj1EEEvT0_T1_SJ_.kd
    .uniform_work_group_size: 1
    .uses_dynamic_stack: false
    .vgpr_count:     4
    .vgpr_spill_count: 0
    .wavefront_size: 64
  - .agpr_count:     0
    .args:
      - .offset:         0
        .size:           56
        .value_kind:     by_value
    .group_segment_fixed_size: 0
    .kernarg_segment_align: 8
    .kernarg_segment_size: 56
    .language:       OpenCL C
    .language_version:
      - 2
      - 0
    .max_flat_workgroup_size: 256
    .name:           _ZN7rocprim17ROCPRIM_400000_NS6detail17trampoline_kernelINS0_14default_configENS1_27lower_bound_config_selectorIsiEEZNS1_14transform_implILb0ES3_S5_N6thrust23THRUST_200600_302600_NS6detail15normal_iteratorINS8_10device_ptrIsEEEENSA_INSB_IiEEEEZNS1_13binary_searchIS3_S5_SD_SD_SF_NS1_21lower_bound_search_opENS9_16wrapped_functionINS0_4lessIvEEbEEEE10hipError_tPvRmT1_T2_T3_mmT4_T5_P12ihipStream_tbEUlRKsE_EESM_SQ_SR_mSS_SV_bEUlT_E_NS1_11comp_targetILNS1_3genE0ELNS1_11target_archE4294967295ELNS1_3gpuE0ELNS1_3repE0EEENS1_30default_config_static_selectorELNS0_4arch9wavefront6targetE1EEEvSP_
    .private_segment_fixed_size: 0
    .sgpr_count:     4
    .sgpr_spill_count: 0
    .symbol:         _ZN7rocprim17ROCPRIM_400000_NS6detail17trampoline_kernelINS0_14default_configENS1_27lower_bound_config_selectorIsiEEZNS1_14transform_implILb0ES3_S5_N6thrust23THRUST_200600_302600_NS6detail15normal_iteratorINS8_10device_ptrIsEEEENSA_INSB_IiEEEEZNS1_13binary_searchIS3_S5_SD_SD_SF_NS1_21lower_bound_search_opENS9_16wrapped_functionINS0_4lessIvEEbEEEE10hipError_tPvRmT1_T2_T3_mmT4_T5_P12ihipStream_tbEUlRKsE_EESM_SQ_SR_mSS_SV_bEUlT_E_NS1_11comp_targetILNS1_3genE0ELNS1_11target_archE4294967295ELNS1_3gpuE0ELNS1_3repE0EEENS1_30default_config_static_selectorELNS0_4arch9wavefront6targetE1EEEvSP_.kd
    .uniform_work_group_size: 1
    .uses_dynamic_stack: false
    .vgpr_count:     0
    .vgpr_spill_count: 0
    .wavefront_size: 64
  - .agpr_count:     0
    .args:
      - .offset:         0
        .size:           56
        .value_kind:     by_value
    .group_segment_fixed_size: 0
    .kernarg_segment_align: 8
    .kernarg_segment_size: 56
    .language:       OpenCL C
    .language_version:
      - 2
      - 0
    .max_flat_workgroup_size: 256
    .name:           _ZN7rocprim17ROCPRIM_400000_NS6detail17trampoline_kernelINS0_14default_configENS1_27lower_bound_config_selectorIsiEEZNS1_14transform_implILb0ES3_S5_N6thrust23THRUST_200600_302600_NS6detail15normal_iteratorINS8_10device_ptrIsEEEENSA_INSB_IiEEEEZNS1_13binary_searchIS3_S5_SD_SD_SF_NS1_21lower_bound_search_opENS9_16wrapped_functionINS0_4lessIvEEbEEEE10hipError_tPvRmT1_T2_T3_mmT4_T5_P12ihipStream_tbEUlRKsE_EESM_SQ_SR_mSS_SV_bEUlT_E_NS1_11comp_targetILNS1_3genE5ELNS1_11target_archE942ELNS1_3gpuE9ELNS1_3repE0EEENS1_30default_config_static_selectorELNS0_4arch9wavefront6targetE1EEEvSP_
    .private_segment_fixed_size: 0
    .sgpr_count:     4
    .sgpr_spill_count: 0
    .symbol:         _ZN7rocprim17ROCPRIM_400000_NS6detail17trampoline_kernelINS0_14default_configENS1_27lower_bound_config_selectorIsiEEZNS1_14transform_implILb0ES3_S5_N6thrust23THRUST_200600_302600_NS6detail15normal_iteratorINS8_10device_ptrIsEEEENSA_INSB_IiEEEEZNS1_13binary_searchIS3_S5_SD_SD_SF_NS1_21lower_bound_search_opENS9_16wrapped_functionINS0_4lessIvEEbEEEE10hipError_tPvRmT1_T2_T3_mmT4_T5_P12ihipStream_tbEUlRKsE_EESM_SQ_SR_mSS_SV_bEUlT_E_NS1_11comp_targetILNS1_3genE5ELNS1_11target_archE942ELNS1_3gpuE9ELNS1_3repE0EEENS1_30default_config_static_selectorELNS0_4arch9wavefront6targetE1EEEvSP_.kd
    .uniform_work_group_size: 1
    .uses_dynamic_stack: false
    .vgpr_count:     0
    .vgpr_spill_count: 0
    .wavefront_size: 64
  - .agpr_count:     0
    .args:
      - .offset:         0
        .size:           56
        .value_kind:     by_value
      - .offset:         56
        .size:           4
        .value_kind:     hidden_block_count_x
      - .offset:         60
        .size:           4
        .value_kind:     hidden_block_count_y
      - .offset:         64
        .size:           4
        .value_kind:     hidden_block_count_z
      - .offset:         68
        .size:           2
        .value_kind:     hidden_group_size_x
      - .offset:         70
        .size:           2
        .value_kind:     hidden_group_size_y
      - .offset:         72
        .size:           2
        .value_kind:     hidden_group_size_z
      - .offset:         74
        .size:           2
        .value_kind:     hidden_remainder_x
      - .offset:         76
        .size:           2
        .value_kind:     hidden_remainder_y
      - .offset:         78
        .size:           2
        .value_kind:     hidden_remainder_z
      - .offset:         96
        .size:           8
        .value_kind:     hidden_global_offset_x
      - .offset:         104
        .size:           8
        .value_kind:     hidden_global_offset_y
      - .offset:         112
        .size:           8
        .value_kind:     hidden_global_offset_z
      - .offset:         120
        .size:           2
        .value_kind:     hidden_grid_dims
    .group_segment_fixed_size: 0
    .kernarg_segment_align: 8
    .kernarg_segment_size: 312
    .language:       OpenCL C
    .language_version:
      - 2
      - 0
    .max_flat_workgroup_size: 256
    .name:           _ZN7rocprim17ROCPRIM_400000_NS6detail17trampoline_kernelINS0_14default_configENS1_27lower_bound_config_selectorIsiEEZNS1_14transform_implILb0ES3_S5_N6thrust23THRUST_200600_302600_NS6detail15normal_iteratorINS8_10device_ptrIsEEEENSA_INSB_IiEEEEZNS1_13binary_searchIS3_S5_SD_SD_SF_NS1_21lower_bound_search_opENS9_16wrapped_functionINS0_4lessIvEEbEEEE10hipError_tPvRmT1_T2_T3_mmT4_T5_P12ihipStream_tbEUlRKsE_EESM_SQ_SR_mSS_SV_bEUlT_E_NS1_11comp_targetILNS1_3genE4ELNS1_11target_archE910ELNS1_3gpuE8ELNS1_3repE0EEENS1_30default_config_static_selectorELNS0_4arch9wavefront6targetE1EEEvSP_
    .private_segment_fixed_size: 0
    .sgpr_count:     24
    .sgpr_spill_count: 0
    .symbol:         _ZN7rocprim17ROCPRIM_400000_NS6detail17trampoline_kernelINS0_14default_configENS1_27lower_bound_config_selectorIsiEEZNS1_14transform_implILb0ES3_S5_N6thrust23THRUST_200600_302600_NS6detail15normal_iteratorINS8_10device_ptrIsEEEENSA_INSB_IiEEEEZNS1_13binary_searchIS3_S5_SD_SD_SF_NS1_21lower_bound_search_opENS9_16wrapped_functionINS0_4lessIvEEbEEEE10hipError_tPvRmT1_T2_T3_mmT4_T5_P12ihipStream_tbEUlRKsE_EESM_SQ_SR_mSS_SV_bEUlT_E_NS1_11comp_targetILNS1_3genE4ELNS1_11target_archE910ELNS1_3gpuE8ELNS1_3repE0EEENS1_30default_config_static_selectorELNS0_4arch9wavefront6targetE1EEEvSP_.kd
    .uniform_work_group_size: 1
    .uses_dynamic_stack: false
    .vgpr_count:     12
    .vgpr_spill_count: 0
    .wavefront_size: 64
  - .agpr_count:     0
    .args:
      - .offset:         0
        .size:           56
        .value_kind:     by_value
    .group_segment_fixed_size: 0
    .kernarg_segment_align: 8
    .kernarg_segment_size: 56
    .language:       OpenCL C
    .language_version:
      - 2
      - 0
    .max_flat_workgroup_size: 256
    .name:           _ZN7rocprim17ROCPRIM_400000_NS6detail17trampoline_kernelINS0_14default_configENS1_27lower_bound_config_selectorIsiEEZNS1_14transform_implILb0ES3_S5_N6thrust23THRUST_200600_302600_NS6detail15normal_iteratorINS8_10device_ptrIsEEEENSA_INSB_IiEEEEZNS1_13binary_searchIS3_S5_SD_SD_SF_NS1_21lower_bound_search_opENS9_16wrapped_functionINS0_4lessIvEEbEEEE10hipError_tPvRmT1_T2_T3_mmT4_T5_P12ihipStream_tbEUlRKsE_EESM_SQ_SR_mSS_SV_bEUlT_E_NS1_11comp_targetILNS1_3genE3ELNS1_11target_archE908ELNS1_3gpuE7ELNS1_3repE0EEENS1_30default_config_static_selectorELNS0_4arch9wavefront6targetE1EEEvSP_
    .private_segment_fixed_size: 0
    .sgpr_count:     4
    .sgpr_spill_count: 0
    .symbol:         _ZN7rocprim17ROCPRIM_400000_NS6detail17trampoline_kernelINS0_14default_configENS1_27lower_bound_config_selectorIsiEEZNS1_14transform_implILb0ES3_S5_N6thrust23THRUST_200600_302600_NS6detail15normal_iteratorINS8_10device_ptrIsEEEENSA_INSB_IiEEEEZNS1_13binary_searchIS3_S5_SD_SD_SF_NS1_21lower_bound_search_opENS9_16wrapped_functionINS0_4lessIvEEbEEEE10hipError_tPvRmT1_T2_T3_mmT4_T5_P12ihipStream_tbEUlRKsE_EESM_SQ_SR_mSS_SV_bEUlT_E_NS1_11comp_targetILNS1_3genE3ELNS1_11target_archE908ELNS1_3gpuE7ELNS1_3repE0EEENS1_30default_config_static_selectorELNS0_4arch9wavefront6targetE1EEEvSP_.kd
    .uniform_work_group_size: 1
    .uses_dynamic_stack: false
    .vgpr_count:     0
    .vgpr_spill_count: 0
    .wavefront_size: 64
  - .agpr_count:     0
    .args:
      - .offset:         0
        .size:           56
        .value_kind:     by_value
    .group_segment_fixed_size: 0
    .kernarg_segment_align: 8
    .kernarg_segment_size: 56
    .language:       OpenCL C
    .language_version:
      - 2
      - 0
    .max_flat_workgroup_size: 256
    .name:           _ZN7rocprim17ROCPRIM_400000_NS6detail17trampoline_kernelINS0_14default_configENS1_27lower_bound_config_selectorIsiEEZNS1_14transform_implILb0ES3_S5_N6thrust23THRUST_200600_302600_NS6detail15normal_iteratorINS8_10device_ptrIsEEEENSA_INSB_IiEEEEZNS1_13binary_searchIS3_S5_SD_SD_SF_NS1_21lower_bound_search_opENS9_16wrapped_functionINS0_4lessIvEEbEEEE10hipError_tPvRmT1_T2_T3_mmT4_T5_P12ihipStream_tbEUlRKsE_EESM_SQ_SR_mSS_SV_bEUlT_E_NS1_11comp_targetILNS1_3genE2ELNS1_11target_archE906ELNS1_3gpuE6ELNS1_3repE0EEENS1_30default_config_static_selectorELNS0_4arch9wavefront6targetE1EEEvSP_
    .private_segment_fixed_size: 0
    .sgpr_count:     4
    .sgpr_spill_count: 0
    .symbol:         _ZN7rocprim17ROCPRIM_400000_NS6detail17trampoline_kernelINS0_14default_configENS1_27lower_bound_config_selectorIsiEEZNS1_14transform_implILb0ES3_S5_N6thrust23THRUST_200600_302600_NS6detail15normal_iteratorINS8_10device_ptrIsEEEENSA_INSB_IiEEEEZNS1_13binary_searchIS3_S5_SD_SD_SF_NS1_21lower_bound_search_opENS9_16wrapped_functionINS0_4lessIvEEbEEEE10hipError_tPvRmT1_T2_T3_mmT4_T5_P12ihipStream_tbEUlRKsE_EESM_SQ_SR_mSS_SV_bEUlT_E_NS1_11comp_targetILNS1_3genE2ELNS1_11target_archE906ELNS1_3gpuE6ELNS1_3repE0EEENS1_30default_config_static_selectorELNS0_4arch9wavefront6targetE1EEEvSP_.kd
    .uniform_work_group_size: 1
    .uses_dynamic_stack: false
    .vgpr_count:     0
    .vgpr_spill_count: 0
    .wavefront_size: 64
  - .agpr_count:     0
    .args:
      - .offset:         0
        .size:           56
        .value_kind:     by_value
    .group_segment_fixed_size: 0
    .kernarg_segment_align: 8
    .kernarg_segment_size: 56
    .language:       OpenCL C
    .language_version:
      - 2
      - 0
    .max_flat_workgroup_size: 256
    .name:           _ZN7rocprim17ROCPRIM_400000_NS6detail17trampoline_kernelINS0_14default_configENS1_27lower_bound_config_selectorIsiEEZNS1_14transform_implILb0ES3_S5_N6thrust23THRUST_200600_302600_NS6detail15normal_iteratorINS8_10device_ptrIsEEEENSA_INSB_IiEEEEZNS1_13binary_searchIS3_S5_SD_SD_SF_NS1_21lower_bound_search_opENS9_16wrapped_functionINS0_4lessIvEEbEEEE10hipError_tPvRmT1_T2_T3_mmT4_T5_P12ihipStream_tbEUlRKsE_EESM_SQ_SR_mSS_SV_bEUlT_E_NS1_11comp_targetILNS1_3genE10ELNS1_11target_archE1201ELNS1_3gpuE5ELNS1_3repE0EEENS1_30default_config_static_selectorELNS0_4arch9wavefront6targetE1EEEvSP_
    .private_segment_fixed_size: 0
    .sgpr_count:     4
    .sgpr_spill_count: 0
    .symbol:         _ZN7rocprim17ROCPRIM_400000_NS6detail17trampoline_kernelINS0_14default_configENS1_27lower_bound_config_selectorIsiEEZNS1_14transform_implILb0ES3_S5_N6thrust23THRUST_200600_302600_NS6detail15normal_iteratorINS8_10device_ptrIsEEEENSA_INSB_IiEEEEZNS1_13binary_searchIS3_S5_SD_SD_SF_NS1_21lower_bound_search_opENS9_16wrapped_functionINS0_4lessIvEEbEEEE10hipError_tPvRmT1_T2_T3_mmT4_T5_P12ihipStream_tbEUlRKsE_EESM_SQ_SR_mSS_SV_bEUlT_E_NS1_11comp_targetILNS1_3genE10ELNS1_11target_archE1201ELNS1_3gpuE5ELNS1_3repE0EEENS1_30default_config_static_selectorELNS0_4arch9wavefront6targetE1EEEvSP_.kd
    .uniform_work_group_size: 1
    .uses_dynamic_stack: false
    .vgpr_count:     0
    .vgpr_spill_count: 0
    .wavefront_size: 64
  - .agpr_count:     0
    .args:
      - .offset:         0
        .size:           56
        .value_kind:     by_value
    .group_segment_fixed_size: 0
    .kernarg_segment_align: 8
    .kernarg_segment_size: 56
    .language:       OpenCL C
    .language_version:
      - 2
      - 0
    .max_flat_workgroup_size: 256
    .name:           _ZN7rocprim17ROCPRIM_400000_NS6detail17trampoline_kernelINS0_14default_configENS1_27lower_bound_config_selectorIsiEEZNS1_14transform_implILb0ES3_S5_N6thrust23THRUST_200600_302600_NS6detail15normal_iteratorINS8_10device_ptrIsEEEENSA_INSB_IiEEEEZNS1_13binary_searchIS3_S5_SD_SD_SF_NS1_21lower_bound_search_opENS9_16wrapped_functionINS0_4lessIvEEbEEEE10hipError_tPvRmT1_T2_T3_mmT4_T5_P12ihipStream_tbEUlRKsE_EESM_SQ_SR_mSS_SV_bEUlT_E_NS1_11comp_targetILNS1_3genE10ELNS1_11target_archE1200ELNS1_3gpuE4ELNS1_3repE0EEENS1_30default_config_static_selectorELNS0_4arch9wavefront6targetE1EEEvSP_
    .private_segment_fixed_size: 0
    .sgpr_count:     4
    .sgpr_spill_count: 0
    .symbol:         _ZN7rocprim17ROCPRIM_400000_NS6detail17trampoline_kernelINS0_14default_configENS1_27lower_bound_config_selectorIsiEEZNS1_14transform_implILb0ES3_S5_N6thrust23THRUST_200600_302600_NS6detail15normal_iteratorINS8_10device_ptrIsEEEENSA_INSB_IiEEEEZNS1_13binary_searchIS3_S5_SD_SD_SF_NS1_21lower_bound_search_opENS9_16wrapped_functionINS0_4lessIvEEbEEEE10hipError_tPvRmT1_T2_T3_mmT4_T5_P12ihipStream_tbEUlRKsE_EESM_SQ_SR_mSS_SV_bEUlT_E_NS1_11comp_targetILNS1_3genE10ELNS1_11target_archE1200ELNS1_3gpuE4ELNS1_3repE0EEENS1_30default_config_static_selectorELNS0_4arch9wavefront6targetE1EEEvSP_.kd
    .uniform_work_group_size: 1
    .uses_dynamic_stack: false
    .vgpr_count:     0
    .vgpr_spill_count: 0
    .wavefront_size: 64
  - .agpr_count:     0
    .args:
      - .offset:         0
        .size:           56
        .value_kind:     by_value
    .group_segment_fixed_size: 0
    .kernarg_segment_align: 8
    .kernarg_segment_size: 56
    .language:       OpenCL C
    .language_version:
      - 2
      - 0
    .max_flat_workgroup_size: 64
    .name:           _ZN7rocprim17ROCPRIM_400000_NS6detail17trampoline_kernelINS0_14default_configENS1_27lower_bound_config_selectorIsiEEZNS1_14transform_implILb0ES3_S5_N6thrust23THRUST_200600_302600_NS6detail15normal_iteratorINS8_10device_ptrIsEEEENSA_INSB_IiEEEEZNS1_13binary_searchIS3_S5_SD_SD_SF_NS1_21lower_bound_search_opENS9_16wrapped_functionINS0_4lessIvEEbEEEE10hipError_tPvRmT1_T2_T3_mmT4_T5_P12ihipStream_tbEUlRKsE_EESM_SQ_SR_mSS_SV_bEUlT_E_NS1_11comp_targetILNS1_3genE9ELNS1_11target_archE1100ELNS1_3gpuE3ELNS1_3repE0EEENS1_30default_config_static_selectorELNS0_4arch9wavefront6targetE1EEEvSP_
    .private_segment_fixed_size: 0
    .sgpr_count:     4
    .sgpr_spill_count: 0
    .symbol:         _ZN7rocprim17ROCPRIM_400000_NS6detail17trampoline_kernelINS0_14default_configENS1_27lower_bound_config_selectorIsiEEZNS1_14transform_implILb0ES3_S5_N6thrust23THRUST_200600_302600_NS6detail15normal_iteratorINS8_10device_ptrIsEEEENSA_INSB_IiEEEEZNS1_13binary_searchIS3_S5_SD_SD_SF_NS1_21lower_bound_search_opENS9_16wrapped_functionINS0_4lessIvEEbEEEE10hipError_tPvRmT1_T2_T3_mmT4_T5_P12ihipStream_tbEUlRKsE_EESM_SQ_SR_mSS_SV_bEUlT_E_NS1_11comp_targetILNS1_3genE9ELNS1_11target_archE1100ELNS1_3gpuE3ELNS1_3repE0EEENS1_30default_config_static_selectorELNS0_4arch9wavefront6targetE1EEEvSP_.kd
    .uniform_work_group_size: 1
    .uses_dynamic_stack: false
    .vgpr_count:     0
    .vgpr_spill_count: 0
    .wavefront_size: 64
  - .agpr_count:     0
    .args:
      - .offset:         0
        .size:           56
        .value_kind:     by_value
    .group_segment_fixed_size: 0
    .kernarg_segment_align: 8
    .kernarg_segment_size: 56
    .language:       OpenCL C
    .language_version:
      - 2
      - 0
    .max_flat_workgroup_size: 128
    .name:           _ZN7rocprim17ROCPRIM_400000_NS6detail17trampoline_kernelINS0_14default_configENS1_27lower_bound_config_selectorIsiEEZNS1_14transform_implILb0ES3_S5_N6thrust23THRUST_200600_302600_NS6detail15normal_iteratorINS8_10device_ptrIsEEEENSA_INSB_IiEEEEZNS1_13binary_searchIS3_S5_SD_SD_SF_NS1_21lower_bound_search_opENS9_16wrapped_functionINS0_4lessIvEEbEEEE10hipError_tPvRmT1_T2_T3_mmT4_T5_P12ihipStream_tbEUlRKsE_EESM_SQ_SR_mSS_SV_bEUlT_E_NS1_11comp_targetILNS1_3genE8ELNS1_11target_archE1030ELNS1_3gpuE2ELNS1_3repE0EEENS1_30default_config_static_selectorELNS0_4arch9wavefront6targetE1EEEvSP_
    .private_segment_fixed_size: 0
    .sgpr_count:     4
    .sgpr_spill_count: 0
    .symbol:         _ZN7rocprim17ROCPRIM_400000_NS6detail17trampoline_kernelINS0_14default_configENS1_27lower_bound_config_selectorIsiEEZNS1_14transform_implILb0ES3_S5_N6thrust23THRUST_200600_302600_NS6detail15normal_iteratorINS8_10device_ptrIsEEEENSA_INSB_IiEEEEZNS1_13binary_searchIS3_S5_SD_SD_SF_NS1_21lower_bound_search_opENS9_16wrapped_functionINS0_4lessIvEEbEEEE10hipError_tPvRmT1_T2_T3_mmT4_T5_P12ihipStream_tbEUlRKsE_EESM_SQ_SR_mSS_SV_bEUlT_E_NS1_11comp_targetILNS1_3genE8ELNS1_11target_archE1030ELNS1_3gpuE2ELNS1_3repE0EEENS1_30default_config_static_selectorELNS0_4arch9wavefront6targetE1EEEvSP_.kd
    .uniform_work_group_size: 1
    .uses_dynamic_stack: false
    .vgpr_count:     0
    .vgpr_spill_count: 0
    .wavefront_size: 64
  - .agpr_count:     0
    .args:
      - .offset:         0
        .size:           56
        .value_kind:     by_value
    .group_segment_fixed_size: 0
    .kernarg_segment_align: 8
    .kernarg_segment_size: 56
    .language:       OpenCL C
    .language_version:
      - 2
      - 0
    .max_flat_workgroup_size: 64
    .name:           _ZN7rocprim17ROCPRIM_400000_NS6detail17trampoline_kernelINS0_14default_configENS1_27upper_bound_config_selectorIdiEEZNS1_14transform_implILb0ES3_S5_N6thrust23THRUST_200600_302600_NS6detail15normal_iteratorINS8_10device_ptrIdEEEENSA_INSB_IiEEEEZNS1_13binary_searchIS3_S5_SD_SD_SF_NS1_21upper_bound_search_opENS9_16wrapped_functionINS0_4lessIvEEbEEEE10hipError_tPvRmT1_T2_T3_mmT4_T5_P12ihipStream_tbEUlRKdE_EESM_SQ_SR_mSS_SV_bEUlT_E_NS1_11comp_targetILNS1_3genE0ELNS1_11target_archE4294967295ELNS1_3gpuE0ELNS1_3repE0EEENS1_30default_config_static_selectorELNS0_4arch9wavefront6targetE1EEEvSP_
    .private_segment_fixed_size: 0
    .sgpr_count:     4
    .sgpr_spill_count: 0
    .symbol:         _ZN7rocprim17ROCPRIM_400000_NS6detail17trampoline_kernelINS0_14default_configENS1_27upper_bound_config_selectorIdiEEZNS1_14transform_implILb0ES3_S5_N6thrust23THRUST_200600_302600_NS6detail15normal_iteratorINS8_10device_ptrIdEEEENSA_INSB_IiEEEEZNS1_13binary_searchIS3_S5_SD_SD_SF_NS1_21upper_bound_search_opENS9_16wrapped_functionINS0_4lessIvEEbEEEE10hipError_tPvRmT1_T2_T3_mmT4_T5_P12ihipStream_tbEUlRKdE_EESM_SQ_SR_mSS_SV_bEUlT_E_NS1_11comp_targetILNS1_3genE0ELNS1_11target_archE4294967295ELNS1_3gpuE0ELNS1_3repE0EEENS1_30default_config_static_selectorELNS0_4arch9wavefront6targetE1EEEvSP_.kd
    .uniform_work_group_size: 1
    .uses_dynamic_stack: false
    .vgpr_count:     0
    .vgpr_spill_count: 0
    .wavefront_size: 64
  - .agpr_count:     0
    .args:
      - .offset:         0
        .size:           56
        .value_kind:     by_value
    .group_segment_fixed_size: 0
    .kernarg_segment_align: 8
    .kernarg_segment_size: 56
    .language:       OpenCL C
    .language_version:
      - 2
      - 0
    .max_flat_workgroup_size: 64
    .name:           _ZN7rocprim17ROCPRIM_400000_NS6detail17trampoline_kernelINS0_14default_configENS1_27upper_bound_config_selectorIdiEEZNS1_14transform_implILb0ES3_S5_N6thrust23THRUST_200600_302600_NS6detail15normal_iteratorINS8_10device_ptrIdEEEENSA_INSB_IiEEEEZNS1_13binary_searchIS3_S5_SD_SD_SF_NS1_21upper_bound_search_opENS9_16wrapped_functionINS0_4lessIvEEbEEEE10hipError_tPvRmT1_T2_T3_mmT4_T5_P12ihipStream_tbEUlRKdE_EESM_SQ_SR_mSS_SV_bEUlT_E_NS1_11comp_targetILNS1_3genE5ELNS1_11target_archE942ELNS1_3gpuE9ELNS1_3repE0EEENS1_30default_config_static_selectorELNS0_4arch9wavefront6targetE1EEEvSP_
    .private_segment_fixed_size: 0
    .sgpr_count:     4
    .sgpr_spill_count: 0
    .symbol:         _ZN7rocprim17ROCPRIM_400000_NS6detail17trampoline_kernelINS0_14default_configENS1_27upper_bound_config_selectorIdiEEZNS1_14transform_implILb0ES3_S5_N6thrust23THRUST_200600_302600_NS6detail15normal_iteratorINS8_10device_ptrIdEEEENSA_INSB_IiEEEEZNS1_13binary_searchIS3_S5_SD_SD_SF_NS1_21upper_bound_search_opENS9_16wrapped_functionINS0_4lessIvEEbEEEE10hipError_tPvRmT1_T2_T3_mmT4_T5_P12ihipStream_tbEUlRKdE_EESM_SQ_SR_mSS_SV_bEUlT_E_NS1_11comp_targetILNS1_3genE5ELNS1_11target_archE942ELNS1_3gpuE9ELNS1_3repE0EEENS1_30default_config_static_selectorELNS0_4arch9wavefront6targetE1EEEvSP_.kd
    .uniform_work_group_size: 1
    .uses_dynamic_stack: false
    .vgpr_count:     0
    .vgpr_spill_count: 0
    .wavefront_size: 64
  - .agpr_count:     0
    .args:
      - .offset:         0
        .size:           56
        .value_kind:     by_value
      - .offset:         56
        .size:           4
        .value_kind:     hidden_block_count_x
      - .offset:         60
        .size:           4
        .value_kind:     hidden_block_count_y
      - .offset:         64
        .size:           4
        .value_kind:     hidden_block_count_z
      - .offset:         68
        .size:           2
        .value_kind:     hidden_group_size_x
      - .offset:         70
        .size:           2
        .value_kind:     hidden_group_size_y
      - .offset:         72
        .size:           2
        .value_kind:     hidden_group_size_z
      - .offset:         74
        .size:           2
        .value_kind:     hidden_remainder_x
      - .offset:         76
        .size:           2
        .value_kind:     hidden_remainder_y
      - .offset:         78
        .size:           2
        .value_kind:     hidden_remainder_z
      - .offset:         96
        .size:           8
        .value_kind:     hidden_global_offset_x
      - .offset:         104
        .size:           8
        .value_kind:     hidden_global_offset_y
      - .offset:         112
        .size:           8
        .value_kind:     hidden_global_offset_z
      - .offset:         120
        .size:           2
        .value_kind:     hidden_grid_dims
    .group_segment_fixed_size: 0
    .kernarg_segment_align: 8
    .kernarg_segment_size: 312
    .language:       OpenCL C
    .language_version:
      - 2
      - 0
    .max_flat_workgroup_size: 64
    .name:           _ZN7rocprim17ROCPRIM_400000_NS6detail17trampoline_kernelINS0_14default_configENS1_27upper_bound_config_selectorIdiEEZNS1_14transform_implILb0ES3_S5_N6thrust23THRUST_200600_302600_NS6detail15normal_iteratorINS8_10device_ptrIdEEEENSA_INSB_IiEEEEZNS1_13binary_searchIS3_S5_SD_SD_SF_NS1_21upper_bound_search_opENS9_16wrapped_functionINS0_4lessIvEEbEEEE10hipError_tPvRmT1_T2_T3_mmT4_T5_P12ihipStream_tbEUlRKdE_EESM_SQ_SR_mSS_SV_bEUlT_E_NS1_11comp_targetILNS1_3genE4ELNS1_11target_archE910ELNS1_3gpuE8ELNS1_3repE0EEENS1_30default_config_static_selectorELNS0_4arch9wavefront6targetE1EEEvSP_
    .private_segment_fixed_size: 0
    .sgpr_count:     24
    .sgpr_spill_count: 0
    .symbol:         _ZN7rocprim17ROCPRIM_400000_NS6detail17trampoline_kernelINS0_14default_configENS1_27upper_bound_config_selectorIdiEEZNS1_14transform_implILb0ES3_S5_N6thrust23THRUST_200600_302600_NS6detail15normal_iteratorINS8_10device_ptrIdEEEENSA_INSB_IiEEEEZNS1_13binary_searchIS3_S5_SD_SD_SF_NS1_21upper_bound_search_opENS9_16wrapped_functionINS0_4lessIvEEbEEEE10hipError_tPvRmT1_T2_T3_mmT4_T5_P12ihipStream_tbEUlRKdE_EESM_SQ_SR_mSS_SV_bEUlT_E_NS1_11comp_targetILNS1_3genE4ELNS1_11target_archE910ELNS1_3gpuE8ELNS1_3repE0EEENS1_30default_config_static_selectorELNS0_4arch9wavefront6targetE1EEEvSP_.kd
    .uniform_work_group_size: 1
    .uses_dynamic_stack: false
    .vgpr_count:     14
    .vgpr_spill_count: 0
    .wavefront_size: 64
  - .agpr_count:     0
    .args:
      - .offset:         0
        .size:           56
        .value_kind:     by_value
    .group_segment_fixed_size: 0
    .kernarg_segment_align: 8
    .kernarg_segment_size: 56
    .language:       OpenCL C
    .language_version:
      - 2
      - 0
    .max_flat_workgroup_size: 64
    .name:           _ZN7rocprim17ROCPRIM_400000_NS6detail17trampoline_kernelINS0_14default_configENS1_27upper_bound_config_selectorIdiEEZNS1_14transform_implILb0ES3_S5_N6thrust23THRUST_200600_302600_NS6detail15normal_iteratorINS8_10device_ptrIdEEEENSA_INSB_IiEEEEZNS1_13binary_searchIS3_S5_SD_SD_SF_NS1_21upper_bound_search_opENS9_16wrapped_functionINS0_4lessIvEEbEEEE10hipError_tPvRmT1_T2_T3_mmT4_T5_P12ihipStream_tbEUlRKdE_EESM_SQ_SR_mSS_SV_bEUlT_E_NS1_11comp_targetILNS1_3genE3ELNS1_11target_archE908ELNS1_3gpuE7ELNS1_3repE0EEENS1_30default_config_static_selectorELNS0_4arch9wavefront6targetE1EEEvSP_
    .private_segment_fixed_size: 0
    .sgpr_count:     4
    .sgpr_spill_count: 0
    .symbol:         _ZN7rocprim17ROCPRIM_400000_NS6detail17trampoline_kernelINS0_14default_configENS1_27upper_bound_config_selectorIdiEEZNS1_14transform_implILb0ES3_S5_N6thrust23THRUST_200600_302600_NS6detail15normal_iteratorINS8_10device_ptrIdEEEENSA_INSB_IiEEEEZNS1_13binary_searchIS3_S5_SD_SD_SF_NS1_21upper_bound_search_opENS9_16wrapped_functionINS0_4lessIvEEbEEEE10hipError_tPvRmT1_T2_T3_mmT4_T5_P12ihipStream_tbEUlRKdE_EESM_SQ_SR_mSS_SV_bEUlT_E_NS1_11comp_targetILNS1_3genE3ELNS1_11target_archE908ELNS1_3gpuE7ELNS1_3repE0EEENS1_30default_config_static_selectorELNS0_4arch9wavefront6targetE1EEEvSP_.kd
    .uniform_work_group_size: 1
    .uses_dynamic_stack: false
    .vgpr_count:     0
    .vgpr_spill_count: 0
    .wavefront_size: 64
  - .agpr_count:     0
    .args:
      - .offset:         0
        .size:           56
        .value_kind:     by_value
    .group_segment_fixed_size: 0
    .kernarg_segment_align: 8
    .kernarg_segment_size: 56
    .language:       OpenCL C
    .language_version:
      - 2
      - 0
    .max_flat_workgroup_size: 256
    .name:           _ZN7rocprim17ROCPRIM_400000_NS6detail17trampoline_kernelINS0_14default_configENS1_27upper_bound_config_selectorIdiEEZNS1_14transform_implILb0ES3_S5_N6thrust23THRUST_200600_302600_NS6detail15normal_iteratorINS8_10device_ptrIdEEEENSA_INSB_IiEEEEZNS1_13binary_searchIS3_S5_SD_SD_SF_NS1_21upper_bound_search_opENS9_16wrapped_functionINS0_4lessIvEEbEEEE10hipError_tPvRmT1_T2_T3_mmT4_T5_P12ihipStream_tbEUlRKdE_EESM_SQ_SR_mSS_SV_bEUlT_E_NS1_11comp_targetILNS1_3genE2ELNS1_11target_archE906ELNS1_3gpuE6ELNS1_3repE0EEENS1_30default_config_static_selectorELNS0_4arch9wavefront6targetE1EEEvSP_
    .private_segment_fixed_size: 0
    .sgpr_count:     4
    .sgpr_spill_count: 0
    .symbol:         _ZN7rocprim17ROCPRIM_400000_NS6detail17trampoline_kernelINS0_14default_configENS1_27upper_bound_config_selectorIdiEEZNS1_14transform_implILb0ES3_S5_N6thrust23THRUST_200600_302600_NS6detail15normal_iteratorINS8_10device_ptrIdEEEENSA_INSB_IiEEEEZNS1_13binary_searchIS3_S5_SD_SD_SF_NS1_21upper_bound_search_opENS9_16wrapped_functionINS0_4lessIvEEbEEEE10hipError_tPvRmT1_T2_T3_mmT4_T5_P12ihipStream_tbEUlRKdE_EESM_SQ_SR_mSS_SV_bEUlT_E_NS1_11comp_targetILNS1_3genE2ELNS1_11target_archE906ELNS1_3gpuE6ELNS1_3repE0EEENS1_30default_config_static_selectorELNS0_4arch9wavefront6targetE1EEEvSP_.kd
    .uniform_work_group_size: 1
    .uses_dynamic_stack: false
    .vgpr_count:     0
    .vgpr_spill_count: 0
    .wavefront_size: 64
  - .agpr_count:     0
    .args:
      - .offset:         0
        .size:           56
        .value_kind:     by_value
    .group_segment_fixed_size: 0
    .kernarg_segment_align: 8
    .kernarg_segment_size: 56
    .language:       OpenCL C
    .language_version:
      - 2
      - 0
    .max_flat_workgroup_size: 128
    .name:           _ZN7rocprim17ROCPRIM_400000_NS6detail17trampoline_kernelINS0_14default_configENS1_27upper_bound_config_selectorIdiEEZNS1_14transform_implILb0ES3_S5_N6thrust23THRUST_200600_302600_NS6detail15normal_iteratorINS8_10device_ptrIdEEEENSA_INSB_IiEEEEZNS1_13binary_searchIS3_S5_SD_SD_SF_NS1_21upper_bound_search_opENS9_16wrapped_functionINS0_4lessIvEEbEEEE10hipError_tPvRmT1_T2_T3_mmT4_T5_P12ihipStream_tbEUlRKdE_EESM_SQ_SR_mSS_SV_bEUlT_E_NS1_11comp_targetILNS1_3genE10ELNS1_11target_archE1201ELNS1_3gpuE5ELNS1_3repE0EEENS1_30default_config_static_selectorELNS0_4arch9wavefront6targetE1EEEvSP_
    .private_segment_fixed_size: 0
    .sgpr_count:     4
    .sgpr_spill_count: 0
    .symbol:         _ZN7rocprim17ROCPRIM_400000_NS6detail17trampoline_kernelINS0_14default_configENS1_27upper_bound_config_selectorIdiEEZNS1_14transform_implILb0ES3_S5_N6thrust23THRUST_200600_302600_NS6detail15normal_iteratorINS8_10device_ptrIdEEEENSA_INSB_IiEEEEZNS1_13binary_searchIS3_S5_SD_SD_SF_NS1_21upper_bound_search_opENS9_16wrapped_functionINS0_4lessIvEEbEEEE10hipError_tPvRmT1_T2_T3_mmT4_T5_P12ihipStream_tbEUlRKdE_EESM_SQ_SR_mSS_SV_bEUlT_E_NS1_11comp_targetILNS1_3genE10ELNS1_11target_archE1201ELNS1_3gpuE5ELNS1_3repE0EEENS1_30default_config_static_selectorELNS0_4arch9wavefront6targetE1EEEvSP_.kd
    .uniform_work_group_size: 1
    .uses_dynamic_stack: false
    .vgpr_count:     0
    .vgpr_spill_count: 0
    .wavefront_size: 64
  - .agpr_count:     0
    .args:
      - .offset:         0
        .size:           56
        .value_kind:     by_value
    .group_segment_fixed_size: 0
    .kernarg_segment_align: 8
    .kernarg_segment_size: 56
    .language:       OpenCL C
    .language_version:
      - 2
      - 0
    .max_flat_workgroup_size: 128
    .name:           _ZN7rocprim17ROCPRIM_400000_NS6detail17trampoline_kernelINS0_14default_configENS1_27upper_bound_config_selectorIdiEEZNS1_14transform_implILb0ES3_S5_N6thrust23THRUST_200600_302600_NS6detail15normal_iteratorINS8_10device_ptrIdEEEENSA_INSB_IiEEEEZNS1_13binary_searchIS3_S5_SD_SD_SF_NS1_21upper_bound_search_opENS9_16wrapped_functionINS0_4lessIvEEbEEEE10hipError_tPvRmT1_T2_T3_mmT4_T5_P12ihipStream_tbEUlRKdE_EESM_SQ_SR_mSS_SV_bEUlT_E_NS1_11comp_targetILNS1_3genE10ELNS1_11target_archE1200ELNS1_3gpuE4ELNS1_3repE0EEENS1_30default_config_static_selectorELNS0_4arch9wavefront6targetE1EEEvSP_
    .private_segment_fixed_size: 0
    .sgpr_count:     4
    .sgpr_spill_count: 0
    .symbol:         _ZN7rocprim17ROCPRIM_400000_NS6detail17trampoline_kernelINS0_14default_configENS1_27upper_bound_config_selectorIdiEEZNS1_14transform_implILb0ES3_S5_N6thrust23THRUST_200600_302600_NS6detail15normal_iteratorINS8_10device_ptrIdEEEENSA_INSB_IiEEEEZNS1_13binary_searchIS3_S5_SD_SD_SF_NS1_21upper_bound_search_opENS9_16wrapped_functionINS0_4lessIvEEbEEEE10hipError_tPvRmT1_T2_T3_mmT4_T5_P12ihipStream_tbEUlRKdE_EESM_SQ_SR_mSS_SV_bEUlT_E_NS1_11comp_targetILNS1_3genE10ELNS1_11target_archE1200ELNS1_3gpuE4ELNS1_3repE0EEENS1_30default_config_static_selectorELNS0_4arch9wavefront6targetE1EEEvSP_.kd
    .uniform_work_group_size: 1
    .uses_dynamic_stack: false
    .vgpr_count:     0
    .vgpr_spill_count: 0
    .wavefront_size: 64
  - .agpr_count:     0
    .args:
      - .offset:         0
        .size:           56
        .value_kind:     by_value
    .group_segment_fixed_size: 0
    .kernarg_segment_align: 8
    .kernarg_segment_size: 56
    .language:       OpenCL C
    .language_version:
      - 2
      - 0
    .max_flat_workgroup_size: 64
    .name:           _ZN7rocprim17ROCPRIM_400000_NS6detail17trampoline_kernelINS0_14default_configENS1_27upper_bound_config_selectorIdiEEZNS1_14transform_implILb0ES3_S5_N6thrust23THRUST_200600_302600_NS6detail15normal_iteratorINS8_10device_ptrIdEEEENSA_INSB_IiEEEEZNS1_13binary_searchIS3_S5_SD_SD_SF_NS1_21upper_bound_search_opENS9_16wrapped_functionINS0_4lessIvEEbEEEE10hipError_tPvRmT1_T2_T3_mmT4_T5_P12ihipStream_tbEUlRKdE_EESM_SQ_SR_mSS_SV_bEUlT_E_NS1_11comp_targetILNS1_3genE9ELNS1_11target_archE1100ELNS1_3gpuE3ELNS1_3repE0EEENS1_30default_config_static_selectorELNS0_4arch9wavefront6targetE1EEEvSP_
    .private_segment_fixed_size: 0
    .sgpr_count:     4
    .sgpr_spill_count: 0
    .symbol:         _ZN7rocprim17ROCPRIM_400000_NS6detail17trampoline_kernelINS0_14default_configENS1_27upper_bound_config_selectorIdiEEZNS1_14transform_implILb0ES3_S5_N6thrust23THRUST_200600_302600_NS6detail15normal_iteratorINS8_10device_ptrIdEEEENSA_INSB_IiEEEEZNS1_13binary_searchIS3_S5_SD_SD_SF_NS1_21upper_bound_search_opENS9_16wrapped_functionINS0_4lessIvEEbEEEE10hipError_tPvRmT1_T2_T3_mmT4_T5_P12ihipStream_tbEUlRKdE_EESM_SQ_SR_mSS_SV_bEUlT_E_NS1_11comp_targetILNS1_3genE9ELNS1_11target_archE1100ELNS1_3gpuE3ELNS1_3repE0EEENS1_30default_config_static_selectorELNS0_4arch9wavefront6targetE1EEEvSP_.kd
    .uniform_work_group_size: 1
    .uses_dynamic_stack: false
    .vgpr_count:     0
    .vgpr_spill_count: 0
    .wavefront_size: 64
  - .agpr_count:     0
    .args:
      - .offset:         0
        .size:           56
        .value_kind:     by_value
    .group_segment_fixed_size: 0
    .kernarg_segment_align: 8
    .kernarg_segment_size: 56
    .language:       OpenCL C
    .language_version:
      - 2
      - 0
    .max_flat_workgroup_size: 256
    .name:           _ZN7rocprim17ROCPRIM_400000_NS6detail17trampoline_kernelINS0_14default_configENS1_27upper_bound_config_selectorIdiEEZNS1_14transform_implILb0ES3_S5_N6thrust23THRUST_200600_302600_NS6detail15normal_iteratorINS8_10device_ptrIdEEEENSA_INSB_IiEEEEZNS1_13binary_searchIS3_S5_SD_SD_SF_NS1_21upper_bound_search_opENS9_16wrapped_functionINS0_4lessIvEEbEEEE10hipError_tPvRmT1_T2_T3_mmT4_T5_P12ihipStream_tbEUlRKdE_EESM_SQ_SR_mSS_SV_bEUlT_E_NS1_11comp_targetILNS1_3genE8ELNS1_11target_archE1030ELNS1_3gpuE2ELNS1_3repE0EEENS1_30default_config_static_selectorELNS0_4arch9wavefront6targetE1EEEvSP_
    .private_segment_fixed_size: 0
    .sgpr_count:     4
    .sgpr_spill_count: 0
    .symbol:         _ZN7rocprim17ROCPRIM_400000_NS6detail17trampoline_kernelINS0_14default_configENS1_27upper_bound_config_selectorIdiEEZNS1_14transform_implILb0ES3_S5_N6thrust23THRUST_200600_302600_NS6detail15normal_iteratorINS8_10device_ptrIdEEEENSA_INSB_IiEEEEZNS1_13binary_searchIS3_S5_SD_SD_SF_NS1_21upper_bound_search_opENS9_16wrapped_functionINS0_4lessIvEEbEEEE10hipError_tPvRmT1_T2_T3_mmT4_T5_P12ihipStream_tbEUlRKdE_EESM_SQ_SR_mSS_SV_bEUlT_E_NS1_11comp_targetILNS1_3genE8ELNS1_11target_archE1030ELNS1_3gpuE2ELNS1_3repE0EEENS1_30default_config_static_selectorELNS0_4arch9wavefront6targetE1EEEvSP_.kd
    .uniform_work_group_size: 1
    .uses_dynamic_stack: false
    .vgpr_count:     0
    .vgpr_spill_count: 0
    .wavefront_size: 64
  - .agpr_count:     0
    .args:
      - .offset:         0
        .size:           56
        .value_kind:     by_value
    .group_segment_fixed_size: 0
    .kernarg_segment_align: 8
    .kernarg_segment_size: 56
    .language:       OpenCL C
    .language_version:
      - 2
      - 0
    .max_flat_workgroup_size: 256
    .name:           _ZN7rocprim17ROCPRIM_400000_NS6detail17trampoline_kernelINS0_14default_configENS1_27upper_bound_config_selectorIfiEEZNS1_14transform_implILb0ES3_S5_N6thrust23THRUST_200600_302600_NS6detail15normal_iteratorINS8_10device_ptrIfEEEENSA_INSB_IiEEEEZNS1_13binary_searchIS3_S5_SD_SD_SF_NS1_21upper_bound_search_opENS9_16wrapped_functionINS0_4lessIvEEbEEEE10hipError_tPvRmT1_T2_T3_mmT4_T5_P12ihipStream_tbEUlRKfE_EESM_SQ_SR_mSS_SV_bEUlT_E_NS1_11comp_targetILNS1_3genE0ELNS1_11target_archE4294967295ELNS1_3gpuE0ELNS1_3repE0EEENS1_30default_config_static_selectorELNS0_4arch9wavefront6targetE1EEEvSP_
    .private_segment_fixed_size: 0
    .sgpr_count:     4
    .sgpr_spill_count: 0
    .symbol:         _ZN7rocprim17ROCPRIM_400000_NS6detail17trampoline_kernelINS0_14default_configENS1_27upper_bound_config_selectorIfiEEZNS1_14transform_implILb0ES3_S5_N6thrust23THRUST_200600_302600_NS6detail15normal_iteratorINS8_10device_ptrIfEEEENSA_INSB_IiEEEEZNS1_13binary_searchIS3_S5_SD_SD_SF_NS1_21upper_bound_search_opENS9_16wrapped_functionINS0_4lessIvEEbEEEE10hipError_tPvRmT1_T2_T3_mmT4_T5_P12ihipStream_tbEUlRKfE_EESM_SQ_SR_mSS_SV_bEUlT_E_NS1_11comp_targetILNS1_3genE0ELNS1_11target_archE4294967295ELNS1_3gpuE0ELNS1_3repE0EEENS1_30default_config_static_selectorELNS0_4arch9wavefront6targetE1EEEvSP_.kd
    .uniform_work_group_size: 1
    .uses_dynamic_stack: false
    .vgpr_count:     0
    .vgpr_spill_count: 0
    .wavefront_size: 64
  - .agpr_count:     0
    .args:
      - .offset:         0
        .size:           56
        .value_kind:     by_value
    .group_segment_fixed_size: 0
    .kernarg_segment_align: 8
    .kernarg_segment_size: 56
    .language:       OpenCL C
    .language_version:
      - 2
      - 0
    .max_flat_workgroup_size: 256
    .name:           _ZN7rocprim17ROCPRIM_400000_NS6detail17trampoline_kernelINS0_14default_configENS1_27upper_bound_config_selectorIfiEEZNS1_14transform_implILb0ES3_S5_N6thrust23THRUST_200600_302600_NS6detail15normal_iteratorINS8_10device_ptrIfEEEENSA_INSB_IiEEEEZNS1_13binary_searchIS3_S5_SD_SD_SF_NS1_21upper_bound_search_opENS9_16wrapped_functionINS0_4lessIvEEbEEEE10hipError_tPvRmT1_T2_T3_mmT4_T5_P12ihipStream_tbEUlRKfE_EESM_SQ_SR_mSS_SV_bEUlT_E_NS1_11comp_targetILNS1_3genE5ELNS1_11target_archE942ELNS1_3gpuE9ELNS1_3repE0EEENS1_30default_config_static_selectorELNS0_4arch9wavefront6targetE1EEEvSP_
    .private_segment_fixed_size: 0
    .sgpr_count:     4
    .sgpr_spill_count: 0
    .symbol:         _ZN7rocprim17ROCPRIM_400000_NS6detail17trampoline_kernelINS0_14default_configENS1_27upper_bound_config_selectorIfiEEZNS1_14transform_implILb0ES3_S5_N6thrust23THRUST_200600_302600_NS6detail15normal_iteratorINS8_10device_ptrIfEEEENSA_INSB_IiEEEEZNS1_13binary_searchIS3_S5_SD_SD_SF_NS1_21upper_bound_search_opENS9_16wrapped_functionINS0_4lessIvEEbEEEE10hipError_tPvRmT1_T2_T3_mmT4_T5_P12ihipStream_tbEUlRKfE_EESM_SQ_SR_mSS_SV_bEUlT_E_NS1_11comp_targetILNS1_3genE5ELNS1_11target_archE942ELNS1_3gpuE9ELNS1_3repE0EEENS1_30default_config_static_selectorELNS0_4arch9wavefront6targetE1EEEvSP_.kd
    .uniform_work_group_size: 1
    .uses_dynamic_stack: false
    .vgpr_count:     0
    .vgpr_spill_count: 0
    .wavefront_size: 64
  - .agpr_count:     0
    .args:
      - .offset:         0
        .size:           56
        .value_kind:     by_value
      - .offset:         56
        .size:           4
        .value_kind:     hidden_block_count_x
      - .offset:         60
        .size:           4
        .value_kind:     hidden_block_count_y
      - .offset:         64
        .size:           4
        .value_kind:     hidden_block_count_z
      - .offset:         68
        .size:           2
        .value_kind:     hidden_group_size_x
      - .offset:         70
        .size:           2
        .value_kind:     hidden_group_size_y
      - .offset:         72
        .size:           2
        .value_kind:     hidden_group_size_z
      - .offset:         74
        .size:           2
        .value_kind:     hidden_remainder_x
      - .offset:         76
        .size:           2
        .value_kind:     hidden_remainder_y
      - .offset:         78
        .size:           2
        .value_kind:     hidden_remainder_z
      - .offset:         96
        .size:           8
        .value_kind:     hidden_global_offset_x
      - .offset:         104
        .size:           8
        .value_kind:     hidden_global_offset_y
      - .offset:         112
        .size:           8
        .value_kind:     hidden_global_offset_z
      - .offset:         120
        .size:           2
        .value_kind:     hidden_grid_dims
    .group_segment_fixed_size: 0
    .kernarg_segment_align: 8
    .kernarg_segment_size: 312
    .language:       OpenCL C
    .language_version:
      - 2
      - 0
    .max_flat_workgroup_size: 256
    .name:           _ZN7rocprim17ROCPRIM_400000_NS6detail17trampoline_kernelINS0_14default_configENS1_27upper_bound_config_selectorIfiEEZNS1_14transform_implILb0ES3_S5_N6thrust23THRUST_200600_302600_NS6detail15normal_iteratorINS8_10device_ptrIfEEEENSA_INSB_IiEEEEZNS1_13binary_searchIS3_S5_SD_SD_SF_NS1_21upper_bound_search_opENS9_16wrapped_functionINS0_4lessIvEEbEEEE10hipError_tPvRmT1_T2_T3_mmT4_T5_P12ihipStream_tbEUlRKfE_EESM_SQ_SR_mSS_SV_bEUlT_E_NS1_11comp_targetILNS1_3genE4ELNS1_11target_archE910ELNS1_3gpuE8ELNS1_3repE0EEENS1_30default_config_static_selectorELNS0_4arch9wavefront6targetE1EEEvSP_
    .private_segment_fixed_size: 0
    .sgpr_count:     22
    .sgpr_spill_count: 0
    .symbol:         _ZN7rocprim17ROCPRIM_400000_NS6detail17trampoline_kernelINS0_14default_configENS1_27upper_bound_config_selectorIfiEEZNS1_14transform_implILb0ES3_S5_N6thrust23THRUST_200600_302600_NS6detail15normal_iteratorINS8_10device_ptrIfEEEENSA_INSB_IiEEEEZNS1_13binary_searchIS3_S5_SD_SD_SF_NS1_21upper_bound_search_opENS9_16wrapped_functionINS0_4lessIvEEbEEEE10hipError_tPvRmT1_T2_T3_mmT4_T5_P12ihipStream_tbEUlRKfE_EESM_SQ_SR_mSS_SV_bEUlT_E_NS1_11comp_targetILNS1_3genE4ELNS1_11target_archE910ELNS1_3gpuE8ELNS1_3repE0EEENS1_30default_config_static_selectorELNS0_4arch9wavefront6targetE1EEEvSP_.kd
    .uniform_work_group_size: 1
    .uses_dynamic_stack: false
    .vgpr_count:     12
    .vgpr_spill_count: 0
    .wavefront_size: 64
  - .agpr_count:     0
    .args:
      - .offset:         0
        .size:           56
        .value_kind:     by_value
    .group_segment_fixed_size: 0
    .kernarg_segment_align: 8
    .kernarg_segment_size: 56
    .language:       OpenCL C
    .language_version:
      - 2
      - 0
    .max_flat_workgroup_size: 256
    .name:           _ZN7rocprim17ROCPRIM_400000_NS6detail17trampoline_kernelINS0_14default_configENS1_27upper_bound_config_selectorIfiEEZNS1_14transform_implILb0ES3_S5_N6thrust23THRUST_200600_302600_NS6detail15normal_iteratorINS8_10device_ptrIfEEEENSA_INSB_IiEEEEZNS1_13binary_searchIS3_S5_SD_SD_SF_NS1_21upper_bound_search_opENS9_16wrapped_functionINS0_4lessIvEEbEEEE10hipError_tPvRmT1_T2_T3_mmT4_T5_P12ihipStream_tbEUlRKfE_EESM_SQ_SR_mSS_SV_bEUlT_E_NS1_11comp_targetILNS1_3genE3ELNS1_11target_archE908ELNS1_3gpuE7ELNS1_3repE0EEENS1_30default_config_static_selectorELNS0_4arch9wavefront6targetE1EEEvSP_
    .private_segment_fixed_size: 0
    .sgpr_count:     4
    .sgpr_spill_count: 0
    .symbol:         _ZN7rocprim17ROCPRIM_400000_NS6detail17trampoline_kernelINS0_14default_configENS1_27upper_bound_config_selectorIfiEEZNS1_14transform_implILb0ES3_S5_N6thrust23THRUST_200600_302600_NS6detail15normal_iteratorINS8_10device_ptrIfEEEENSA_INSB_IiEEEEZNS1_13binary_searchIS3_S5_SD_SD_SF_NS1_21upper_bound_search_opENS9_16wrapped_functionINS0_4lessIvEEbEEEE10hipError_tPvRmT1_T2_T3_mmT4_T5_P12ihipStream_tbEUlRKfE_EESM_SQ_SR_mSS_SV_bEUlT_E_NS1_11comp_targetILNS1_3genE3ELNS1_11target_archE908ELNS1_3gpuE7ELNS1_3repE0EEENS1_30default_config_static_selectorELNS0_4arch9wavefront6targetE1EEEvSP_.kd
    .uniform_work_group_size: 1
    .uses_dynamic_stack: false
    .vgpr_count:     0
    .vgpr_spill_count: 0
    .wavefront_size: 64
  - .agpr_count:     0
    .args:
      - .offset:         0
        .size:           56
        .value_kind:     by_value
    .group_segment_fixed_size: 0
    .kernarg_segment_align: 8
    .kernarg_segment_size: 56
    .language:       OpenCL C
    .language_version:
      - 2
      - 0
    .max_flat_workgroup_size: 256
    .name:           _ZN7rocprim17ROCPRIM_400000_NS6detail17trampoline_kernelINS0_14default_configENS1_27upper_bound_config_selectorIfiEEZNS1_14transform_implILb0ES3_S5_N6thrust23THRUST_200600_302600_NS6detail15normal_iteratorINS8_10device_ptrIfEEEENSA_INSB_IiEEEEZNS1_13binary_searchIS3_S5_SD_SD_SF_NS1_21upper_bound_search_opENS9_16wrapped_functionINS0_4lessIvEEbEEEE10hipError_tPvRmT1_T2_T3_mmT4_T5_P12ihipStream_tbEUlRKfE_EESM_SQ_SR_mSS_SV_bEUlT_E_NS1_11comp_targetILNS1_3genE2ELNS1_11target_archE906ELNS1_3gpuE6ELNS1_3repE0EEENS1_30default_config_static_selectorELNS0_4arch9wavefront6targetE1EEEvSP_
    .private_segment_fixed_size: 0
    .sgpr_count:     4
    .sgpr_spill_count: 0
    .symbol:         _ZN7rocprim17ROCPRIM_400000_NS6detail17trampoline_kernelINS0_14default_configENS1_27upper_bound_config_selectorIfiEEZNS1_14transform_implILb0ES3_S5_N6thrust23THRUST_200600_302600_NS6detail15normal_iteratorINS8_10device_ptrIfEEEENSA_INSB_IiEEEEZNS1_13binary_searchIS3_S5_SD_SD_SF_NS1_21upper_bound_search_opENS9_16wrapped_functionINS0_4lessIvEEbEEEE10hipError_tPvRmT1_T2_T3_mmT4_T5_P12ihipStream_tbEUlRKfE_EESM_SQ_SR_mSS_SV_bEUlT_E_NS1_11comp_targetILNS1_3genE2ELNS1_11target_archE906ELNS1_3gpuE6ELNS1_3repE0EEENS1_30default_config_static_selectorELNS0_4arch9wavefront6targetE1EEEvSP_.kd
    .uniform_work_group_size: 1
    .uses_dynamic_stack: false
    .vgpr_count:     0
    .vgpr_spill_count: 0
    .wavefront_size: 64
  - .agpr_count:     0
    .args:
      - .offset:         0
        .size:           56
        .value_kind:     by_value
    .group_segment_fixed_size: 0
    .kernarg_segment_align: 8
    .kernarg_segment_size: 56
    .language:       OpenCL C
    .language_version:
      - 2
      - 0
    .max_flat_workgroup_size: 128
    .name:           _ZN7rocprim17ROCPRIM_400000_NS6detail17trampoline_kernelINS0_14default_configENS1_27upper_bound_config_selectorIfiEEZNS1_14transform_implILb0ES3_S5_N6thrust23THRUST_200600_302600_NS6detail15normal_iteratorINS8_10device_ptrIfEEEENSA_INSB_IiEEEEZNS1_13binary_searchIS3_S5_SD_SD_SF_NS1_21upper_bound_search_opENS9_16wrapped_functionINS0_4lessIvEEbEEEE10hipError_tPvRmT1_T2_T3_mmT4_T5_P12ihipStream_tbEUlRKfE_EESM_SQ_SR_mSS_SV_bEUlT_E_NS1_11comp_targetILNS1_3genE10ELNS1_11target_archE1201ELNS1_3gpuE5ELNS1_3repE0EEENS1_30default_config_static_selectorELNS0_4arch9wavefront6targetE1EEEvSP_
    .private_segment_fixed_size: 0
    .sgpr_count:     4
    .sgpr_spill_count: 0
    .symbol:         _ZN7rocprim17ROCPRIM_400000_NS6detail17trampoline_kernelINS0_14default_configENS1_27upper_bound_config_selectorIfiEEZNS1_14transform_implILb0ES3_S5_N6thrust23THRUST_200600_302600_NS6detail15normal_iteratorINS8_10device_ptrIfEEEENSA_INSB_IiEEEEZNS1_13binary_searchIS3_S5_SD_SD_SF_NS1_21upper_bound_search_opENS9_16wrapped_functionINS0_4lessIvEEbEEEE10hipError_tPvRmT1_T2_T3_mmT4_T5_P12ihipStream_tbEUlRKfE_EESM_SQ_SR_mSS_SV_bEUlT_E_NS1_11comp_targetILNS1_3genE10ELNS1_11target_archE1201ELNS1_3gpuE5ELNS1_3repE0EEENS1_30default_config_static_selectorELNS0_4arch9wavefront6targetE1EEEvSP_.kd
    .uniform_work_group_size: 1
    .uses_dynamic_stack: false
    .vgpr_count:     0
    .vgpr_spill_count: 0
    .wavefront_size: 64
  - .agpr_count:     0
    .args:
      - .offset:         0
        .size:           56
        .value_kind:     by_value
    .group_segment_fixed_size: 0
    .kernarg_segment_align: 8
    .kernarg_segment_size: 56
    .language:       OpenCL C
    .language_version:
      - 2
      - 0
    .max_flat_workgroup_size: 128
    .name:           _ZN7rocprim17ROCPRIM_400000_NS6detail17trampoline_kernelINS0_14default_configENS1_27upper_bound_config_selectorIfiEEZNS1_14transform_implILb0ES3_S5_N6thrust23THRUST_200600_302600_NS6detail15normal_iteratorINS8_10device_ptrIfEEEENSA_INSB_IiEEEEZNS1_13binary_searchIS3_S5_SD_SD_SF_NS1_21upper_bound_search_opENS9_16wrapped_functionINS0_4lessIvEEbEEEE10hipError_tPvRmT1_T2_T3_mmT4_T5_P12ihipStream_tbEUlRKfE_EESM_SQ_SR_mSS_SV_bEUlT_E_NS1_11comp_targetILNS1_3genE10ELNS1_11target_archE1200ELNS1_3gpuE4ELNS1_3repE0EEENS1_30default_config_static_selectorELNS0_4arch9wavefront6targetE1EEEvSP_
    .private_segment_fixed_size: 0
    .sgpr_count:     4
    .sgpr_spill_count: 0
    .symbol:         _ZN7rocprim17ROCPRIM_400000_NS6detail17trampoline_kernelINS0_14default_configENS1_27upper_bound_config_selectorIfiEEZNS1_14transform_implILb0ES3_S5_N6thrust23THRUST_200600_302600_NS6detail15normal_iteratorINS8_10device_ptrIfEEEENSA_INSB_IiEEEEZNS1_13binary_searchIS3_S5_SD_SD_SF_NS1_21upper_bound_search_opENS9_16wrapped_functionINS0_4lessIvEEbEEEE10hipError_tPvRmT1_T2_T3_mmT4_T5_P12ihipStream_tbEUlRKfE_EESM_SQ_SR_mSS_SV_bEUlT_E_NS1_11comp_targetILNS1_3genE10ELNS1_11target_archE1200ELNS1_3gpuE4ELNS1_3repE0EEENS1_30default_config_static_selectorELNS0_4arch9wavefront6targetE1EEEvSP_.kd
    .uniform_work_group_size: 1
    .uses_dynamic_stack: false
    .vgpr_count:     0
    .vgpr_spill_count: 0
    .wavefront_size: 64
  - .agpr_count:     0
    .args:
      - .offset:         0
        .size:           56
        .value_kind:     by_value
    .group_segment_fixed_size: 0
    .kernarg_segment_align: 8
    .kernarg_segment_size: 56
    .language:       OpenCL C
    .language_version:
      - 2
      - 0
    .max_flat_workgroup_size: 256
    .name:           _ZN7rocprim17ROCPRIM_400000_NS6detail17trampoline_kernelINS0_14default_configENS1_27upper_bound_config_selectorIfiEEZNS1_14transform_implILb0ES3_S5_N6thrust23THRUST_200600_302600_NS6detail15normal_iteratorINS8_10device_ptrIfEEEENSA_INSB_IiEEEEZNS1_13binary_searchIS3_S5_SD_SD_SF_NS1_21upper_bound_search_opENS9_16wrapped_functionINS0_4lessIvEEbEEEE10hipError_tPvRmT1_T2_T3_mmT4_T5_P12ihipStream_tbEUlRKfE_EESM_SQ_SR_mSS_SV_bEUlT_E_NS1_11comp_targetILNS1_3genE9ELNS1_11target_archE1100ELNS1_3gpuE3ELNS1_3repE0EEENS1_30default_config_static_selectorELNS0_4arch9wavefront6targetE1EEEvSP_
    .private_segment_fixed_size: 0
    .sgpr_count:     4
    .sgpr_spill_count: 0
    .symbol:         _ZN7rocprim17ROCPRIM_400000_NS6detail17trampoline_kernelINS0_14default_configENS1_27upper_bound_config_selectorIfiEEZNS1_14transform_implILb0ES3_S5_N6thrust23THRUST_200600_302600_NS6detail15normal_iteratorINS8_10device_ptrIfEEEENSA_INSB_IiEEEEZNS1_13binary_searchIS3_S5_SD_SD_SF_NS1_21upper_bound_search_opENS9_16wrapped_functionINS0_4lessIvEEbEEEE10hipError_tPvRmT1_T2_T3_mmT4_T5_P12ihipStream_tbEUlRKfE_EESM_SQ_SR_mSS_SV_bEUlT_E_NS1_11comp_targetILNS1_3genE9ELNS1_11target_archE1100ELNS1_3gpuE3ELNS1_3repE0EEENS1_30default_config_static_selectorELNS0_4arch9wavefront6targetE1EEEvSP_.kd
    .uniform_work_group_size: 1
    .uses_dynamic_stack: false
    .vgpr_count:     0
    .vgpr_spill_count: 0
    .wavefront_size: 64
  - .agpr_count:     0
    .args:
      - .offset:         0
        .size:           56
        .value_kind:     by_value
    .group_segment_fixed_size: 0
    .kernarg_segment_align: 8
    .kernarg_segment_size: 56
    .language:       OpenCL C
    .language_version:
      - 2
      - 0
    .max_flat_workgroup_size: 256
    .name:           _ZN7rocprim17ROCPRIM_400000_NS6detail17trampoline_kernelINS0_14default_configENS1_27upper_bound_config_selectorIfiEEZNS1_14transform_implILb0ES3_S5_N6thrust23THRUST_200600_302600_NS6detail15normal_iteratorINS8_10device_ptrIfEEEENSA_INSB_IiEEEEZNS1_13binary_searchIS3_S5_SD_SD_SF_NS1_21upper_bound_search_opENS9_16wrapped_functionINS0_4lessIvEEbEEEE10hipError_tPvRmT1_T2_T3_mmT4_T5_P12ihipStream_tbEUlRKfE_EESM_SQ_SR_mSS_SV_bEUlT_E_NS1_11comp_targetILNS1_3genE8ELNS1_11target_archE1030ELNS1_3gpuE2ELNS1_3repE0EEENS1_30default_config_static_selectorELNS0_4arch9wavefront6targetE1EEEvSP_
    .private_segment_fixed_size: 0
    .sgpr_count:     4
    .sgpr_spill_count: 0
    .symbol:         _ZN7rocprim17ROCPRIM_400000_NS6detail17trampoline_kernelINS0_14default_configENS1_27upper_bound_config_selectorIfiEEZNS1_14transform_implILb0ES3_S5_N6thrust23THRUST_200600_302600_NS6detail15normal_iteratorINS8_10device_ptrIfEEEENSA_INSB_IiEEEEZNS1_13binary_searchIS3_S5_SD_SD_SF_NS1_21upper_bound_search_opENS9_16wrapped_functionINS0_4lessIvEEbEEEE10hipError_tPvRmT1_T2_T3_mmT4_T5_P12ihipStream_tbEUlRKfE_EESM_SQ_SR_mSS_SV_bEUlT_E_NS1_11comp_targetILNS1_3genE8ELNS1_11target_archE1030ELNS1_3gpuE2ELNS1_3repE0EEENS1_30default_config_static_selectorELNS0_4arch9wavefront6targetE1EEEvSP_.kd
    .uniform_work_group_size: 1
    .uses_dynamic_stack: false
    .vgpr_count:     0
    .vgpr_spill_count: 0
    .wavefront_size: 64
  - .agpr_count:     0
    .args:
      - .offset:         0
        .size:           56
        .value_kind:     by_value
    .group_segment_fixed_size: 0
    .kernarg_segment_align: 8
    .kernarg_segment_size: 56
    .language:       OpenCL C
    .language_version:
      - 2
      - 0
    .max_flat_workgroup_size: 64
    .name:           _ZN7rocprim17ROCPRIM_400000_NS6detail17trampoline_kernelINS0_14default_configENS1_27upper_bound_config_selectorIyiEEZNS1_14transform_implILb0ES3_S5_N6thrust23THRUST_200600_302600_NS6detail15normal_iteratorINS8_10device_ptrIyEEEENSA_INSB_IiEEEEZNS1_13binary_searchIS3_S5_SD_SD_SF_NS1_21upper_bound_search_opENS9_16wrapped_functionINS0_4lessIvEEbEEEE10hipError_tPvRmT1_T2_T3_mmT4_T5_P12ihipStream_tbEUlRKyE_EESM_SQ_SR_mSS_SV_bEUlT_E_NS1_11comp_targetILNS1_3genE0ELNS1_11target_archE4294967295ELNS1_3gpuE0ELNS1_3repE0EEENS1_30default_config_static_selectorELNS0_4arch9wavefront6targetE1EEEvSP_
    .private_segment_fixed_size: 0
    .sgpr_count:     4
    .sgpr_spill_count: 0
    .symbol:         _ZN7rocprim17ROCPRIM_400000_NS6detail17trampoline_kernelINS0_14default_configENS1_27upper_bound_config_selectorIyiEEZNS1_14transform_implILb0ES3_S5_N6thrust23THRUST_200600_302600_NS6detail15normal_iteratorINS8_10device_ptrIyEEEENSA_INSB_IiEEEEZNS1_13binary_searchIS3_S5_SD_SD_SF_NS1_21upper_bound_search_opENS9_16wrapped_functionINS0_4lessIvEEbEEEE10hipError_tPvRmT1_T2_T3_mmT4_T5_P12ihipStream_tbEUlRKyE_EESM_SQ_SR_mSS_SV_bEUlT_E_NS1_11comp_targetILNS1_3genE0ELNS1_11target_archE4294967295ELNS1_3gpuE0ELNS1_3repE0EEENS1_30default_config_static_selectorELNS0_4arch9wavefront6targetE1EEEvSP_.kd
    .uniform_work_group_size: 1
    .uses_dynamic_stack: false
    .vgpr_count:     0
    .vgpr_spill_count: 0
    .wavefront_size: 64
  - .agpr_count:     0
    .args:
      - .offset:         0
        .size:           56
        .value_kind:     by_value
    .group_segment_fixed_size: 0
    .kernarg_segment_align: 8
    .kernarg_segment_size: 56
    .language:       OpenCL C
    .language_version:
      - 2
      - 0
    .max_flat_workgroup_size: 64
    .name:           _ZN7rocprim17ROCPRIM_400000_NS6detail17trampoline_kernelINS0_14default_configENS1_27upper_bound_config_selectorIyiEEZNS1_14transform_implILb0ES3_S5_N6thrust23THRUST_200600_302600_NS6detail15normal_iteratorINS8_10device_ptrIyEEEENSA_INSB_IiEEEEZNS1_13binary_searchIS3_S5_SD_SD_SF_NS1_21upper_bound_search_opENS9_16wrapped_functionINS0_4lessIvEEbEEEE10hipError_tPvRmT1_T2_T3_mmT4_T5_P12ihipStream_tbEUlRKyE_EESM_SQ_SR_mSS_SV_bEUlT_E_NS1_11comp_targetILNS1_3genE5ELNS1_11target_archE942ELNS1_3gpuE9ELNS1_3repE0EEENS1_30default_config_static_selectorELNS0_4arch9wavefront6targetE1EEEvSP_
    .private_segment_fixed_size: 0
    .sgpr_count:     4
    .sgpr_spill_count: 0
    .symbol:         _ZN7rocprim17ROCPRIM_400000_NS6detail17trampoline_kernelINS0_14default_configENS1_27upper_bound_config_selectorIyiEEZNS1_14transform_implILb0ES3_S5_N6thrust23THRUST_200600_302600_NS6detail15normal_iteratorINS8_10device_ptrIyEEEENSA_INSB_IiEEEEZNS1_13binary_searchIS3_S5_SD_SD_SF_NS1_21upper_bound_search_opENS9_16wrapped_functionINS0_4lessIvEEbEEEE10hipError_tPvRmT1_T2_T3_mmT4_T5_P12ihipStream_tbEUlRKyE_EESM_SQ_SR_mSS_SV_bEUlT_E_NS1_11comp_targetILNS1_3genE5ELNS1_11target_archE942ELNS1_3gpuE9ELNS1_3repE0EEENS1_30default_config_static_selectorELNS0_4arch9wavefront6targetE1EEEvSP_.kd
    .uniform_work_group_size: 1
    .uses_dynamic_stack: false
    .vgpr_count:     0
    .vgpr_spill_count: 0
    .wavefront_size: 64
  - .agpr_count:     0
    .args:
      - .offset:         0
        .size:           56
        .value_kind:     by_value
      - .offset:         56
        .size:           4
        .value_kind:     hidden_block_count_x
      - .offset:         60
        .size:           4
        .value_kind:     hidden_block_count_y
      - .offset:         64
        .size:           4
        .value_kind:     hidden_block_count_z
      - .offset:         68
        .size:           2
        .value_kind:     hidden_group_size_x
      - .offset:         70
        .size:           2
        .value_kind:     hidden_group_size_y
      - .offset:         72
        .size:           2
        .value_kind:     hidden_group_size_z
      - .offset:         74
        .size:           2
        .value_kind:     hidden_remainder_x
      - .offset:         76
        .size:           2
        .value_kind:     hidden_remainder_y
      - .offset:         78
        .size:           2
        .value_kind:     hidden_remainder_z
      - .offset:         96
        .size:           8
        .value_kind:     hidden_global_offset_x
      - .offset:         104
        .size:           8
        .value_kind:     hidden_global_offset_y
      - .offset:         112
        .size:           8
        .value_kind:     hidden_global_offset_z
      - .offset:         120
        .size:           2
        .value_kind:     hidden_grid_dims
    .group_segment_fixed_size: 0
    .kernarg_segment_align: 8
    .kernarg_segment_size: 312
    .language:       OpenCL C
    .language_version:
      - 2
      - 0
    .max_flat_workgroup_size: 64
    .name:           _ZN7rocprim17ROCPRIM_400000_NS6detail17trampoline_kernelINS0_14default_configENS1_27upper_bound_config_selectorIyiEEZNS1_14transform_implILb0ES3_S5_N6thrust23THRUST_200600_302600_NS6detail15normal_iteratorINS8_10device_ptrIyEEEENSA_INSB_IiEEEEZNS1_13binary_searchIS3_S5_SD_SD_SF_NS1_21upper_bound_search_opENS9_16wrapped_functionINS0_4lessIvEEbEEEE10hipError_tPvRmT1_T2_T3_mmT4_T5_P12ihipStream_tbEUlRKyE_EESM_SQ_SR_mSS_SV_bEUlT_E_NS1_11comp_targetILNS1_3genE4ELNS1_11target_archE910ELNS1_3gpuE8ELNS1_3repE0EEENS1_30default_config_static_selectorELNS0_4arch9wavefront6targetE1EEEvSP_
    .private_segment_fixed_size: 0
    .sgpr_count:     24
    .sgpr_spill_count: 0
    .symbol:         _ZN7rocprim17ROCPRIM_400000_NS6detail17trampoline_kernelINS0_14default_configENS1_27upper_bound_config_selectorIyiEEZNS1_14transform_implILb0ES3_S5_N6thrust23THRUST_200600_302600_NS6detail15normal_iteratorINS8_10device_ptrIyEEEENSA_INSB_IiEEEEZNS1_13binary_searchIS3_S5_SD_SD_SF_NS1_21upper_bound_search_opENS9_16wrapped_functionINS0_4lessIvEEbEEEE10hipError_tPvRmT1_T2_T3_mmT4_T5_P12ihipStream_tbEUlRKyE_EESM_SQ_SR_mSS_SV_bEUlT_E_NS1_11comp_targetILNS1_3genE4ELNS1_11target_archE910ELNS1_3gpuE8ELNS1_3repE0EEENS1_30default_config_static_selectorELNS0_4arch9wavefront6targetE1EEEvSP_.kd
    .uniform_work_group_size: 1
    .uses_dynamic_stack: false
    .vgpr_count:     14
    .vgpr_spill_count: 0
    .wavefront_size: 64
  - .agpr_count:     0
    .args:
      - .offset:         0
        .size:           56
        .value_kind:     by_value
    .group_segment_fixed_size: 0
    .kernarg_segment_align: 8
    .kernarg_segment_size: 56
    .language:       OpenCL C
    .language_version:
      - 2
      - 0
    .max_flat_workgroup_size: 64
    .name:           _ZN7rocprim17ROCPRIM_400000_NS6detail17trampoline_kernelINS0_14default_configENS1_27upper_bound_config_selectorIyiEEZNS1_14transform_implILb0ES3_S5_N6thrust23THRUST_200600_302600_NS6detail15normal_iteratorINS8_10device_ptrIyEEEENSA_INSB_IiEEEEZNS1_13binary_searchIS3_S5_SD_SD_SF_NS1_21upper_bound_search_opENS9_16wrapped_functionINS0_4lessIvEEbEEEE10hipError_tPvRmT1_T2_T3_mmT4_T5_P12ihipStream_tbEUlRKyE_EESM_SQ_SR_mSS_SV_bEUlT_E_NS1_11comp_targetILNS1_3genE3ELNS1_11target_archE908ELNS1_3gpuE7ELNS1_3repE0EEENS1_30default_config_static_selectorELNS0_4arch9wavefront6targetE1EEEvSP_
    .private_segment_fixed_size: 0
    .sgpr_count:     4
    .sgpr_spill_count: 0
    .symbol:         _ZN7rocprim17ROCPRIM_400000_NS6detail17trampoline_kernelINS0_14default_configENS1_27upper_bound_config_selectorIyiEEZNS1_14transform_implILb0ES3_S5_N6thrust23THRUST_200600_302600_NS6detail15normal_iteratorINS8_10device_ptrIyEEEENSA_INSB_IiEEEEZNS1_13binary_searchIS3_S5_SD_SD_SF_NS1_21upper_bound_search_opENS9_16wrapped_functionINS0_4lessIvEEbEEEE10hipError_tPvRmT1_T2_T3_mmT4_T5_P12ihipStream_tbEUlRKyE_EESM_SQ_SR_mSS_SV_bEUlT_E_NS1_11comp_targetILNS1_3genE3ELNS1_11target_archE908ELNS1_3gpuE7ELNS1_3repE0EEENS1_30default_config_static_selectorELNS0_4arch9wavefront6targetE1EEEvSP_.kd
    .uniform_work_group_size: 1
    .uses_dynamic_stack: false
    .vgpr_count:     0
    .vgpr_spill_count: 0
    .wavefront_size: 64
  - .agpr_count:     0
    .args:
      - .offset:         0
        .size:           56
        .value_kind:     by_value
    .group_segment_fixed_size: 0
    .kernarg_segment_align: 8
    .kernarg_segment_size: 56
    .language:       OpenCL C
    .language_version:
      - 2
      - 0
    .max_flat_workgroup_size: 256
    .name:           _ZN7rocprim17ROCPRIM_400000_NS6detail17trampoline_kernelINS0_14default_configENS1_27upper_bound_config_selectorIyiEEZNS1_14transform_implILb0ES3_S5_N6thrust23THRUST_200600_302600_NS6detail15normal_iteratorINS8_10device_ptrIyEEEENSA_INSB_IiEEEEZNS1_13binary_searchIS3_S5_SD_SD_SF_NS1_21upper_bound_search_opENS9_16wrapped_functionINS0_4lessIvEEbEEEE10hipError_tPvRmT1_T2_T3_mmT4_T5_P12ihipStream_tbEUlRKyE_EESM_SQ_SR_mSS_SV_bEUlT_E_NS1_11comp_targetILNS1_3genE2ELNS1_11target_archE906ELNS1_3gpuE6ELNS1_3repE0EEENS1_30default_config_static_selectorELNS0_4arch9wavefront6targetE1EEEvSP_
    .private_segment_fixed_size: 0
    .sgpr_count:     4
    .sgpr_spill_count: 0
    .symbol:         _ZN7rocprim17ROCPRIM_400000_NS6detail17trampoline_kernelINS0_14default_configENS1_27upper_bound_config_selectorIyiEEZNS1_14transform_implILb0ES3_S5_N6thrust23THRUST_200600_302600_NS6detail15normal_iteratorINS8_10device_ptrIyEEEENSA_INSB_IiEEEEZNS1_13binary_searchIS3_S5_SD_SD_SF_NS1_21upper_bound_search_opENS9_16wrapped_functionINS0_4lessIvEEbEEEE10hipError_tPvRmT1_T2_T3_mmT4_T5_P12ihipStream_tbEUlRKyE_EESM_SQ_SR_mSS_SV_bEUlT_E_NS1_11comp_targetILNS1_3genE2ELNS1_11target_archE906ELNS1_3gpuE6ELNS1_3repE0EEENS1_30default_config_static_selectorELNS0_4arch9wavefront6targetE1EEEvSP_.kd
    .uniform_work_group_size: 1
    .uses_dynamic_stack: false
    .vgpr_count:     0
    .vgpr_spill_count: 0
    .wavefront_size: 64
  - .agpr_count:     0
    .args:
      - .offset:         0
        .size:           56
        .value_kind:     by_value
    .group_segment_fixed_size: 0
    .kernarg_segment_align: 8
    .kernarg_segment_size: 56
    .language:       OpenCL C
    .language_version:
      - 2
      - 0
    .max_flat_workgroup_size: 128
    .name:           _ZN7rocprim17ROCPRIM_400000_NS6detail17trampoline_kernelINS0_14default_configENS1_27upper_bound_config_selectorIyiEEZNS1_14transform_implILb0ES3_S5_N6thrust23THRUST_200600_302600_NS6detail15normal_iteratorINS8_10device_ptrIyEEEENSA_INSB_IiEEEEZNS1_13binary_searchIS3_S5_SD_SD_SF_NS1_21upper_bound_search_opENS9_16wrapped_functionINS0_4lessIvEEbEEEE10hipError_tPvRmT1_T2_T3_mmT4_T5_P12ihipStream_tbEUlRKyE_EESM_SQ_SR_mSS_SV_bEUlT_E_NS1_11comp_targetILNS1_3genE10ELNS1_11target_archE1201ELNS1_3gpuE5ELNS1_3repE0EEENS1_30default_config_static_selectorELNS0_4arch9wavefront6targetE1EEEvSP_
    .private_segment_fixed_size: 0
    .sgpr_count:     4
    .sgpr_spill_count: 0
    .symbol:         _ZN7rocprim17ROCPRIM_400000_NS6detail17trampoline_kernelINS0_14default_configENS1_27upper_bound_config_selectorIyiEEZNS1_14transform_implILb0ES3_S5_N6thrust23THRUST_200600_302600_NS6detail15normal_iteratorINS8_10device_ptrIyEEEENSA_INSB_IiEEEEZNS1_13binary_searchIS3_S5_SD_SD_SF_NS1_21upper_bound_search_opENS9_16wrapped_functionINS0_4lessIvEEbEEEE10hipError_tPvRmT1_T2_T3_mmT4_T5_P12ihipStream_tbEUlRKyE_EESM_SQ_SR_mSS_SV_bEUlT_E_NS1_11comp_targetILNS1_3genE10ELNS1_11target_archE1201ELNS1_3gpuE5ELNS1_3repE0EEENS1_30default_config_static_selectorELNS0_4arch9wavefront6targetE1EEEvSP_.kd
    .uniform_work_group_size: 1
    .uses_dynamic_stack: false
    .vgpr_count:     0
    .vgpr_spill_count: 0
    .wavefront_size: 64
  - .agpr_count:     0
    .args:
      - .offset:         0
        .size:           56
        .value_kind:     by_value
    .group_segment_fixed_size: 0
    .kernarg_segment_align: 8
    .kernarg_segment_size: 56
    .language:       OpenCL C
    .language_version:
      - 2
      - 0
    .max_flat_workgroup_size: 128
    .name:           _ZN7rocprim17ROCPRIM_400000_NS6detail17trampoline_kernelINS0_14default_configENS1_27upper_bound_config_selectorIyiEEZNS1_14transform_implILb0ES3_S5_N6thrust23THRUST_200600_302600_NS6detail15normal_iteratorINS8_10device_ptrIyEEEENSA_INSB_IiEEEEZNS1_13binary_searchIS3_S5_SD_SD_SF_NS1_21upper_bound_search_opENS9_16wrapped_functionINS0_4lessIvEEbEEEE10hipError_tPvRmT1_T2_T3_mmT4_T5_P12ihipStream_tbEUlRKyE_EESM_SQ_SR_mSS_SV_bEUlT_E_NS1_11comp_targetILNS1_3genE10ELNS1_11target_archE1200ELNS1_3gpuE4ELNS1_3repE0EEENS1_30default_config_static_selectorELNS0_4arch9wavefront6targetE1EEEvSP_
    .private_segment_fixed_size: 0
    .sgpr_count:     4
    .sgpr_spill_count: 0
    .symbol:         _ZN7rocprim17ROCPRIM_400000_NS6detail17trampoline_kernelINS0_14default_configENS1_27upper_bound_config_selectorIyiEEZNS1_14transform_implILb0ES3_S5_N6thrust23THRUST_200600_302600_NS6detail15normal_iteratorINS8_10device_ptrIyEEEENSA_INSB_IiEEEEZNS1_13binary_searchIS3_S5_SD_SD_SF_NS1_21upper_bound_search_opENS9_16wrapped_functionINS0_4lessIvEEbEEEE10hipError_tPvRmT1_T2_T3_mmT4_T5_P12ihipStream_tbEUlRKyE_EESM_SQ_SR_mSS_SV_bEUlT_E_NS1_11comp_targetILNS1_3genE10ELNS1_11target_archE1200ELNS1_3gpuE4ELNS1_3repE0EEENS1_30default_config_static_selectorELNS0_4arch9wavefront6targetE1EEEvSP_.kd
    .uniform_work_group_size: 1
    .uses_dynamic_stack: false
    .vgpr_count:     0
    .vgpr_spill_count: 0
    .wavefront_size: 64
  - .agpr_count:     0
    .args:
      - .offset:         0
        .size:           56
        .value_kind:     by_value
    .group_segment_fixed_size: 0
    .kernarg_segment_align: 8
    .kernarg_segment_size: 56
    .language:       OpenCL C
    .language_version:
      - 2
      - 0
    .max_flat_workgroup_size: 64
    .name:           _ZN7rocprim17ROCPRIM_400000_NS6detail17trampoline_kernelINS0_14default_configENS1_27upper_bound_config_selectorIyiEEZNS1_14transform_implILb0ES3_S5_N6thrust23THRUST_200600_302600_NS6detail15normal_iteratorINS8_10device_ptrIyEEEENSA_INSB_IiEEEEZNS1_13binary_searchIS3_S5_SD_SD_SF_NS1_21upper_bound_search_opENS9_16wrapped_functionINS0_4lessIvEEbEEEE10hipError_tPvRmT1_T2_T3_mmT4_T5_P12ihipStream_tbEUlRKyE_EESM_SQ_SR_mSS_SV_bEUlT_E_NS1_11comp_targetILNS1_3genE9ELNS1_11target_archE1100ELNS1_3gpuE3ELNS1_3repE0EEENS1_30default_config_static_selectorELNS0_4arch9wavefront6targetE1EEEvSP_
    .private_segment_fixed_size: 0
    .sgpr_count:     4
    .sgpr_spill_count: 0
    .symbol:         _ZN7rocprim17ROCPRIM_400000_NS6detail17trampoline_kernelINS0_14default_configENS1_27upper_bound_config_selectorIyiEEZNS1_14transform_implILb0ES3_S5_N6thrust23THRUST_200600_302600_NS6detail15normal_iteratorINS8_10device_ptrIyEEEENSA_INSB_IiEEEEZNS1_13binary_searchIS3_S5_SD_SD_SF_NS1_21upper_bound_search_opENS9_16wrapped_functionINS0_4lessIvEEbEEEE10hipError_tPvRmT1_T2_T3_mmT4_T5_P12ihipStream_tbEUlRKyE_EESM_SQ_SR_mSS_SV_bEUlT_E_NS1_11comp_targetILNS1_3genE9ELNS1_11target_archE1100ELNS1_3gpuE3ELNS1_3repE0EEENS1_30default_config_static_selectorELNS0_4arch9wavefront6targetE1EEEvSP_.kd
    .uniform_work_group_size: 1
    .uses_dynamic_stack: false
    .vgpr_count:     0
    .vgpr_spill_count: 0
    .wavefront_size: 64
  - .agpr_count:     0
    .args:
      - .offset:         0
        .size:           56
        .value_kind:     by_value
    .group_segment_fixed_size: 0
    .kernarg_segment_align: 8
    .kernarg_segment_size: 56
    .language:       OpenCL C
    .language_version:
      - 2
      - 0
    .max_flat_workgroup_size: 256
    .name:           _ZN7rocprim17ROCPRIM_400000_NS6detail17trampoline_kernelINS0_14default_configENS1_27upper_bound_config_selectorIyiEEZNS1_14transform_implILb0ES3_S5_N6thrust23THRUST_200600_302600_NS6detail15normal_iteratorINS8_10device_ptrIyEEEENSA_INSB_IiEEEEZNS1_13binary_searchIS3_S5_SD_SD_SF_NS1_21upper_bound_search_opENS9_16wrapped_functionINS0_4lessIvEEbEEEE10hipError_tPvRmT1_T2_T3_mmT4_T5_P12ihipStream_tbEUlRKyE_EESM_SQ_SR_mSS_SV_bEUlT_E_NS1_11comp_targetILNS1_3genE8ELNS1_11target_archE1030ELNS1_3gpuE2ELNS1_3repE0EEENS1_30default_config_static_selectorELNS0_4arch9wavefront6targetE1EEEvSP_
    .private_segment_fixed_size: 0
    .sgpr_count:     4
    .sgpr_spill_count: 0
    .symbol:         _ZN7rocprim17ROCPRIM_400000_NS6detail17trampoline_kernelINS0_14default_configENS1_27upper_bound_config_selectorIyiEEZNS1_14transform_implILb0ES3_S5_N6thrust23THRUST_200600_302600_NS6detail15normal_iteratorINS8_10device_ptrIyEEEENSA_INSB_IiEEEEZNS1_13binary_searchIS3_S5_SD_SD_SF_NS1_21upper_bound_search_opENS9_16wrapped_functionINS0_4lessIvEEbEEEE10hipError_tPvRmT1_T2_T3_mmT4_T5_P12ihipStream_tbEUlRKyE_EESM_SQ_SR_mSS_SV_bEUlT_E_NS1_11comp_targetILNS1_3genE8ELNS1_11target_archE1030ELNS1_3gpuE2ELNS1_3repE0EEENS1_30default_config_static_selectorELNS0_4arch9wavefront6targetE1EEEvSP_.kd
    .uniform_work_group_size: 1
    .uses_dynamic_stack: false
    .vgpr_count:     0
    .vgpr_spill_count: 0
    .wavefront_size: 64
  - .agpr_count:     0
    .args:
      - .offset:         0
        .size:           56
        .value_kind:     by_value
    .group_segment_fixed_size: 0
    .kernarg_segment_align: 8
    .kernarg_segment_size: 56
    .language:       OpenCL C
    .language_version:
      - 2
      - 0
    .max_flat_workgroup_size: 256
    .name:           _ZN7rocprim17ROCPRIM_400000_NS6detail17trampoline_kernelINS0_14default_configENS1_27upper_bound_config_selectorIjiEEZNS1_14transform_implILb0ES3_S5_N6thrust23THRUST_200600_302600_NS6detail15normal_iteratorINS8_10device_ptrIjEEEENSA_INSB_IiEEEEZNS1_13binary_searchIS3_S5_SD_SD_SF_NS1_21upper_bound_search_opENS9_16wrapped_functionINS0_4lessIvEEbEEEE10hipError_tPvRmT1_T2_T3_mmT4_T5_P12ihipStream_tbEUlRKjE_EESM_SQ_SR_mSS_SV_bEUlT_E_NS1_11comp_targetILNS1_3genE0ELNS1_11target_archE4294967295ELNS1_3gpuE0ELNS1_3repE0EEENS1_30default_config_static_selectorELNS0_4arch9wavefront6targetE1EEEvSP_
    .private_segment_fixed_size: 0
    .sgpr_count:     4
    .sgpr_spill_count: 0
    .symbol:         _ZN7rocprim17ROCPRIM_400000_NS6detail17trampoline_kernelINS0_14default_configENS1_27upper_bound_config_selectorIjiEEZNS1_14transform_implILb0ES3_S5_N6thrust23THRUST_200600_302600_NS6detail15normal_iteratorINS8_10device_ptrIjEEEENSA_INSB_IiEEEEZNS1_13binary_searchIS3_S5_SD_SD_SF_NS1_21upper_bound_search_opENS9_16wrapped_functionINS0_4lessIvEEbEEEE10hipError_tPvRmT1_T2_T3_mmT4_T5_P12ihipStream_tbEUlRKjE_EESM_SQ_SR_mSS_SV_bEUlT_E_NS1_11comp_targetILNS1_3genE0ELNS1_11target_archE4294967295ELNS1_3gpuE0ELNS1_3repE0EEENS1_30default_config_static_selectorELNS0_4arch9wavefront6targetE1EEEvSP_.kd
    .uniform_work_group_size: 1
    .uses_dynamic_stack: false
    .vgpr_count:     0
    .vgpr_spill_count: 0
    .wavefront_size: 64
  - .agpr_count:     0
    .args:
      - .offset:         0
        .size:           56
        .value_kind:     by_value
    .group_segment_fixed_size: 0
    .kernarg_segment_align: 8
    .kernarg_segment_size: 56
    .language:       OpenCL C
    .language_version:
      - 2
      - 0
    .max_flat_workgroup_size: 256
    .name:           _ZN7rocprim17ROCPRIM_400000_NS6detail17trampoline_kernelINS0_14default_configENS1_27upper_bound_config_selectorIjiEEZNS1_14transform_implILb0ES3_S5_N6thrust23THRUST_200600_302600_NS6detail15normal_iteratorINS8_10device_ptrIjEEEENSA_INSB_IiEEEEZNS1_13binary_searchIS3_S5_SD_SD_SF_NS1_21upper_bound_search_opENS9_16wrapped_functionINS0_4lessIvEEbEEEE10hipError_tPvRmT1_T2_T3_mmT4_T5_P12ihipStream_tbEUlRKjE_EESM_SQ_SR_mSS_SV_bEUlT_E_NS1_11comp_targetILNS1_3genE5ELNS1_11target_archE942ELNS1_3gpuE9ELNS1_3repE0EEENS1_30default_config_static_selectorELNS0_4arch9wavefront6targetE1EEEvSP_
    .private_segment_fixed_size: 0
    .sgpr_count:     4
    .sgpr_spill_count: 0
    .symbol:         _ZN7rocprim17ROCPRIM_400000_NS6detail17trampoline_kernelINS0_14default_configENS1_27upper_bound_config_selectorIjiEEZNS1_14transform_implILb0ES3_S5_N6thrust23THRUST_200600_302600_NS6detail15normal_iteratorINS8_10device_ptrIjEEEENSA_INSB_IiEEEEZNS1_13binary_searchIS3_S5_SD_SD_SF_NS1_21upper_bound_search_opENS9_16wrapped_functionINS0_4lessIvEEbEEEE10hipError_tPvRmT1_T2_T3_mmT4_T5_P12ihipStream_tbEUlRKjE_EESM_SQ_SR_mSS_SV_bEUlT_E_NS1_11comp_targetILNS1_3genE5ELNS1_11target_archE942ELNS1_3gpuE9ELNS1_3repE0EEENS1_30default_config_static_selectorELNS0_4arch9wavefront6targetE1EEEvSP_.kd
    .uniform_work_group_size: 1
    .uses_dynamic_stack: false
    .vgpr_count:     0
    .vgpr_spill_count: 0
    .wavefront_size: 64
  - .agpr_count:     0
    .args:
      - .offset:         0
        .size:           56
        .value_kind:     by_value
      - .offset:         56
        .size:           4
        .value_kind:     hidden_block_count_x
      - .offset:         60
        .size:           4
        .value_kind:     hidden_block_count_y
      - .offset:         64
        .size:           4
        .value_kind:     hidden_block_count_z
      - .offset:         68
        .size:           2
        .value_kind:     hidden_group_size_x
      - .offset:         70
        .size:           2
        .value_kind:     hidden_group_size_y
      - .offset:         72
        .size:           2
        .value_kind:     hidden_group_size_z
      - .offset:         74
        .size:           2
        .value_kind:     hidden_remainder_x
      - .offset:         76
        .size:           2
        .value_kind:     hidden_remainder_y
      - .offset:         78
        .size:           2
        .value_kind:     hidden_remainder_z
      - .offset:         96
        .size:           8
        .value_kind:     hidden_global_offset_x
      - .offset:         104
        .size:           8
        .value_kind:     hidden_global_offset_y
      - .offset:         112
        .size:           8
        .value_kind:     hidden_global_offset_z
      - .offset:         120
        .size:           2
        .value_kind:     hidden_grid_dims
    .group_segment_fixed_size: 0
    .kernarg_segment_align: 8
    .kernarg_segment_size: 312
    .language:       OpenCL C
    .language_version:
      - 2
      - 0
    .max_flat_workgroup_size: 256
    .name:           _ZN7rocprim17ROCPRIM_400000_NS6detail17trampoline_kernelINS0_14default_configENS1_27upper_bound_config_selectorIjiEEZNS1_14transform_implILb0ES3_S5_N6thrust23THRUST_200600_302600_NS6detail15normal_iteratorINS8_10device_ptrIjEEEENSA_INSB_IiEEEEZNS1_13binary_searchIS3_S5_SD_SD_SF_NS1_21upper_bound_search_opENS9_16wrapped_functionINS0_4lessIvEEbEEEE10hipError_tPvRmT1_T2_T3_mmT4_T5_P12ihipStream_tbEUlRKjE_EESM_SQ_SR_mSS_SV_bEUlT_E_NS1_11comp_targetILNS1_3genE4ELNS1_11target_archE910ELNS1_3gpuE8ELNS1_3repE0EEENS1_30default_config_static_selectorELNS0_4arch9wavefront6targetE1EEEvSP_
    .private_segment_fixed_size: 0
    .sgpr_count:     22
    .sgpr_spill_count: 0
    .symbol:         _ZN7rocprim17ROCPRIM_400000_NS6detail17trampoline_kernelINS0_14default_configENS1_27upper_bound_config_selectorIjiEEZNS1_14transform_implILb0ES3_S5_N6thrust23THRUST_200600_302600_NS6detail15normal_iteratorINS8_10device_ptrIjEEEENSA_INSB_IiEEEEZNS1_13binary_searchIS3_S5_SD_SD_SF_NS1_21upper_bound_search_opENS9_16wrapped_functionINS0_4lessIvEEbEEEE10hipError_tPvRmT1_T2_T3_mmT4_T5_P12ihipStream_tbEUlRKjE_EESM_SQ_SR_mSS_SV_bEUlT_E_NS1_11comp_targetILNS1_3genE4ELNS1_11target_archE910ELNS1_3gpuE8ELNS1_3repE0EEENS1_30default_config_static_selectorELNS0_4arch9wavefront6targetE1EEEvSP_.kd
    .uniform_work_group_size: 1
    .uses_dynamic_stack: false
    .vgpr_count:     12
    .vgpr_spill_count: 0
    .wavefront_size: 64
  - .agpr_count:     0
    .args:
      - .offset:         0
        .size:           56
        .value_kind:     by_value
    .group_segment_fixed_size: 0
    .kernarg_segment_align: 8
    .kernarg_segment_size: 56
    .language:       OpenCL C
    .language_version:
      - 2
      - 0
    .max_flat_workgroup_size: 256
    .name:           _ZN7rocprim17ROCPRIM_400000_NS6detail17trampoline_kernelINS0_14default_configENS1_27upper_bound_config_selectorIjiEEZNS1_14transform_implILb0ES3_S5_N6thrust23THRUST_200600_302600_NS6detail15normal_iteratorINS8_10device_ptrIjEEEENSA_INSB_IiEEEEZNS1_13binary_searchIS3_S5_SD_SD_SF_NS1_21upper_bound_search_opENS9_16wrapped_functionINS0_4lessIvEEbEEEE10hipError_tPvRmT1_T2_T3_mmT4_T5_P12ihipStream_tbEUlRKjE_EESM_SQ_SR_mSS_SV_bEUlT_E_NS1_11comp_targetILNS1_3genE3ELNS1_11target_archE908ELNS1_3gpuE7ELNS1_3repE0EEENS1_30default_config_static_selectorELNS0_4arch9wavefront6targetE1EEEvSP_
    .private_segment_fixed_size: 0
    .sgpr_count:     4
    .sgpr_spill_count: 0
    .symbol:         _ZN7rocprim17ROCPRIM_400000_NS6detail17trampoline_kernelINS0_14default_configENS1_27upper_bound_config_selectorIjiEEZNS1_14transform_implILb0ES3_S5_N6thrust23THRUST_200600_302600_NS6detail15normal_iteratorINS8_10device_ptrIjEEEENSA_INSB_IiEEEEZNS1_13binary_searchIS3_S5_SD_SD_SF_NS1_21upper_bound_search_opENS9_16wrapped_functionINS0_4lessIvEEbEEEE10hipError_tPvRmT1_T2_T3_mmT4_T5_P12ihipStream_tbEUlRKjE_EESM_SQ_SR_mSS_SV_bEUlT_E_NS1_11comp_targetILNS1_3genE3ELNS1_11target_archE908ELNS1_3gpuE7ELNS1_3repE0EEENS1_30default_config_static_selectorELNS0_4arch9wavefront6targetE1EEEvSP_.kd
    .uniform_work_group_size: 1
    .uses_dynamic_stack: false
    .vgpr_count:     0
    .vgpr_spill_count: 0
    .wavefront_size: 64
  - .agpr_count:     0
    .args:
      - .offset:         0
        .size:           56
        .value_kind:     by_value
    .group_segment_fixed_size: 0
    .kernarg_segment_align: 8
    .kernarg_segment_size: 56
    .language:       OpenCL C
    .language_version:
      - 2
      - 0
    .max_flat_workgroup_size: 256
    .name:           _ZN7rocprim17ROCPRIM_400000_NS6detail17trampoline_kernelINS0_14default_configENS1_27upper_bound_config_selectorIjiEEZNS1_14transform_implILb0ES3_S5_N6thrust23THRUST_200600_302600_NS6detail15normal_iteratorINS8_10device_ptrIjEEEENSA_INSB_IiEEEEZNS1_13binary_searchIS3_S5_SD_SD_SF_NS1_21upper_bound_search_opENS9_16wrapped_functionINS0_4lessIvEEbEEEE10hipError_tPvRmT1_T2_T3_mmT4_T5_P12ihipStream_tbEUlRKjE_EESM_SQ_SR_mSS_SV_bEUlT_E_NS1_11comp_targetILNS1_3genE2ELNS1_11target_archE906ELNS1_3gpuE6ELNS1_3repE0EEENS1_30default_config_static_selectorELNS0_4arch9wavefront6targetE1EEEvSP_
    .private_segment_fixed_size: 0
    .sgpr_count:     4
    .sgpr_spill_count: 0
    .symbol:         _ZN7rocprim17ROCPRIM_400000_NS6detail17trampoline_kernelINS0_14default_configENS1_27upper_bound_config_selectorIjiEEZNS1_14transform_implILb0ES3_S5_N6thrust23THRUST_200600_302600_NS6detail15normal_iteratorINS8_10device_ptrIjEEEENSA_INSB_IiEEEEZNS1_13binary_searchIS3_S5_SD_SD_SF_NS1_21upper_bound_search_opENS9_16wrapped_functionINS0_4lessIvEEbEEEE10hipError_tPvRmT1_T2_T3_mmT4_T5_P12ihipStream_tbEUlRKjE_EESM_SQ_SR_mSS_SV_bEUlT_E_NS1_11comp_targetILNS1_3genE2ELNS1_11target_archE906ELNS1_3gpuE6ELNS1_3repE0EEENS1_30default_config_static_selectorELNS0_4arch9wavefront6targetE1EEEvSP_.kd
    .uniform_work_group_size: 1
    .uses_dynamic_stack: false
    .vgpr_count:     0
    .vgpr_spill_count: 0
    .wavefront_size: 64
  - .agpr_count:     0
    .args:
      - .offset:         0
        .size:           56
        .value_kind:     by_value
    .group_segment_fixed_size: 0
    .kernarg_segment_align: 8
    .kernarg_segment_size: 56
    .language:       OpenCL C
    .language_version:
      - 2
      - 0
    .max_flat_workgroup_size: 128
    .name:           _ZN7rocprim17ROCPRIM_400000_NS6detail17trampoline_kernelINS0_14default_configENS1_27upper_bound_config_selectorIjiEEZNS1_14transform_implILb0ES3_S5_N6thrust23THRUST_200600_302600_NS6detail15normal_iteratorINS8_10device_ptrIjEEEENSA_INSB_IiEEEEZNS1_13binary_searchIS3_S5_SD_SD_SF_NS1_21upper_bound_search_opENS9_16wrapped_functionINS0_4lessIvEEbEEEE10hipError_tPvRmT1_T2_T3_mmT4_T5_P12ihipStream_tbEUlRKjE_EESM_SQ_SR_mSS_SV_bEUlT_E_NS1_11comp_targetILNS1_3genE10ELNS1_11target_archE1201ELNS1_3gpuE5ELNS1_3repE0EEENS1_30default_config_static_selectorELNS0_4arch9wavefront6targetE1EEEvSP_
    .private_segment_fixed_size: 0
    .sgpr_count:     4
    .sgpr_spill_count: 0
    .symbol:         _ZN7rocprim17ROCPRIM_400000_NS6detail17trampoline_kernelINS0_14default_configENS1_27upper_bound_config_selectorIjiEEZNS1_14transform_implILb0ES3_S5_N6thrust23THRUST_200600_302600_NS6detail15normal_iteratorINS8_10device_ptrIjEEEENSA_INSB_IiEEEEZNS1_13binary_searchIS3_S5_SD_SD_SF_NS1_21upper_bound_search_opENS9_16wrapped_functionINS0_4lessIvEEbEEEE10hipError_tPvRmT1_T2_T3_mmT4_T5_P12ihipStream_tbEUlRKjE_EESM_SQ_SR_mSS_SV_bEUlT_E_NS1_11comp_targetILNS1_3genE10ELNS1_11target_archE1201ELNS1_3gpuE5ELNS1_3repE0EEENS1_30default_config_static_selectorELNS0_4arch9wavefront6targetE1EEEvSP_.kd
    .uniform_work_group_size: 1
    .uses_dynamic_stack: false
    .vgpr_count:     0
    .vgpr_spill_count: 0
    .wavefront_size: 64
  - .agpr_count:     0
    .args:
      - .offset:         0
        .size:           56
        .value_kind:     by_value
    .group_segment_fixed_size: 0
    .kernarg_segment_align: 8
    .kernarg_segment_size: 56
    .language:       OpenCL C
    .language_version:
      - 2
      - 0
    .max_flat_workgroup_size: 128
    .name:           _ZN7rocprim17ROCPRIM_400000_NS6detail17trampoline_kernelINS0_14default_configENS1_27upper_bound_config_selectorIjiEEZNS1_14transform_implILb0ES3_S5_N6thrust23THRUST_200600_302600_NS6detail15normal_iteratorINS8_10device_ptrIjEEEENSA_INSB_IiEEEEZNS1_13binary_searchIS3_S5_SD_SD_SF_NS1_21upper_bound_search_opENS9_16wrapped_functionINS0_4lessIvEEbEEEE10hipError_tPvRmT1_T2_T3_mmT4_T5_P12ihipStream_tbEUlRKjE_EESM_SQ_SR_mSS_SV_bEUlT_E_NS1_11comp_targetILNS1_3genE10ELNS1_11target_archE1200ELNS1_3gpuE4ELNS1_3repE0EEENS1_30default_config_static_selectorELNS0_4arch9wavefront6targetE1EEEvSP_
    .private_segment_fixed_size: 0
    .sgpr_count:     4
    .sgpr_spill_count: 0
    .symbol:         _ZN7rocprim17ROCPRIM_400000_NS6detail17trampoline_kernelINS0_14default_configENS1_27upper_bound_config_selectorIjiEEZNS1_14transform_implILb0ES3_S5_N6thrust23THRUST_200600_302600_NS6detail15normal_iteratorINS8_10device_ptrIjEEEENSA_INSB_IiEEEEZNS1_13binary_searchIS3_S5_SD_SD_SF_NS1_21upper_bound_search_opENS9_16wrapped_functionINS0_4lessIvEEbEEEE10hipError_tPvRmT1_T2_T3_mmT4_T5_P12ihipStream_tbEUlRKjE_EESM_SQ_SR_mSS_SV_bEUlT_E_NS1_11comp_targetILNS1_3genE10ELNS1_11target_archE1200ELNS1_3gpuE4ELNS1_3repE0EEENS1_30default_config_static_selectorELNS0_4arch9wavefront6targetE1EEEvSP_.kd
    .uniform_work_group_size: 1
    .uses_dynamic_stack: false
    .vgpr_count:     0
    .vgpr_spill_count: 0
    .wavefront_size: 64
  - .agpr_count:     0
    .args:
      - .offset:         0
        .size:           56
        .value_kind:     by_value
    .group_segment_fixed_size: 0
    .kernarg_segment_align: 8
    .kernarg_segment_size: 56
    .language:       OpenCL C
    .language_version:
      - 2
      - 0
    .max_flat_workgroup_size: 256
    .name:           _ZN7rocprim17ROCPRIM_400000_NS6detail17trampoline_kernelINS0_14default_configENS1_27upper_bound_config_selectorIjiEEZNS1_14transform_implILb0ES3_S5_N6thrust23THRUST_200600_302600_NS6detail15normal_iteratorINS8_10device_ptrIjEEEENSA_INSB_IiEEEEZNS1_13binary_searchIS3_S5_SD_SD_SF_NS1_21upper_bound_search_opENS9_16wrapped_functionINS0_4lessIvEEbEEEE10hipError_tPvRmT1_T2_T3_mmT4_T5_P12ihipStream_tbEUlRKjE_EESM_SQ_SR_mSS_SV_bEUlT_E_NS1_11comp_targetILNS1_3genE9ELNS1_11target_archE1100ELNS1_3gpuE3ELNS1_3repE0EEENS1_30default_config_static_selectorELNS0_4arch9wavefront6targetE1EEEvSP_
    .private_segment_fixed_size: 0
    .sgpr_count:     4
    .sgpr_spill_count: 0
    .symbol:         _ZN7rocprim17ROCPRIM_400000_NS6detail17trampoline_kernelINS0_14default_configENS1_27upper_bound_config_selectorIjiEEZNS1_14transform_implILb0ES3_S5_N6thrust23THRUST_200600_302600_NS6detail15normal_iteratorINS8_10device_ptrIjEEEENSA_INSB_IiEEEEZNS1_13binary_searchIS3_S5_SD_SD_SF_NS1_21upper_bound_search_opENS9_16wrapped_functionINS0_4lessIvEEbEEEE10hipError_tPvRmT1_T2_T3_mmT4_T5_P12ihipStream_tbEUlRKjE_EESM_SQ_SR_mSS_SV_bEUlT_E_NS1_11comp_targetILNS1_3genE9ELNS1_11target_archE1100ELNS1_3gpuE3ELNS1_3repE0EEENS1_30default_config_static_selectorELNS0_4arch9wavefront6targetE1EEEvSP_.kd
    .uniform_work_group_size: 1
    .uses_dynamic_stack: false
    .vgpr_count:     0
    .vgpr_spill_count: 0
    .wavefront_size: 64
  - .agpr_count:     0
    .args:
      - .offset:         0
        .size:           56
        .value_kind:     by_value
    .group_segment_fixed_size: 0
    .kernarg_segment_align: 8
    .kernarg_segment_size: 56
    .language:       OpenCL C
    .language_version:
      - 2
      - 0
    .max_flat_workgroup_size: 256
    .name:           _ZN7rocprim17ROCPRIM_400000_NS6detail17trampoline_kernelINS0_14default_configENS1_27upper_bound_config_selectorIjiEEZNS1_14transform_implILb0ES3_S5_N6thrust23THRUST_200600_302600_NS6detail15normal_iteratorINS8_10device_ptrIjEEEENSA_INSB_IiEEEEZNS1_13binary_searchIS3_S5_SD_SD_SF_NS1_21upper_bound_search_opENS9_16wrapped_functionINS0_4lessIvEEbEEEE10hipError_tPvRmT1_T2_T3_mmT4_T5_P12ihipStream_tbEUlRKjE_EESM_SQ_SR_mSS_SV_bEUlT_E_NS1_11comp_targetILNS1_3genE8ELNS1_11target_archE1030ELNS1_3gpuE2ELNS1_3repE0EEENS1_30default_config_static_selectorELNS0_4arch9wavefront6targetE1EEEvSP_
    .private_segment_fixed_size: 0
    .sgpr_count:     4
    .sgpr_spill_count: 0
    .symbol:         _ZN7rocprim17ROCPRIM_400000_NS6detail17trampoline_kernelINS0_14default_configENS1_27upper_bound_config_selectorIjiEEZNS1_14transform_implILb0ES3_S5_N6thrust23THRUST_200600_302600_NS6detail15normal_iteratorINS8_10device_ptrIjEEEENSA_INSB_IiEEEEZNS1_13binary_searchIS3_S5_SD_SD_SF_NS1_21upper_bound_search_opENS9_16wrapped_functionINS0_4lessIvEEbEEEE10hipError_tPvRmT1_T2_T3_mmT4_T5_P12ihipStream_tbEUlRKjE_EESM_SQ_SR_mSS_SV_bEUlT_E_NS1_11comp_targetILNS1_3genE8ELNS1_11target_archE1030ELNS1_3gpuE2ELNS1_3repE0EEENS1_30default_config_static_selectorELNS0_4arch9wavefront6targetE1EEEvSP_.kd
    .uniform_work_group_size: 1
    .uses_dynamic_stack: false
    .vgpr_count:     0
    .vgpr_spill_count: 0
    .wavefront_size: 64
  - .agpr_count:     0
    .args:
      - .offset:         0
        .size:           56
        .value_kind:     by_value
    .group_segment_fixed_size: 0
    .kernarg_segment_align: 8
    .kernarg_segment_size: 56
    .language:       OpenCL C
    .language_version:
      - 2
      - 0
    .max_flat_workgroup_size: 128
    .name:           _ZN7rocprim17ROCPRIM_400000_NS6detail17trampoline_kernelINS0_14default_configENS1_27upper_bound_config_selectorItiEEZNS1_14transform_implILb0ES3_S5_N6thrust23THRUST_200600_302600_NS6detail15normal_iteratorINS8_10device_ptrItEEEENSA_INSB_IiEEEEZNS1_13binary_searchIS3_S5_SD_SD_SF_NS1_21upper_bound_search_opENS9_16wrapped_functionINS0_4lessIvEEbEEEE10hipError_tPvRmT1_T2_T3_mmT4_T5_P12ihipStream_tbEUlRKtE_EESM_SQ_SR_mSS_SV_bEUlT_E_NS1_11comp_targetILNS1_3genE0ELNS1_11target_archE4294967295ELNS1_3gpuE0ELNS1_3repE0EEENS1_30default_config_static_selectorELNS0_4arch9wavefront6targetE1EEEvSP_
    .private_segment_fixed_size: 0
    .sgpr_count:     4
    .sgpr_spill_count: 0
    .symbol:         _ZN7rocprim17ROCPRIM_400000_NS6detail17trampoline_kernelINS0_14default_configENS1_27upper_bound_config_selectorItiEEZNS1_14transform_implILb0ES3_S5_N6thrust23THRUST_200600_302600_NS6detail15normal_iteratorINS8_10device_ptrItEEEENSA_INSB_IiEEEEZNS1_13binary_searchIS3_S5_SD_SD_SF_NS1_21upper_bound_search_opENS9_16wrapped_functionINS0_4lessIvEEbEEEE10hipError_tPvRmT1_T2_T3_mmT4_T5_P12ihipStream_tbEUlRKtE_EESM_SQ_SR_mSS_SV_bEUlT_E_NS1_11comp_targetILNS1_3genE0ELNS1_11target_archE4294967295ELNS1_3gpuE0ELNS1_3repE0EEENS1_30default_config_static_selectorELNS0_4arch9wavefront6targetE1EEEvSP_.kd
    .uniform_work_group_size: 1
    .uses_dynamic_stack: false
    .vgpr_count:     0
    .vgpr_spill_count: 0
    .wavefront_size: 64
  - .agpr_count:     0
    .args:
      - .offset:         0
        .size:           56
        .value_kind:     by_value
    .group_segment_fixed_size: 0
    .kernarg_segment_align: 8
    .kernarg_segment_size: 56
    .language:       OpenCL C
    .language_version:
      - 2
      - 0
    .max_flat_workgroup_size: 256
    .name:           _ZN7rocprim17ROCPRIM_400000_NS6detail17trampoline_kernelINS0_14default_configENS1_27upper_bound_config_selectorItiEEZNS1_14transform_implILb0ES3_S5_N6thrust23THRUST_200600_302600_NS6detail15normal_iteratorINS8_10device_ptrItEEEENSA_INSB_IiEEEEZNS1_13binary_searchIS3_S5_SD_SD_SF_NS1_21upper_bound_search_opENS9_16wrapped_functionINS0_4lessIvEEbEEEE10hipError_tPvRmT1_T2_T3_mmT4_T5_P12ihipStream_tbEUlRKtE_EESM_SQ_SR_mSS_SV_bEUlT_E_NS1_11comp_targetILNS1_3genE5ELNS1_11target_archE942ELNS1_3gpuE9ELNS1_3repE0EEENS1_30default_config_static_selectorELNS0_4arch9wavefront6targetE1EEEvSP_
    .private_segment_fixed_size: 0
    .sgpr_count:     4
    .sgpr_spill_count: 0
    .symbol:         _ZN7rocprim17ROCPRIM_400000_NS6detail17trampoline_kernelINS0_14default_configENS1_27upper_bound_config_selectorItiEEZNS1_14transform_implILb0ES3_S5_N6thrust23THRUST_200600_302600_NS6detail15normal_iteratorINS8_10device_ptrItEEEENSA_INSB_IiEEEEZNS1_13binary_searchIS3_S5_SD_SD_SF_NS1_21upper_bound_search_opENS9_16wrapped_functionINS0_4lessIvEEbEEEE10hipError_tPvRmT1_T2_T3_mmT4_T5_P12ihipStream_tbEUlRKtE_EESM_SQ_SR_mSS_SV_bEUlT_E_NS1_11comp_targetILNS1_3genE5ELNS1_11target_archE942ELNS1_3gpuE9ELNS1_3repE0EEENS1_30default_config_static_selectorELNS0_4arch9wavefront6targetE1EEEvSP_.kd
    .uniform_work_group_size: 1
    .uses_dynamic_stack: false
    .vgpr_count:     0
    .vgpr_spill_count: 0
    .wavefront_size: 64
  - .agpr_count:     0
    .args:
      - .offset:         0
        .size:           56
        .value_kind:     by_value
      - .offset:         56
        .size:           4
        .value_kind:     hidden_block_count_x
      - .offset:         60
        .size:           4
        .value_kind:     hidden_block_count_y
      - .offset:         64
        .size:           4
        .value_kind:     hidden_block_count_z
      - .offset:         68
        .size:           2
        .value_kind:     hidden_group_size_x
      - .offset:         70
        .size:           2
        .value_kind:     hidden_group_size_y
      - .offset:         72
        .size:           2
        .value_kind:     hidden_group_size_z
      - .offset:         74
        .size:           2
        .value_kind:     hidden_remainder_x
      - .offset:         76
        .size:           2
        .value_kind:     hidden_remainder_y
      - .offset:         78
        .size:           2
        .value_kind:     hidden_remainder_z
      - .offset:         96
        .size:           8
        .value_kind:     hidden_global_offset_x
      - .offset:         104
        .size:           8
        .value_kind:     hidden_global_offset_y
      - .offset:         112
        .size:           8
        .value_kind:     hidden_global_offset_z
      - .offset:         120
        .size:           2
        .value_kind:     hidden_grid_dims
    .group_segment_fixed_size: 0
    .kernarg_segment_align: 8
    .kernarg_segment_size: 312
    .language:       OpenCL C
    .language_version:
      - 2
      - 0
    .max_flat_workgroup_size: 256
    .name:           _ZN7rocprim17ROCPRIM_400000_NS6detail17trampoline_kernelINS0_14default_configENS1_27upper_bound_config_selectorItiEEZNS1_14transform_implILb0ES3_S5_N6thrust23THRUST_200600_302600_NS6detail15normal_iteratorINS8_10device_ptrItEEEENSA_INSB_IiEEEEZNS1_13binary_searchIS3_S5_SD_SD_SF_NS1_21upper_bound_search_opENS9_16wrapped_functionINS0_4lessIvEEbEEEE10hipError_tPvRmT1_T2_T3_mmT4_T5_P12ihipStream_tbEUlRKtE_EESM_SQ_SR_mSS_SV_bEUlT_E_NS1_11comp_targetILNS1_3genE4ELNS1_11target_archE910ELNS1_3gpuE8ELNS1_3repE0EEENS1_30default_config_static_selectorELNS0_4arch9wavefront6targetE1EEEvSP_
    .private_segment_fixed_size: 0
    .sgpr_count:     24
    .sgpr_spill_count: 0
    .symbol:         _ZN7rocprim17ROCPRIM_400000_NS6detail17trampoline_kernelINS0_14default_configENS1_27upper_bound_config_selectorItiEEZNS1_14transform_implILb0ES3_S5_N6thrust23THRUST_200600_302600_NS6detail15normal_iteratorINS8_10device_ptrItEEEENSA_INSB_IiEEEEZNS1_13binary_searchIS3_S5_SD_SD_SF_NS1_21upper_bound_search_opENS9_16wrapped_functionINS0_4lessIvEEbEEEE10hipError_tPvRmT1_T2_T3_mmT4_T5_P12ihipStream_tbEUlRKtE_EESM_SQ_SR_mSS_SV_bEUlT_E_NS1_11comp_targetILNS1_3genE4ELNS1_11target_archE910ELNS1_3gpuE8ELNS1_3repE0EEENS1_30default_config_static_selectorELNS0_4arch9wavefront6targetE1EEEvSP_.kd
    .uniform_work_group_size: 1
    .uses_dynamic_stack: false
    .vgpr_count:     12
    .vgpr_spill_count: 0
    .wavefront_size: 64
  - .agpr_count:     0
    .args:
      - .offset:         0
        .size:           56
        .value_kind:     by_value
    .group_segment_fixed_size: 0
    .kernarg_segment_align: 8
    .kernarg_segment_size: 56
    .language:       OpenCL C
    .language_version:
      - 2
      - 0
    .max_flat_workgroup_size: 128
    .name:           _ZN7rocprim17ROCPRIM_400000_NS6detail17trampoline_kernelINS0_14default_configENS1_27upper_bound_config_selectorItiEEZNS1_14transform_implILb0ES3_S5_N6thrust23THRUST_200600_302600_NS6detail15normal_iteratorINS8_10device_ptrItEEEENSA_INSB_IiEEEEZNS1_13binary_searchIS3_S5_SD_SD_SF_NS1_21upper_bound_search_opENS9_16wrapped_functionINS0_4lessIvEEbEEEE10hipError_tPvRmT1_T2_T3_mmT4_T5_P12ihipStream_tbEUlRKtE_EESM_SQ_SR_mSS_SV_bEUlT_E_NS1_11comp_targetILNS1_3genE3ELNS1_11target_archE908ELNS1_3gpuE7ELNS1_3repE0EEENS1_30default_config_static_selectorELNS0_4arch9wavefront6targetE1EEEvSP_
    .private_segment_fixed_size: 0
    .sgpr_count:     4
    .sgpr_spill_count: 0
    .symbol:         _ZN7rocprim17ROCPRIM_400000_NS6detail17trampoline_kernelINS0_14default_configENS1_27upper_bound_config_selectorItiEEZNS1_14transform_implILb0ES3_S5_N6thrust23THRUST_200600_302600_NS6detail15normal_iteratorINS8_10device_ptrItEEEENSA_INSB_IiEEEEZNS1_13binary_searchIS3_S5_SD_SD_SF_NS1_21upper_bound_search_opENS9_16wrapped_functionINS0_4lessIvEEbEEEE10hipError_tPvRmT1_T2_T3_mmT4_T5_P12ihipStream_tbEUlRKtE_EESM_SQ_SR_mSS_SV_bEUlT_E_NS1_11comp_targetILNS1_3genE3ELNS1_11target_archE908ELNS1_3gpuE7ELNS1_3repE0EEENS1_30default_config_static_selectorELNS0_4arch9wavefront6targetE1EEEvSP_.kd
    .uniform_work_group_size: 1
    .uses_dynamic_stack: false
    .vgpr_count:     0
    .vgpr_spill_count: 0
    .wavefront_size: 64
  - .agpr_count:     0
    .args:
      - .offset:         0
        .size:           56
        .value_kind:     by_value
    .group_segment_fixed_size: 0
    .kernarg_segment_align: 8
    .kernarg_segment_size: 56
    .language:       OpenCL C
    .language_version:
      - 2
      - 0
    .max_flat_workgroup_size: 256
    .name:           _ZN7rocprim17ROCPRIM_400000_NS6detail17trampoline_kernelINS0_14default_configENS1_27upper_bound_config_selectorItiEEZNS1_14transform_implILb0ES3_S5_N6thrust23THRUST_200600_302600_NS6detail15normal_iteratorINS8_10device_ptrItEEEENSA_INSB_IiEEEEZNS1_13binary_searchIS3_S5_SD_SD_SF_NS1_21upper_bound_search_opENS9_16wrapped_functionINS0_4lessIvEEbEEEE10hipError_tPvRmT1_T2_T3_mmT4_T5_P12ihipStream_tbEUlRKtE_EESM_SQ_SR_mSS_SV_bEUlT_E_NS1_11comp_targetILNS1_3genE2ELNS1_11target_archE906ELNS1_3gpuE6ELNS1_3repE0EEENS1_30default_config_static_selectorELNS0_4arch9wavefront6targetE1EEEvSP_
    .private_segment_fixed_size: 0
    .sgpr_count:     4
    .sgpr_spill_count: 0
    .symbol:         _ZN7rocprim17ROCPRIM_400000_NS6detail17trampoline_kernelINS0_14default_configENS1_27upper_bound_config_selectorItiEEZNS1_14transform_implILb0ES3_S5_N6thrust23THRUST_200600_302600_NS6detail15normal_iteratorINS8_10device_ptrItEEEENSA_INSB_IiEEEEZNS1_13binary_searchIS3_S5_SD_SD_SF_NS1_21upper_bound_search_opENS9_16wrapped_functionINS0_4lessIvEEbEEEE10hipError_tPvRmT1_T2_T3_mmT4_T5_P12ihipStream_tbEUlRKtE_EESM_SQ_SR_mSS_SV_bEUlT_E_NS1_11comp_targetILNS1_3genE2ELNS1_11target_archE906ELNS1_3gpuE6ELNS1_3repE0EEENS1_30default_config_static_selectorELNS0_4arch9wavefront6targetE1EEEvSP_.kd
    .uniform_work_group_size: 1
    .uses_dynamic_stack: false
    .vgpr_count:     0
    .vgpr_spill_count: 0
    .wavefront_size: 64
  - .agpr_count:     0
    .args:
      - .offset:         0
        .size:           56
        .value_kind:     by_value
    .group_segment_fixed_size: 0
    .kernarg_segment_align: 8
    .kernarg_segment_size: 56
    .language:       OpenCL C
    .language_version:
      - 2
      - 0
    .max_flat_workgroup_size: 256
    .name:           _ZN7rocprim17ROCPRIM_400000_NS6detail17trampoline_kernelINS0_14default_configENS1_27upper_bound_config_selectorItiEEZNS1_14transform_implILb0ES3_S5_N6thrust23THRUST_200600_302600_NS6detail15normal_iteratorINS8_10device_ptrItEEEENSA_INSB_IiEEEEZNS1_13binary_searchIS3_S5_SD_SD_SF_NS1_21upper_bound_search_opENS9_16wrapped_functionINS0_4lessIvEEbEEEE10hipError_tPvRmT1_T2_T3_mmT4_T5_P12ihipStream_tbEUlRKtE_EESM_SQ_SR_mSS_SV_bEUlT_E_NS1_11comp_targetILNS1_3genE10ELNS1_11target_archE1201ELNS1_3gpuE5ELNS1_3repE0EEENS1_30default_config_static_selectorELNS0_4arch9wavefront6targetE1EEEvSP_
    .private_segment_fixed_size: 0
    .sgpr_count:     4
    .sgpr_spill_count: 0
    .symbol:         _ZN7rocprim17ROCPRIM_400000_NS6detail17trampoline_kernelINS0_14default_configENS1_27upper_bound_config_selectorItiEEZNS1_14transform_implILb0ES3_S5_N6thrust23THRUST_200600_302600_NS6detail15normal_iteratorINS8_10device_ptrItEEEENSA_INSB_IiEEEEZNS1_13binary_searchIS3_S5_SD_SD_SF_NS1_21upper_bound_search_opENS9_16wrapped_functionINS0_4lessIvEEbEEEE10hipError_tPvRmT1_T2_T3_mmT4_T5_P12ihipStream_tbEUlRKtE_EESM_SQ_SR_mSS_SV_bEUlT_E_NS1_11comp_targetILNS1_3genE10ELNS1_11target_archE1201ELNS1_3gpuE5ELNS1_3repE0EEENS1_30default_config_static_selectorELNS0_4arch9wavefront6targetE1EEEvSP_.kd
    .uniform_work_group_size: 1
    .uses_dynamic_stack: false
    .vgpr_count:     0
    .vgpr_spill_count: 0
    .wavefront_size: 64
  - .agpr_count:     0
    .args:
      - .offset:         0
        .size:           56
        .value_kind:     by_value
    .group_segment_fixed_size: 0
    .kernarg_segment_align: 8
    .kernarg_segment_size: 56
    .language:       OpenCL C
    .language_version:
      - 2
      - 0
    .max_flat_workgroup_size: 256
    .name:           _ZN7rocprim17ROCPRIM_400000_NS6detail17trampoline_kernelINS0_14default_configENS1_27upper_bound_config_selectorItiEEZNS1_14transform_implILb0ES3_S5_N6thrust23THRUST_200600_302600_NS6detail15normal_iteratorINS8_10device_ptrItEEEENSA_INSB_IiEEEEZNS1_13binary_searchIS3_S5_SD_SD_SF_NS1_21upper_bound_search_opENS9_16wrapped_functionINS0_4lessIvEEbEEEE10hipError_tPvRmT1_T2_T3_mmT4_T5_P12ihipStream_tbEUlRKtE_EESM_SQ_SR_mSS_SV_bEUlT_E_NS1_11comp_targetILNS1_3genE10ELNS1_11target_archE1200ELNS1_3gpuE4ELNS1_3repE0EEENS1_30default_config_static_selectorELNS0_4arch9wavefront6targetE1EEEvSP_
    .private_segment_fixed_size: 0
    .sgpr_count:     4
    .sgpr_spill_count: 0
    .symbol:         _ZN7rocprim17ROCPRIM_400000_NS6detail17trampoline_kernelINS0_14default_configENS1_27upper_bound_config_selectorItiEEZNS1_14transform_implILb0ES3_S5_N6thrust23THRUST_200600_302600_NS6detail15normal_iteratorINS8_10device_ptrItEEEENSA_INSB_IiEEEEZNS1_13binary_searchIS3_S5_SD_SD_SF_NS1_21upper_bound_search_opENS9_16wrapped_functionINS0_4lessIvEEbEEEE10hipError_tPvRmT1_T2_T3_mmT4_T5_P12ihipStream_tbEUlRKtE_EESM_SQ_SR_mSS_SV_bEUlT_E_NS1_11comp_targetILNS1_3genE10ELNS1_11target_archE1200ELNS1_3gpuE4ELNS1_3repE0EEENS1_30default_config_static_selectorELNS0_4arch9wavefront6targetE1EEEvSP_.kd
    .uniform_work_group_size: 1
    .uses_dynamic_stack: false
    .vgpr_count:     0
    .vgpr_spill_count: 0
    .wavefront_size: 64
  - .agpr_count:     0
    .args:
      - .offset:         0
        .size:           56
        .value_kind:     by_value
    .group_segment_fixed_size: 0
    .kernarg_segment_align: 8
    .kernarg_segment_size: 56
    .language:       OpenCL C
    .language_version:
      - 2
      - 0
    .max_flat_workgroup_size: 256
    .name:           _ZN7rocprim17ROCPRIM_400000_NS6detail17trampoline_kernelINS0_14default_configENS1_27upper_bound_config_selectorItiEEZNS1_14transform_implILb0ES3_S5_N6thrust23THRUST_200600_302600_NS6detail15normal_iteratorINS8_10device_ptrItEEEENSA_INSB_IiEEEEZNS1_13binary_searchIS3_S5_SD_SD_SF_NS1_21upper_bound_search_opENS9_16wrapped_functionINS0_4lessIvEEbEEEE10hipError_tPvRmT1_T2_T3_mmT4_T5_P12ihipStream_tbEUlRKtE_EESM_SQ_SR_mSS_SV_bEUlT_E_NS1_11comp_targetILNS1_3genE9ELNS1_11target_archE1100ELNS1_3gpuE3ELNS1_3repE0EEENS1_30default_config_static_selectorELNS0_4arch9wavefront6targetE1EEEvSP_
    .private_segment_fixed_size: 0
    .sgpr_count:     4
    .sgpr_spill_count: 0
    .symbol:         _ZN7rocprim17ROCPRIM_400000_NS6detail17trampoline_kernelINS0_14default_configENS1_27upper_bound_config_selectorItiEEZNS1_14transform_implILb0ES3_S5_N6thrust23THRUST_200600_302600_NS6detail15normal_iteratorINS8_10device_ptrItEEEENSA_INSB_IiEEEEZNS1_13binary_searchIS3_S5_SD_SD_SF_NS1_21upper_bound_search_opENS9_16wrapped_functionINS0_4lessIvEEbEEEE10hipError_tPvRmT1_T2_T3_mmT4_T5_P12ihipStream_tbEUlRKtE_EESM_SQ_SR_mSS_SV_bEUlT_E_NS1_11comp_targetILNS1_3genE9ELNS1_11target_archE1100ELNS1_3gpuE3ELNS1_3repE0EEENS1_30default_config_static_selectorELNS0_4arch9wavefront6targetE1EEEvSP_.kd
    .uniform_work_group_size: 1
    .uses_dynamic_stack: false
    .vgpr_count:     0
    .vgpr_spill_count: 0
    .wavefront_size: 64
  - .agpr_count:     0
    .args:
      - .offset:         0
        .size:           56
        .value_kind:     by_value
    .group_segment_fixed_size: 0
    .kernarg_segment_align: 8
    .kernarg_segment_size: 56
    .language:       OpenCL C
    .language_version:
      - 2
      - 0
    .max_flat_workgroup_size: 128
    .name:           _ZN7rocprim17ROCPRIM_400000_NS6detail17trampoline_kernelINS0_14default_configENS1_27upper_bound_config_selectorItiEEZNS1_14transform_implILb0ES3_S5_N6thrust23THRUST_200600_302600_NS6detail15normal_iteratorINS8_10device_ptrItEEEENSA_INSB_IiEEEEZNS1_13binary_searchIS3_S5_SD_SD_SF_NS1_21upper_bound_search_opENS9_16wrapped_functionINS0_4lessIvEEbEEEE10hipError_tPvRmT1_T2_T3_mmT4_T5_P12ihipStream_tbEUlRKtE_EESM_SQ_SR_mSS_SV_bEUlT_E_NS1_11comp_targetILNS1_3genE8ELNS1_11target_archE1030ELNS1_3gpuE2ELNS1_3repE0EEENS1_30default_config_static_selectorELNS0_4arch9wavefront6targetE1EEEvSP_
    .private_segment_fixed_size: 0
    .sgpr_count:     4
    .sgpr_spill_count: 0
    .symbol:         _ZN7rocprim17ROCPRIM_400000_NS6detail17trampoline_kernelINS0_14default_configENS1_27upper_bound_config_selectorItiEEZNS1_14transform_implILb0ES3_S5_N6thrust23THRUST_200600_302600_NS6detail15normal_iteratorINS8_10device_ptrItEEEENSA_INSB_IiEEEEZNS1_13binary_searchIS3_S5_SD_SD_SF_NS1_21upper_bound_search_opENS9_16wrapped_functionINS0_4lessIvEEbEEEE10hipError_tPvRmT1_T2_T3_mmT4_T5_P12ihipStream_tbEUlRKtE_EESM_SQ_SR_mSS_SV_bEUlT_E_NS1_11comp_targetILNS1_3genE8ELNS1_11target_archE1030ELNS1_3gpuE2ELNS1_3repE0EEENS1_30default_config_static_selectorELNS0_4arch9wavefront6targetE1EEEvSP_.kd
    .uniform_work_group_size: 1
    .uses_dynamic_stack: false
    .vgpr_count:     0
    .vgpr_spill_count: 0
    .wavefront_size: 64
  - .agpr_count:     0
    .args:
      - .offset:         0
        .size:           56
        .value_kind:     by_value
    .group_segment_fixed_size: 0
    .kernarg_segment_align: 8
    .kernarg_segment_size: 56
    .language:       OpenCL C
    .language_version:
      - 2
      - 0
    .max_flat_workgroup_size: 64
    .name:           _ZN7rocprim17ROCPRIM_400000_NS6detail17trampoline_kernelINS0_14default_configENS1_27upper_bound_config_selectorIxiEEZNS1_14transform_implILb0ES3_S5_N6thrust23THRUST_200600_302600_NS6detail15normal_iteratorINS8_10device_ptrIxEEEENSA_INSB_IiEEEEZNS1_13binary_searchIS3_S5_SD_SD_SF_NS1_21upper_bound_search_opENS9_16wrapped_functionINS0_4lessIvEEbEEEE10hipError_tPvRmT1_T2_T3_mmT4_T5_P12ihipStream_tbEUlRKxE_EESM_SQ_SR_mSS_SV_bEUlT_E_NS1_11comp_targetILNS1_3genE0ELNS1_11target_archE4294967295ELNS1_3gpuE0ELNS1_3repE0EEENS1_30default_config_static_selectorELNS0_4arch9wavefront6targetE1EEEvSP_
    .private_segment_fixed_size: 0
    .sgpr_count:     4
    .sgpr_spill_count: 0
    .symbol:         _ZN7rocprim17ROCPRIM_400000_NS6detail17trampoline_kernelINS0_14default_configENS1_27upper_bound_config_selectorIxiEEZNS1_14transform_implILb0ES3_S5_N6thrust23THRUST_200600_302600_NS6detail15normal_iteratorINS8_10device_ptrIxEEEENSA_INSB_IiEEEEZNS1_13binary_searchIS3_S5_SD_SD_SF_NS1_21upper_bound_search_opENS9_16wrapped_functionINS0_4lessIvEEbEEEE10hipError_tPvRmT1_T2_T3_mmT4_T5_P12ihipStream_tbEUlRKxE_EESM_SQ_SR_mSS_SV_bEUlT_E_NS1_11comp_targetILNS1_3genE0ELNS1_11target_archE4294967295ELNS1_3gpuE0ELNS1_3repE0EEENS1_30default_config_static_selectorELNS0_4arch9wavefront6targetE1EEEvSP_.kd
    .uniform_work_group_size: 1
    .uses_dynamic_stack: false
    .vgpr_count:     0
    .vgpr_spill_count: 0
    .wavefront_size: 64
  - .agpr_count:     0
    .args:
      - .offset:         0
        .size:           56
        .value_kind:     by_value
    .group_segment_fixed_size: 0
    .kernarg_segment_align: 8
    .kernarg_segment_size: 56
    .language:       OpenCL C
    .language_version:
      - 2
      - 0
    .max_flat_workgroup_size: 64
    .name:           _ZN7rocprim17ROCPRIM_400000_NS6detail17trampoline_kernelINS0_14default_configENS1_27upper_bound_config_selectorIxiEEZNS1_14transform_implILb0ES3_S5_N6thrust23THRUST_200600_302600_NS6detail15normal_iteratorINS8_10device_ptrIxEEEENSA_INSB_IiEEEEZNS1_13binary_searchIS3_S5_SD_SD_SF_NS1_21upper_bound_search_opENS9_16wrapped_functionINS0_4lessIvEEbEEEE10hipError_tPvRmT1_T2_T3_mmT4_T5_P12ihipStream_tbEUlRKxE_EESM_SQ_SR_mSS_SV_bEUlT_E_NS1_11comp_targetILNS1_3genE5ELNS1_11target_archE942ELNS1_3gpuE9ELNS1_3repE0EEENS1_30default_config_static_selectorELNS0_4arch9wavefront6targetE1EEEvSP_
    .private_segment_fixed_size: 0
    .sgpr_count:     4
    .sgpr_spill_count: 0
    .symbol:         _ZN7rocprim17ROCPRIM_400000_NS6detail17trampoline_kernelINS0_14default_configENS1_27upper_bound_config_selectorIxiEEZNS1_14transform_implILb0ES3_S5_N6thrust23THRUST_200600_302600_NS6detail15normal_iteratorINS8_10device_ptrIxEEEENSA_INSB_IiEEEEZNS1_13binary_searchIS3_S5_SD_SD_SF_NS1_21upper_bound_search_opENS9_16wrapped_functionINS0_4lessIvEEbEEEE10hipError_tPvRmT1_T2_T3_mmT4_T5_P12ihipStream_tbEUlRKxE_EESM_SQ_SR_mSS_SV_bEUlT_E_NS1_11comp_targetILNS1_3genE5ELNS1_11target_archE942ELNS1_3gpuE9ELNS1_3repE0EEENS1_30default_config_static_selectorELNS0_4arch9wavefront6targetE1EEEvSP_.kd
    .uniform_work_group_size: 1
    .uses_dynamic_stack: false
    .vgpr_count:     0
    .vgpr_spill_count: 0
    .wavefront_size: 64
  - .agpr_count:     0
    .args:
      - .offset:         0
        .size:           56
        .value_kind:     by_value
      - .offset:         56
        .size:           4
        .value_kind:     hidden_block_count_x
      - .offset:         60
        .size:           4
        .value_kind:     hidden_block_count_y
      - .offset:         64
        .size:           4
        .value_kind:     hidden_block_count_z
      - .offset:         68
        .size:           2
        .value_kind:     hidden_group_size_x
      - .offset:         70
        .size:           2
        .value_kind:     hidden_group_size_y
      - .offset:         72
        .size:           2
        .value_kind:     hidden_group_size_z
      - .offset:         74
        .size:           2
        .value_kind:     hidden_remainder_x
      - .offset:         76
        .size:           2
        .value_kind:     hidden_remainder_y
      - .offset:         78
        .size:           2
        .value_kind:     hidden_remainder_z
      - .offset:         96
        .size:           8
        .value_kind:     hidden_global_offset_x
      - .offset:         104
        .size:           8
        .value_kind:     hidden_global_offset_y
      - .offset:         112
        .size:           8
        .value_kind:     hidden_global_offset_z
      - .offset:         120
        .size:           2
        .value_kind:     hidden_grid_dims
    .group_segment_fixed_size: 0
    .kernarg_segment_align: 8
    .kernarg_segment_size: 312
    .language:       OpenCL C
    .language_version:
      - 2
      - 0
    .max_flat_workgroup_size: 64
    .name:           _ZN7rocprim17ROCPRIM_400000_NS6detail17trampoline_kernelINS0_14default_configENS1_27upper_bound_config_selectorIxiEEZNS1_14transform_implILb0ES3_S5_N6thrust23THRUST_200600_302600_NS6detail15normal_iteratorINS8_10device_ptrIxEEEENSA_INSB_IiEEEEZNS1_13binary_searchIS3_S5_SD_SD_SF_NS1_21upper_bound_search_opENS9_16wrapped_functionINS0_4lessIvEEbEEEE10hipError_tPvRmT1_T2_T3_mmT4_T5_P12ihipStream_tbEUlRKxE_EESM_SQ_SR_mSS_SV_bEUlT_E_NS1_11comp_targetILNS1_3genE4ELNS1_11target_archE910ELNS1_3gpuE8ELNS1_3repE0EEENS1_30default_config_static_selectorELNS0_4arch9wavefront6targetE1EEEvSP_
    .private_segment_fixed_size: 0
    .sgpr_count:     24
    .sgpr_spill_count: 0
    .symbol:         _ZN7rocprim17ROCPRIM_400000_NS6detail17trampoline_kernelINS0_14default_configENS1_27upper_bound_config_selectorIxiEEZNS1_14transform_implILb0ES3_S5_N6thrust23THRUST_200600_302600_NS6detail15normal_iteratorINS8_10device_ptrIxEEEENSA_INSB_IiEEEEZNS1_13binary_searchIS3_S5_SD_SD_SF_NS1_21upper_bound_search_opENS9_16wrapped_functionINS0_4lessIvEEbEEEE10hipError_tPvRmT1_T2_T3_mmT4_T5_P12ihipStream_tbEUlRKxE_EESM_SQ_SR_mSS_SV_bEUlT_E_NS1_11comp_targetILNS1_3genE4ELNS1_11target_archE910ELNS1_3gpuE8ELNS1_3repE0EEENS1_30default_config_static_selectorELNS0_4arch9wavefront6targetE1EEEvSP_.kd
    .uniform_work_group_size: 1
    .uses_dynamic_stack: false
    .vgpr_count:     14
    .vgpr_spill_count: 0
    .wavefront_size: 64
  - .agpr_count:     0
    .args:
      - .offset:         0
        .size:           56
        .value_kind:     by_value
    .group_segment_fixed_size: 0
    .kernarg_segment_align: 8
    .kernarg_segment_size: 56
    .language:       OpenCL C
    .language_version:
      - 2
      - 0
    .max_flat_workgroup_size: 64
    .name:           _ZN7rocprim17ROCPRIM_400000_NS6detail17trampoline_kernelINS0_14default_configENS1_27upper_bound_config_selectorIxiEEZNS1_14transform_implILb0ES3_S5_N6thrust23THRUST_200600_302600_NS6detail15normal_iteratorINS8_10device_ptrIxEEEENSA_INSB_IiEEEEZNS1_13binary_searchIS3_S5_SD_SD_SF_NS1_21upper_bound_search_opENS9_16wrapped_functionINS0_4lessIvEEbEEEE10hipError_tPvRmT1_T2_T3_mmT4_T5_P12ihipStream_tbEUlRKxE_EESM_SQ_SR_mSS_SV_bEUlT_E_NS1_11comp_targetILNS1_3genE3ELNS1_11target_archE908ELNS1_3gpuE7ELNS1_3repE0EEENS1_30default_config_static_selectorELNS0_4arch9wavefront6targetE1EEEvSP_
    .private_segment_fixed_size: 0
    .sgpr_count:     4
    .sgpr_spill_count: 0
    .symbol:         _ZN7rocprim17ROCPRIM_400000_NS6detail17trampoline_kernelINS0_14default_configENS1_27upper_bound_config_selectorIxiEEZNS1_14transform_implILb0ES3_S5_N6thrust23THRUST_200600_302600_NS6detail15normal_iteratorINS8_10device_ptrIxEEEENSA_INSB_IiEEEEZNS1_13binary_searchIS3_S5_SD_SD_SF_NS1_21upper_bound_search_opENS9_16wrapped_functionINS0_4lessIvEEbEEEE10hipError_tPvRmT1_T2_T3_mmT4_T5_P12ihipStream_tbEUlRKxE_EESM_SQ_SR_mSS_SV_bEUlT_E_NS1_11comp_targetILNS1_3genE3ELNS1_11target_archE908ELNS1_3gpuE7ELNS1_3repE0EEENS1_30default_config_static_selectorELNS0_4arch9wavefront6targetE1EEEvSP_.kd
    .uniform_work_group_size: 1
    .uses_dynamic_stack: false
    .vgpr_count:     0
    .vgpr_spill_count: 0
    .wavefront_size: 64
  - .agpr_count:     0
    .args:
      - .offset:         0
        .size:           56
        .value_kind:     by_value
    .group_segment_fixed_size: 0
    .kernarg_segment_align: 8
    .kernarg_segment_size: 56
    .language:       OpenCL C
    .language_version:
      - 2
      - 0
    .max_flat_workgroup_size: 256
    .name:           _ZN7rocprim17ROCPRIM_400000_NS6detail17trampoline_kernelINS0_14default_configENS1_27upper_bound_config_selectorIxiEEZNS1_14transform_implILb0ES3_S5_N6thrust23THRUST_200600_302600_NS6detail15normal_iteratorINS8_10device_ptrIxEEEENSA_INSB_IiEEEEZNS1_13binary_searchIS3_S5_SD_SD_SF_NS1_21upper_bound_search_opENS9_16wrapped_functionINS0_4lessIvEEbEEEE10hipError_tPvRmT1_T2_T3_mmT4_T5_P12ihipStream_tbEUlRKxE_EESM_SQ_SR_mSS_SV_bEUlT_E_NS1_11comp_targetILNS1_3genE2ELNS1_11target_archE906ELNS1_3gpuE6ELNS1_3repE0EEENS1_30default_config_static_selectorELNS0_4arch9wavefront6targetE1EEEvSP_
    .private_segment_fixed_size: 0
    .sgpr_count:     4
    .sgpr_spill_count: 0
    .symbol:         _ZN7rocprim17ROCPRIM_400000_NS6detail17trampoline_kernelINS0_14default_configENS1_27upper_bound_config_selectorIxiEEZNS1_14transform_implILb0ES3_S5_N6thrust23THRUST_200600_302600_NS6detail15normal_iteratorINS8_10device_ptrIxEEEENSA_INSB_IiEEEEZNS1_13binary_searchIS3_S5_SD_SD_SF_NS1_21upper_bound_search_opENS9_16wrapped_functionINS0_4lessIvEEbEEEE10hipError_tPvRmT1_T2_T3_mmT4_T5_P12ihipStream_tbEUlRKxE_EESM_SQ_SR_mSS_SV_bEUlT_E_NS1_11comp_targetILNS1_3genE2ELNS1_11target_archE906ELNS1_3gpuE6ELNS1_3repE0EEENS1_30default_config_static_selectorELNS0_4arch9wavefront6targetE1EEEvSP_.kd
    .uniform_work_group_size: 1
    .uses_dynamic_stack: false
    .vgpr_count:     0
    .vgpr_spill_count: 0
    .wavefront_size: 64
  - .agpr_count:     0
    .args:
      - .offset:         0
        .size:           56
        .value_kind:     by_value
    .group_segment_fixed_size: 0
    .kernarg_segment_align: 8
    .kernarg_segment_size: 56
    .language:       OpenCL C
    .language_version:
      - 2
      - 0
    .max_flat_workgroup_size: 128
    .name:           _ZN7rocprim17ROCPRIM_400000_NS6detail17trampoline_kernelINS0_14default_configENS1_27upper_bound_config_selectorIxiEEZNS1_14transform_implILb0ES3_S5_N6thrust23THRUST_200600_302600_NS6detail15normal_iteratorINS8_10device_ptrIxEEEENSA_INSB_IiEEEEZNS1_13binary_searchIS3_S5_SD_SD_SF_NS1_21upper_bound_search_opENS9_16wrapped_functionINS0_4lessIvEEbEEEE10hipError_tPvRmT1_T2_T3_mmT4_T5_P12ihipStream_tbEUlRKxE_EESM_SQ_SR_mSS_SV_bEUlT_E_NS1_11comp_targetILNS1_3genE10ELNS1_11target_archE1201ELNS1_3gpuE5ELNS1_3repE0EEENS1_30default_config_static_selectorELNS0_4arch9wavefront6targetE1EEEvSP_
    .private_segment_fixed_size: 0
    .sgpr_count:     4
    .sgpr_spill_count: 0
    .symbol:         _ZN7rocprim17ROCPRIM_400000_NS6detail17trampoline_kernelINS0_14default_configENS1_27upper_bound_config_selectorIxiEEZNS1_14transform_implILb0ES3_S5_N6thrust23THRUST_200600_302600_NS6detail15normal_iteratorINS8_10device_ptrIxEEEENSA_INSB_IiEEEEZNS1_13binary_searchIS3_S5_SD_SD_SF_NS1_21upper_bound_search_opENS9_16wrapped_functionINS0_4lessIvEEbEEEE10hipError_tPvRmT1_T2_T3_mmT4_T5_P12ihipStream_tbEUlRKxE_EESM_SQ_SR_mSS_SV_bEUlT_E_NS1_11comp_targetILNS1_3genE10ELNS1_11target_archE1201ELNS1_3gpuE5ELNS1_3repE0EEENS1_30default_config_static_selectorELNS0_4arch9wavefront6targetE1EEEvSP_.kd
    .uniform_work_group_size: 1
    .uses_dynamic_stack: false
    .vgpr_count:     0
    .vgpr_spill_count: 0
    .wavefront_size: 64
  - .agpr_count:     0
    .args:
      - .offset:         0
        .size:           56
        .value_kind:     by_value
    .group_segment_fixed_size: 0
    .kernarg_segment_align: 8
    .kernarg_segment_size: 56
    .language:       OpenCL C
    .language_version:
      - 2
      - 0
    .max_flat_workgroup_size: 128
    .name:           _ZN7rocprim17ROCPRIM_400000_NS6detail17trampoline_kernelINS0_14default_configENS1_27upper_bound_config_selectorIxiEEZNS1_14transform_implILb0ES3_S5_N6thrust23THRUST_200600_302600_NS6detail15normal_iteratorINS8_10device_ptrIxEEEENSA_INSB_IiEEEEZNS1_13binary_searchIS3_S5_SD_SD_SF_NS1_21upper_bound_search_opENS9_16wrapped_functionINS0_4lessIvEEbEEEE10hipError_tPvRmT1_T2_T3_mmT4_T5_P12ihipStream_tbEUlRKxE_EESM_SQ_SR_mSS_SV_bEUlT_E_NS1_11comp_targetILNS1_3genE10ELNS1_11target_archE1200ELNS1_3gpuE4ELNS1_3repE0EEENS1_30default_config_static_selectorELNS0_4arch9wavefront6targetE1EEEvSP_
    .private_segment_fixed_size: 0
    .sgpr_count:     4
    .sgpr_spill_count: 0
    .symbol:         _ZN7rocprim17ROCPRIM_400000_NS6detail17trampoline_kernelINS0_14default_configENS1_27upper_bound_config_selectorIxiEEZNS1_14transform_implILb0ES3_S5_N6thrust23THRUST_200600_302600_NS6detail15normal_iteratorINS8_10device_ptrIxEEEENSA_INSB_IiEEEEZNS1_13binary_searchIS3_S5_SD_SD_SF_NS1_21upper_bound_search_opENS9_16wrapped_functionINS0_4lessIvEEbEEEE10hipError_tPvRmT1_T2_T3_mmT4_T5_P12ihipStream_tbEUlRKxE_EESM_SQ_SR_mSS_SV_bEUlT_E_NS1_11comp_targetILNS1_3genE10ELNS1_11target_archE1200ELNS1_3gpuE4ELNS1_3repE0EEENS1_30default_config_static_selectorELNS0_4arch9wavefront6targetE1EEEvSP_.kd
    .uniform_work_group_size: 1
    .uses_dynamic_stack: false
    .vgpr_count:     0
    .vgpr_spill_count: 0
    .wavefront_size: 64
  - .agpr_count:     0
    .args:
      - .offset:         0
        .size:           56
        .value_kind:     by_value
    .group_segment_fixed_size: 0
    .kernarg_segment_align: 8
    .kernarg_segment_size: 56
    .language:       OpenCL C
    .language_version:
      - 2
      - 0
    .max_flat_workgroup_size: 64
    .name:           _ZN7rocprim17ROCPRIM_400000_NS6detail17trampoline_kernelINS0_14default_configENS1_27upper_bound_config_selectorIxiEEZNS1_14transform_implILb0ES3_S5_N6thrust23THRUST_200600_302600_NS6detail15normal_iteratorINS8_10device_ptrIxEEEENSA_INSB_IiEEEEZNS1_13binary_searchIS3_S5_SD_SD_SF_NS1_21upper_bound_search_opENS9_16wrapped_functionINS0_4lessIvEEbEEEE10hipError_tPvRmT1_T2_T3_mmT4_T5_P12ihipStream_tbEUlRKxE_EESM_SQ_SR_mSS_SV_bEUlT_E_NS1_11comp_targetILNS1_3genE9ELNS1_11target_archE1100ELNS1_3gpuE3ELNS1_3repE0EEENS1_30default_config_static_selectorELNS0_4arch9wavefront6targetE1EEEvSP_
    .private_segment_fixed_size: 0
    .sgpr_count:     4
    .sgpr_spill_count: 0
    .symbol:         _ZN7rocprim17ROCPRIM_400000_NS6detail17trampoline_kernelINS0_14default_configENS1_27upper_bound_config_selectorIxiEEZNS1_14transform_implILb0ES3_S5_N6thrust23THRUST_200600_302600_NS6detail15normal_iteratorINS8_10device_ptrIxEEEENSA_INSB_IiEEEEZNS1_13binary_searchIS3_S5_SD_SD_SF_NS1_21upper_bound_search_opENS9_16wrapped_functionINS0_4lessIvEEbEEEE10hipError_tPvRmT1_T2_T3_mmT4_T5_P12ihipStream_tbEUlRKxE_EESM_SQ_SR_mSS_SV_bEUlT_E_NS1_11comp_targetILNS1_3genE9ELNS1_11target_archE1100ELNS1_3gpuE3ELNS1_3repE0EEENS1_30default_config_static_selectorELNS0_4arch9wavefront6targetE1EEEvSP_.kd
    .uniform_work_group_size: 1
    .uses_dynamic_stack: false
    .vgpr_count:     0
    .vgpr_spill_count: 0
    .wavefront_size: 64
  - .agpr_count:     0
    .args:
      - .offset:         0
        .size:           56
        .value_kind:     by_value
    .group_segment_fixed_size: 0
    .kernarg_segment_align: 8
    .kernarg_segment_size: 56
    .language:       OpenCL C
    .language_version:
      - 2
      - 0
    .max_flat_workgroup_size: 256
    .name:           _ZN7rocprim17ROCPRIM_400000_NS6detail17trampoline_kernelINS0_14default_configENS1_27upper_bound_config_selectorIxiEEZNS1_14transform_implILb0ES3_S5_N6thrust23THRUST_200600_302600_NS6detail15normal_iteratorINS8_10device_ptrIxEEEENSA_INSB_IiEEEEZNS1_13binary_searchIS3_S5_SD_SD_SF_NS1_21upper_bound_search_opENS9_16wrapped_functionINS0_4lessIvEEbEEEE10hipError_tPvRmT1_T2_T3_mmT4_T5_P12ihipStream_tbEUlRKxE_EESM_SQ_SR_mSS_SV_bEUlT_E_NS1_11comp_targetILNS1_3genE8ELNS1_11target_archE1030ELNS1_3gpuE2ELNS1_3repE0EEENS1_30default_config_static_selectorELNS0_4arch9wavefront6targetE1EEEvSP_
    .private_segment_fixed_size: 0
    .sgpr_count:     4
    .sgpr_spill_count: 0
    .symbol:         _ZN7rocprim17ROCPRIM_400000_NS6detail17trampoline_kernelINS0_14default_configENS1_27upper_bound_config_selectorIxiEEZNS1_14transform_implILb0ES3_S5_N6thrust23THRUST_200600_302600_NS6detail15normal_iteratorINS8_10device_ptrIxEEEENSA_INSB_IiEEEEZNS1_13binary_searchIS3_S5_SD_SD_SF_NS1_21upper_bound_search_opENS9_16wrapped_functionINS0_4lessIvEEbEEEE10hipError_tPvRmT1_T2_T3_mmT4_T5_P12ihipStream_tbEUlRKxE_EESM_SQ_SR_mSS_SV_bEUlT_E_NS1_11comp_targetILNS1_3genE8ELNS1_11target_archE1030ELNS1_3gpuE2ELNS1_3repE0EEENS1_30default_config_static_selectorELNS0_4arch9wavefront6targetE1EEEvSP_.kd
    .uniform_work_group_size: 1
    .uses_dynamic_stack: false
    .vgpr_count:     0
    .vgpr_spill_count: 0
    .wavefront_size: 64
  - .agpr_count:     0
    .args:
      - .offset:         0
        .size:           56
        .value_kind:     by_value
    .group_segment_fixed_size: 0
    .kernarg_segment_align: 8
    .kernarg_segment_size: 56
    .language:       OpenCL C
    .language_version:
      - 2
      - 0
    .max_flat_workgroup_size: 256
    .name:           _ZN7rocprim17ROCPRIM_400000_NS6detail17trampoline_kernelINS0_14default_configENS1_27upper_bound_config_selectorIiiEEZNS1_14transform_implILb0ES3_S5_N6thrust23THRUST_200600_302600_NS6detail15normal_iteratorINS8_10device_ptrIiEEEESD_ZNS1_13binary_searchIS3_S5_SD_SD_SD_NS1_21upper_bound_search_opENS9_16wrapped_functionINS0_4lessIvEEbEEEE10hipError_tPvRmT1_T2_T3_mmT4_T5_P12ihipStream_tbEUlRKiE_EESK_SO_SP_mSQ_ST_bEUlT_E_NS1_11comp_targetILNS1_3genE0ELNS1_11target_archE4294967295ELNS1_3gpuE0ELNS1_3repE0EEENS1_30default_config_static_selectorELNS0_4arch9wavefront6targetE1EEEvSN_
    .private_segment_fixed_size: 0
    .sgpr_count:     4
    .sgpr_spill_count: 0
    .symbol:         _ZN7rocprim17ROCPRIM_400000_NS6detail17trampoline_kernelINS0_14default_configENS1_27upper_bound_config_selectorIiiEEZNS1_14transform_implILb0ES3_S5_N6thrust23THRUST_200600_302600_NS6detail15normal_iteratorINS8_10device_ptrIiEEEESD_ZNS1_13binary_searchIS3_S5_SD_SD_SD_NS1_21upper_bound_search_opENS9_16wrapped_functionINS0_4lessIvEEbEEEE10hipError_tPvRmT1_T2_T3_mmT4_T5_P12ihipStream_tbEUlRKiE_EESK_SO_SP_mSQ_ST_bEUlT_E_NS1_11comp_targetILNS1_3genE0ELNS1_11target_archE4294967295ELNS1_3gpuE0ELNS1_3repE0EEENS1_30default_config_static_selectorELNS0_4arch9wavefront6targetE1EEEvSN_.kd
    .uniform_work_group_size: 1
    .uses_dynamic_stack: false
    .vgpr_count:     0
    .vgpr_spill_count: 0
    .wavefront_size: 64
  - .agpr_count:     0
    .args:
      - .offset:         0
        .size:           56
        .value_kind:     by_value
    .group_segment_fixed_size: 0
    .kernarg_segment_align: 8
    .kernarg_segment_size: 56
    .language:       OpenCL C
    .language_version:
      - 2
      - 0
    .max_flat_workgroup_size: 256
    .name:           _ZN7rocprim17ROCPRIM_400000_NS6detail17trampoline_kernelINS0_14default_configENS1_27upper_bound_config_selectorIiiEEZNS1_14transform_implILb0ES3_S5_N6thrust23THRUST_200600_302600_NS6detail15normal_iteratorINS8_10device_ptrIiEEEESD_ZNS1_13binary_searchIS3_S5_SD_SD_SD_NS1_21upper_bound_search_opENS9_16wrapped_functionINS0_4lessIvEEbEEEE10hipError_tPvRmT1_T2_T3_mmT4_T5_P12ihipStream_tbEUlRKiE_EESK_SO_SP_mSQ_ST_bEUlT_E_NS1_11comp_targetILNS1_3genE5ELNS1_11target_archE942ELNS1_3gpuE9ELNS1_3repE0EEENS1_30default_config_static_selectorELNS0_4arch9wavefront6targetE1EEEvSN_
    .private_segment_fixed_size: 0
    .sgpr_count:     4
    .sgpr_spill_count: 0
    .symbol:         _ZN7rocprim17ROCPRIM_400000_NS6detail17trampoline_kernelINS0_14default_configENS1_27upper_bound_config_selectorIiiEEZNS1_14transform_implILb0ES3_S5_N6thrust23THRUST_200600_302600_NS6detail15normal_iteratorINS8_10device_ptrIiEEEESD_ZNS1_13binary_searchIS3_S5_SD_SD_SD_NS1_21upper_bound_search_opENS9_16wrapped_functionINS0_4lessIvEEbEEEE10hipError_tPvRmT1_T2_T3_mmT4_T5_P12ihipStream_tbEUlRKiE_EESK_SO_SP_mSQ_ST_bEUlT_E_NS1_11comp_targetILNS1_3genE5ELNS1_11target_archE942ELNS1_3gpuE9ELNS1_3repE0EEENS1_30default_config_static_selectorELNS0_4arch9wavefront6targetE1EEEvSN_.kd
    .uniform_work_group_size: 1
    .uses_dynamic_stack: false
    .vgpr_count:     0
    .vgpr_spill_count: 0
    .wavefront_size: 64
  - .agpr_count:     0
    .args:
      - .offset:         0
        .size:           56
        .value_kind:     by_value
      - .offset:         56
        .size:           4
        .value_kind:     hidden_block_count_x
      - .offset:         60
        .size:           4
        .value_kind:     hidden_block_count_y
      - .offset:         64
        .size:           4
        .value_kind:     hidden_block_count_z
      - .offset:         68
        .size:           2
        .value_kind:     hidden_group_size_x
      - .offset:         70
        .size:           2
        .value_kind:     hidden_group_size_y
      - .offset:         72
        .size:           2
        .value_kind:     hidden_group_size_z
      - .offset:         74
        .size:           2
        .value_kind:     hidden_remainder_x
      - .offset:         76
        .size:           2
        .value_kind:     hidden_remainder_y
      - .offset:         78
        .size:           2
        .value_kind:     hidden_remainder_z
      - .offset:         96
        .size:           8
        .value_kind:     hidden_global_offset_x
      - .offset:         104
        .size:           8
        .value_kind:     hidden_global_offset_y
      - .offset:         112
        .size:           8
        .value_kind:     hidden_global_offset_z
      - .offset:         120
        .size:           2
        .value_kind:     hidden_grid_dims
    .group_segment_fixed_size: 0
    .kernarg_segment_align: 8
    .kernarg_segment_size: 312
    .language:       OpenCL C
    .language_version:
      - 2
      - 0
    .max_flat_workgroup_size: 256
    .name:           _ZN7rocprim17ROCPRIM_400000_NS6detail17trampoline_kernelINS0_14default_configENS1_27upper_bound_config_selectorIiiEEZNS1_14transform_implILb0ES3_S5_N6thrust23THRUST_200600_302600_NS6detail15normal_iteratorINS8_10device_ptrIiEEEESD_ZNS1_13binary_searchIS3_S5_SD_SD_SD_NS1_21upper_bound_search_opENS9_16wrapped_functionINS0_4lessIvEEbEEEE10hipError_tPvRmT1_T2_T3_mmT4_T5_P12ihipStream_tbEUlRKiE_EESK_SO_SP_mSQ_ST_bEUlT_E_NS1_11comp_targetILNS1_3genE4ELNS1_11target_archE910ELNS1_3gpuE8ELNS1_3repE0EEENS1_30default_config_static_selectorELNS0_4arch9wavefront6targetE1EEEvSN_
    .private_segment_fixed_size: 0
    .sgpr_count:     22
    .sgpr_spill_count: 0
    .symbol:         _ZN7rocprim17ROCPRIM_400000_NS6detail17trampoline_kernelINS0_14default_configENS1_27upper_bound_config_selectorIiiEEZNS1_14transform_implILb0ES3_S5_N6thrust23THRUST_200600_302600_NS6detail15normal_iteratorINS8_10device_ptrIiEEEESD_ZNS1_13binary_searchIS3_S5_SD_SD_SD_NS1_21upper_bound_search_opENS9_16wrapped_functionINS0_4lessIvEEbEEEE10hipError_tPvRmT1_T2_T3_mmT4_T5_P12ihipStream_tbEUlRKiE_EESK_SO_SP_mSQ_ST_bEUlT_E_NS1_11comp_targetILNS1_3genE4ELNS1_11target_archE910ELNS1_3gpuE8ELNS1_3repE0EEENS1_30default_config_static_selectorELNS0_4arch9wavefront6targetE1EEEvSN_.kd
    .uniform_work_group_size: 1
    .uses_dynamic_stack: false
    .vgpr_count:     12
    .vgpr_spill_count: 0
    .wavefront_size: 64
  - .agpr_count:     0
    .args:
      - .offset:         0
        .size:           56
        .value_kind:     by_value
    .group_segment_fixed_size: 0
    .kernarg_segment_align: 8
    .kernarg_segment_size: 56
    .language:       OpenCL C
    .language_version:
      - 2
      - 0
    .max_flat_workgroup_size: 256
    .name:           _ZN7rocprim17ROCPRIM_400000_NS6detail17trampoline_kernelINS0_14default_configENS1_27upper_bound_config_selectorIiiEEZNS1_14transform_implILb0ES3_S5_N6thrust23THRUST_200600_302600_NS6detail15normal_iteratorINS8_10device_ptrIiEEEESD_ZNS1_13binary_searchIS3_S5_SD_SD_SD_NS1_21upper_bound_search_opENS9_16wrapped_functionINS0_4lessIvEEbEEEE10hipError_tPvRmT1_T2_T3_mmT4_T5_P12ihipStream_tbEUlRKiE_EESK_SO_SP_mSQ_ST_bEUlT_E_NS1_11comp_targetILNS1_3genE3ELNS1_11target_archE908ELNS1_3gpuE7ELNS1_3repE0EEENS1_30default_config_static_selectorELNS0_4arch9wavefront6targetE1EEEvSN_
    .private_segment_fixed_size: 0
    .sgpr_count:     4
    .sgpr_spill_count: 0
    .symbol:         _ZN7rocprim17ROCPRIM_400000_NS6detail17trampoline_kernelINS0_14default_configENS1_27upper_bound_config_selectorIiiEEZNS1_14transform_implILb0ES3_S5_N6thrust23THRUST_200600_302600_NS6detail15normal_iteratorINS8_10device_ptrIiEEEESD_ZNS1_13binary_searchIS3_S5_SD_SD_SD_NS1_21upper_bound_search_opENS9_16wrapped_functionINS0_4lessIvEEbEEEE10hipError_tPvRmT1_T2_T3_mmT4_T5_P12ihipStream_tbEUlRKiE_EESK_SO_SP_mSQ_ST_bEUlT_E_NS1_11comp_targetILNS1_3genE3ELNS1_11target_archE908ELNS1_3gpuE7ELNS1_3repE0EEENS1_30default_config_static_selectorELNS0_4arch9wavefront6targetE1EEEvSN_.kd
    .uniform_work_group_size: 1
    .uses_dynamic_stack: false
    .vgpr_count:     0
    .vgpr_spill_count: 0
    .wavefront_size: 64
  - .agpr_count:     0
    .args:
      - .offset:         0
        .size:           56
        .value_kind:     by_value
    .group_segment_fixed_size: 0
    .kernarg_segment_align: 8
    .kernarg_segment_size: 56
    .language:       OpenCL C
    .language_version:
      - 2
      - 0
    .max_flat_workgroup_size: 256
    .name:           _ZN7rocprim17ROCPRIM_400000_NS6detail17trampoline_kernelINS0_14default_configENS1_27upper_bound_config_selectorIiiEEZNS1_14transform_implILb0ES3_S5_N6thrust23THRUST_200600_302600_NS6detail15normal_iteratorINS8_10device_ptrIiEEEESD_ZNS1_13binary_searchIS3_S5_SD_SD_SD_NS1_21upper_bound_search_opENS9_16wrapped_functionINS0_4lessIvEEbEEEE10hipError_tPvRmT1_T2_T3_mmT4_T5_P12ihipStream_tbEUlRKiE_EESK_SO_SP_mSQ_ST_bEUlT_E_NS1_11comp_targetILNS1_3genE2ELNS1_11target_archE906ELNS1_3gpuE6ELNS1_3repE0EEENS1_30default_config_static_selectorELNS0_4arch9wavefront6targetE1EEEvSN_
    .private_segment_fixed_size: 0
    .sgpr_count:     4
    .sgpr_spill_count: 0
    .symbol:         _ZN7rocprim17ROCPRIM_400000_NS6detail17trampoline_kernelINS0_14default_configENS1_27upper_bound_config_selectorIiiEEZNS1_14transform_implILb0ES3_S5_N6thrust23THRUST_200600_302600_NS6detail15normal_iteratorINS8_10device_ptrIiEEEESD_ZNS1_13binary_searchIS3_S5_SD_SD_SD_NS1_21upper_bound_search_opENS9_16wrapped_functionINS0_4lessIvEEbEEEE10hipError_tPvRmT1_T2_T3_mmT4_T5_P12ihipStream_tbEUlRKiE_EESK_SO_SP_mSQ_ST_bEUlT_E_NS1_11comp_targetILNS1_3genE2ELNS1_11target_archE906ELNS1_3gpuE6ELNS1_3repE0EEENS1_30default_config_static_selectorELNS0_4arch9wavefront6targetE1EEEvSN_.kd
    .uniform_work_group_size: 1
    .uses_dynamic_stack: false
    .vgpr_count:     0
    .vgpr_spill_count: 0
    .wavefront_size: 64
  - .agpr_count:     0
    .args:
      - .offset:         0
        .size:           56
        .value_kind:     by_value
    .group_segment_fixed_size: 0
    .kernarg_segment_align: 8
    .kernarg_segment_size: 56
    .language:       OpenCL C
    .language_version:
      - 2
      - 0
    .max_flat_workgroup_size: 128
    .name:           _ZN7rocprim17ROCPRIM_400000_NS6detail17trampoline_kernelINS0_14default_configENS1_27upper_bound_config_selectorIiiEEZNS1_14transform_implILb0ES3_S5_N6thrust23THRUST_200600_302600_NS6detail15normal_iteratorINS8_10device_ptrIiEEEESD_ZNS1_13binary_searchIS3_S5_SD_SD_SD_NS1_21upper_bound_search_opENS9_16wrapped_functionINS0_4lessIvEEbEEEE10hipError_tPvRmT1_T2_T3_mmT4_T5_P12ihipStream_tbEUlRKiE_EESK_SO_SP_mSQ_ST_bEUlT_E_NS1_11comp_targetILNS1_3genE10ELNS1_11target_archE1201ELNS1_3gpuE5ELNS1_3repE0EEENS1_30default_config_static_selectorELNS0_4arch9wavefront6targetE1EEEvSN_
    .private_segment_fixed_size: 0
    .sgpr_count:     4
    .sgpr_spill_count: 0
    .symbol:         _ZN7rocprim17ROCPRIM_400000_NS6detail17trampoline_kernelINS0_14default_configENS1_27upper_bound_config_selectorIiiEEZNS1_14transform_implILb0ES3_S5_N6thrust23THRUST_200600_302600_NS6detail15normal_iteratorINS8_10device_ptrIiEEEESD_ZNS1_13binary_searchIS3_S5_SD_SD_SD_NS1_21upper_bound_search_opENS9_16wrapped_functionINS0_4lessIvEEbEEEE10hipError_tPvRmT1_T2_T3_mmT4_T5_P12ihipStream_tbEUlRKiE_EESK_SO_SP_mSQ_ST_bEUlT_E_NS1_11comp_targetILNS1_3genE10ELNS1_11target_archE1201ELNS1_3gpuE5ELNS1_3repE0EEENS1_30default_config_static_selectorELNS0_4arch9wavefront6targetE1EEEvSN_.kd
    .uniform_work_group_size: 1
    .uses_dynamic_stack: false
    .vgpr_count:     0
    .vgpr_spill_count: 0
    .wavefront_size: 64
  - .agpr_count:     0
    .args:
      - .offset:         0
        .size:           56
        .value_kind:     by_value
    .group_segment_fixed_size: 0
    .kernarg_segment_align: 8
    .kernarg_segment_size: 56
    .language:       OpenCL C
    .language_version:
      - 2
      - 0
    .max_flat_workgroup_size: 128
    .name:           _ZN7rocprim17ROCPRIM_400000_NS6detail17trampoline_kernelINS0_14default_configENS1_27upper_bound_config_selectorIiiEEZNS1_14transform_implILb0ES3_S5_N6thrust23THRUST_200600_302600_NS6detail15normal_iteratorINS8_10device_ptrIiEEEESD_ZNS1_13binary_searchIS3_S5_SD_SD_SD_NS1_21upper_bound_search_opENS9_16wrapped_functionINS0_4lessIvEEbEEEE10hipError_tPvRmT1_T2_T3_mmT4_T5_P12ihipStream_tbEUlRKiE_EESK_SO_SP_mSQ_ST_bEUlT_E_NS1_11comp_targetILNS1_3genE10ELNS1_11target_archE1200ELNS1_3gpuE4ELNS1_3repE0EEENS1_30default_config_static_selectorELNS0_4arch9wavefront6targetE1EEEvSN_
    .private_segment_fixed_size: 0
    .sgpr_count:     4
    .sgpr_spill_count: 0
    .symbol:         _ZN7rocprim17ROCPRIM_400000_NS6detail17trampoline_kernelINS0_14default_configENS1_27upper_bound_config_selectorIiiEEZNS1_14transform_implILb0ES3_S5_N6thrust23THRUST_200600_302600_NS6detail15normal_iteratorINS8_10device_ptrIiEEEESD_ZNS1_13binary_searchIS3_S5_SD_SD_SD_NS1_21upper_bound_search_opENS9_16wrapped_functionINS0_4lessIvEEbEEEE10hipError_tPvRmT1_T2_T3_mmT4_T5_P12ihipStream_tbEUlRKiE_EESK_SO_SP_mSQ_ST_bEUlT_E_NS1_11comp_targetILNS1_3genE10ELNS1_11target_archE1200ELNS1_3gpuE4ELNS1_3repE0EEENS1_30default_config_static_selectorELNS0_4arch9wavefront6targetE1EEEvSN_.kd
    .uniform_work_group_size: 1
    .uses_dynamic_stack: false
    .vgpr_count:     0
    .vgpr_spill_count: 0
    .wavefront_size: 64
  - .agpr_count:     0
    .args:
      - .offset:         0
        .size:           56
        .value_kind:     by_value
    .group_segment_fixed_size: 0
    .kernarg_segment_align: 8
    .kernarg_segment_size: 56
    .language:       OpenCL C
    .language_version:
      - 2
      - 0
    .max_flat_workgroup_size: 256
    .name:           _ZN7rocprim17ROCPRIM_400000_NS6detail17trampoline_kernelINS0_14default_configENS1_27upper_bound_config_selectorIiiEEZNS1_14transform_implILb0ES3_S5_N6thrust23THRUST_200600_302600_NS6detail15normal_iteratorINS8_10device_ptrIiEEEESD_ZNS1_13binary_searchIS3_S5_SD_SD_SD_NS1_21upper_bound_search_opENS9_16wrapped_functionINS0_4lessIvEEbEEEE10hipError_tPvRmT1_T2_T3_mmT4_T5_P12ihipStream_tbEUlRKiE_EESK_SO_SP_mSQ_ST_bEUlT_E_NS1_11comp_targetILNS1_3genE9ELNS1_11target_archE1100ELNS1_3gpuE3ELNS1_3repE0EEENS1_30default_config_static_selectorELNS0_4arch9wavefront6targetE1EEEvSN_
    .private_segment_fixed_size: 0
    .sgpr_count:     4
    .sgpr_spill_count: 0
    .symbol:         _ZN7rocprim17ROCPRIM_400000_NS6detail17trampoline_kernelINS0_14default_configENS1_27upper_bound_config_selectorIiiEEZNS1_14transform_implILb0ES3_S5_N6thrust23THRUST_200600_302600_NS6detail15normal_iteratorINS8_10device_ptrIiEEEESD_ZNS1_13binary_searchIS3_S5_SD_SD_SD_NS1_21upper_bound_search_opENS9_16wrapped_functionINS0_4lessIvEEbEEEE10hipError_tPvRmT1_T2_T3_mmT4_T5_P12ihipStream_tbEUlRKiE_EESK_SO_SP_mSQ_ST_bEUlT_E_NS1_11comp_targetILNS1_3genE9ELNS1_11target_archE1100ELNS1_3gpuE3ELNS1_3repE0EEENS1_30default_config_static_selectorELNS0_4arch9wavefront6targetE1EEEvSN_.kd
    .uniform_work_group_size: 1
    .uses_dynamic_stack: false
    .vgpr_count:     0
    .vgpr_spill_count: 0
    .wavefront_size: 64
  - .agpr_count:     0
    .args:
      - .offset:         0
        .size:           56
        .value_kind:     by_value
    .group_segment_fixed_size: 0
    .kernarg_segment_align: 8
    .kernarg_segment_size: 56
    .language:       OpenCL C
    .language_version:
      - 2
      - 0
    .max_flat_workgroup_size: 256
    .name:           _ZN7rocprim17ROCPRIM_400000_NS6detail17trampoline_kernelINS0_14default_configENS1_27upper_bound_config_selectorIiiEEZNS1_14transform_implILb0ES3_S5_N6thrust23THRUST_200600_302600_NS6detail15normal_iteratorINS8_10device_ptrIiEEEESD_ZNS1_13binary_searchIS3_S5_SD_SD_SD_NS1_21upper_bound_search_opENS9_16wrapped_functionINS0_4lessIvEEbEEEE10hipError_tPvRmT1_T2_T3_mmT4_T5_P12ihipStream_tbEUlRKiE_EESK_SO_SP_mSQ_ST_bEUlT_E_NS1_11comp_targetILNS1_3genE8ELNS1_11target_archE1030ELNS1_3gpuE2ELNS1_3repE0EEENS1_30default_config_static_selectorELNS0_4arch9wavefront6targetE1EEEvSN_
    .private_segment_fixed_size: 0
    .sgpr_count:     4
    .sgpr_spill_count: 0
    .symbol:         _ZN7rocprim17ROCPRIM_400000_NS6detail17trampoline_kernelINS0_14default_configENS1_27upper_bound_config_selectorIiiEEZNS1_14transform_implILb0ES3_S5_N6thrust23THRUST_200600_302600_NS6detail15normal_iteratorINS8_10device_ptrIiEEEESD_ZNS1_13binary_searchIS3_S5_SD_SD_SD_NS1_21upper_bound_search_opENS9_16wrapped_functionINS0_4lessIvEEbEEEE10hipError_tPvRmT1_T2_T3_mmT4_T5_P12ihipStream_tbEUlRKiE_EESK_SO_SP_mSQ_ST_bEUlT_E_NS1_11comp_targetILNS1_3genE8ELNS1_11target_archE1030ELNS1_3gpuE2ELNS1_3repE0EEENS1_30default_config_static_selectorELNS0_4arch9wavefront6targetE1EEEvSN_.kd
    .uniform_work_group_size: 1
    .uses_dynamic_stack: false
    .vgpr_count:     0
    .vgpr_spill_count: 0
    .wavefront_size: 64
  - .agpr_count:     0
    .args:
      - .offset:         0
        .size:           56
        .value_kind:     by_value
    .group_segment_fixed_size: 0
    .kernarg_segment_align: 8
    .kernarg_segment_size: 56
    .language:       OpenCL C
    .language_version:
      - 2
      - 0
    .max_flat_workgroup_size: 128
    .name:           _ZN7rocprim17ROCPRIM_400000_NS6detail17trampoline_kernelINS0_14default_configENS1_27upper_bound_config_selectorIsiEEZNS1_14transform_implILb0ES3_S5_N6thrust23THRUST_200600_302600_NS6detail15normal_iteratorINS8_10device_ptrIsEEEENSA_INSB_IiEEEEZNS1_13binary_searchIS3_S5_SD_SD_SF_NS1_21upper_bound_search_opENS9_16wrapped_functionINS0_4lessIvEEbEEEE10hipError_tPvRmT1_T2_T3_mmT4_T5_P12ihipStream_tbEUlRKsE_EESM_SQ_SR_mSS_SV_bEUlT_E_NS1_11comp_targetILNS1_3genE0ELNS1_11target_archE4294967295ELNS1_3gpuE0ELNS1_3repE0EEENS1_30default_config_static_selectorELNS0_4arch9wavefront6targetE1EEEvSP_
    .private_segment_fixed_size: 0
    .sgpr_count:     4
    .sgpr_spill_count: 0
    .symbol:         _ZN7rocprim17ROCPRIM_400000_NS6detail17trampoline_kernelINS0_14default_configENS1_27upper_bound_config_selectorIsiEEZNS1_14transform_implILb0ES3_S5_N6thrust23THRUST_200600_302600_NS6detail15normal_iteratorINS8_10device_ptrIsEEEENSA_INSB_IiEEEEZNS1_13binary_searchIS3_S5_SD_SD_SF_NS1_21upper_bound_search_opENS9_16wrapped_functionINS0_4lessIvEEbEEEE10hipError_tPvRmT1_T2_T3_mmT4_T5_P12ihipStream_tbEUlRKsE_EESM_SQ_SR_mSS_SV_bEUlT_E_NS1_11comp_targetILNS1_3genE0ELNS1_11target_archE4294967295ELNS1_3gpuE0ELNS1_3repE0EEENS1_30default_config_static_selectorELNS0_4arch9wavefront6targetE1EEEvSP_.kd
    .uniform_work_group_size: 1
    .uses_dynamic_stack: false
    .vgpr_count:     0
    .vgpr_spill_count: 0
    .wavefront_size: 64
  - .agpr_count:     0
    .args:
      - .offset:         0
        .size:           56
        .value_kind:     by_value
    .group_segment_fixed_size: 0
    .kernarg_segment_align: 8
    .kernarg_segment_size: 56
    .language:       OpenCL C
    .language_version:
      - 2
      - 0
    .max_flat_workgroup_size: 256
    .name:           _ZN7rocprim17ROCPRIM_400000_NS6detail17trampoline_kernelINS0_14default_configENS1_27upper_bound_config_selectorIsiEEZNS1_14transform_implILb0ES3_S5_N6thrust23THRUST_200600_302600_NS6detail15normal_iteratorINS8_10device_ptrIsEEEENSA_INSB_IiEEEEZNS1_13binary_searchIS3_S5_SD_SD_SF_NS1_21upper_bound_search_opENS9_16wrapped_functionINS0_4lessIvEEbEEEE10hipError_tPvRmT1_T2_T3_mmT4_T5_P12ihipStream_tbEUlRKsE_EESM_SQ_SR_mSS_SV_bEUlT_E_NS1_11comp_targetILNS1_3genE5ELNS1_11target_archE942ELNS1_3gpuE9ELNS1_3repE0EEENS1_30default_config_static_selectorELNS0_4arch9wavefront6targetE1EEEvSP_
    .private_segment_fixed_size: 0
    .sgpr_count:     4
    .sgpr_spill_count: 0
    .symbol:         _ZN7rocprim17ROCPRIM_400000_NS6detail17trampoline_kernelINS0_14default_configENS1_27upper_bound_config_selectorIsiEEZNS1_14transform_implILb0ES3_S5_N6thrust23THRUST_200600_302600_NS6detail15normal_iteratorINS8_10device_ptrIsEEEENSA_INSB_IiEEEEZNS1_13binary_searchIS3_S5_SD_SD_SF_NS1_21upper_bound_search_opENS9_16wrapped_functionINS0_4lessIvEEbEEEE10hipError_tPvRmT1_T2_T3_mmT4_T5_P12ihipStream_tbEUlRKsE_EESM_SQ_SR_mSS_SV_bEUlT_E_NS1_11comp_targetILNS1_3genE5ELNS1_11target_archE942ELNS1_3gpuE9ELNS1_3repE0EEENS1_30default_config_static_selectorELNS0_4arch9wavefront6targetE1EEEvSP_.kd
    .uniform_work_group_size: 1
    .uses_dynamic_stack: false
    .vgpr_count:     0
    .vgpr_spill_count: 0
    .wavefront_size: 64
  - .agpr_count:     0
    .args:
      - .offset:         0
        .size:           56
        .value_kind:     by_value
      - .offset:         56
        .size:           4
        .value_kind:     hidden_block_count_x
      - .offset:         60
        .size:           4
        .value_kind:     hidden_block_count_y
      - .offset:         64
        .size:           4
        .value_kind:     hidden_block_count_z
      - .offset:         68
        .size:           2
        .value_kind:     hidden_group_size_x
      - .offset:         70
        .size:           2
        .value_kind:     hidden_group_size_y
      - .offset:         72
        .size:           2
        .value_kind:     hidden_group_size_z
      - .offset:         74
        .size:           2
        .value_kind:     hidden_remainder_x
      - .offset:         76
        .size:           2
        .value_kind:     hidden_remainder_y
      - .offset:         78
        .size:           2
        .value_kind:     hidden_remainder_z
      - .offset:         96
        .size:           8
        .value_kind:     hidden_global_offset_x
      - .offset:         104
        .size:           8
        .value_kind:     hidden_global_offset_y
      - .offset:         112
        .size:           8
        .value_kind:     hidden_global_offset_z
      - .offset:         120
        .size:           2
        .value_kind:     hidden_grid_dims
    .group_segment_fixed_size: 0
    .kernarg_segment_align: 8
    .kernarg_segment_size: 312
    .language:       OpenCL C
    .language_version:
      - 2
      - 0
    .max_flat_workgroup_size: 256
    .name:           _ZN7rocprim17ROCPRIM_400000_NS6detail17trampoline_kernelINS0_14default_configENS1_27upper_bound_config_selectorIsiEEZNS1_14transform_implILb0ES3_S5_N6thrust23THRUST_200600_302600_NS6detail15normal_iteratorINS8_10device_ptrIsEEEENSA_INSB_IiEEEEZNS1_13binary_searchIS3_S5_SD_SD_SF_NS1_21upper_bound_search_opENS9_16wrapped_functionINS0_4lessIvEEbEEEE10hipError_tPvRmT1_T2_T3_mmT4_T5_P12ihipStream_tbEUlRKsE_EESM_SQ_SR_mSS_SV_bEUlT_E_NS1_11comp_targetILNS1_3genE4ELNS1_11target_archE910ELNS1_3gpuE8ELNS1_3repE0EEENS1_30default_config_static_selectorELNS0_4arch9wavefront6targetE1EEEvSP_
    .private_segment_fixed_size: 0
    .sgpr_count:     24
    .sgpr_spill_count: 0
    .symbol:         _ZN7rocprim17ROCPRIM_400000_NS6detail17trampoline_kernelINS0_14default_configENS1_27upper_bound_config_selectorIsiEEZNS1_14transform_implILb0ES3_S5_N6thrust23THRUST_200600_302600_NS6detail15normal_iteratorINS8_10device_ptrIsEEEENSA_INSB_IiEEEEZNS1_13binary_searchIS3_S5_SD_SD_SF_NS1_21upper_bound_search_opENS9_16wrapped_functionINS0_4lessIvEEbEEEE10hipError_tPvRmT1_T2_T3_mmT4_T5_P12ihipStream_tbEUlRKsE_EESM_SQ_SR_mSS_SV_bEUlT_E_NS1_11comp_targetILNS1_3genE4ELNS1_11target_archE910ELNS1_3gpuE8ELNS1_3repE0EEENS1_30default_config_static_selectorELNS0_4arch9wavefront6targetE1EEEvSP_.kd
    .uniform_work_group_size: 1
    .uses_dynamic_stack: false
    .vgpr_count:     12
    .vgpr_spill_count: 0
    .wavefront_size: 64
  - .agpr_count:     0
    .args:
      - .offset:         0
        .size:           56
        .value_kind:     by_value
    .group_segment_fixed_size: 0
    .kernarg_segment_align: 8
    .kernarg_segment_size: 56
    .language:       OpenCL C
    .language_version:
      - 2
      - 0
    .max_flat_workgroup_size: 128
    .name:           _ZN7rocprim17ROCPRIM_400000_NS6detail17trampoline_kernelINS0_14default_configENS1_27upper_bound_config_selectorIsiEEZNS1_14transform_implILb0ES3_S5_N6thrust23THRUST_200600_302600_NS6detail15normal_iteratorINS8_10device_ptrIsEEEENSA_INSB_IiEEEEZNS1_13binary_searchIS3_S5_SD_SD_SF_NS1_21upper_bound_search_opENS9_16wrapped_functionINS0_4lessIvEEbEEEE10hipError_tPvRmT1_T2_T3_mmT4_T5_P12ihipStream_tbEUlRKsE_EESM_SQ_SR_mSS_SV_bEUlT_E_NS1_11comp_targetILNS1_3genE3ELNS1_11target_archE908ELNS1_3gpuE7ELNS1_3repE0EEENS1_30default_config_static_selectorELNS0_4arch9wavefront6targetE1EEEvSP_
    .private_segment_fixed_size: 0
    .sgpr_count:     4
    .sgpr_spill_count: 0
    .symbol:         _ZN7rocprim17ROCPRIM_400000_NS6detail17trampoline_kernelINS0_14default_configENS1_27upper_bound_config_selectorIsiEEZNS1_14transform_implILb0ES3_S5_N6thrust23THRUST_200600_302600_NS6detail15normal_iteratorINS8_10device_ptrIsEEEENSA_INSB_IiEEEEZNS1_13binary_searchIS3_S5_SD_SD_SF_NS1_21upper_bound_search_opENS9_16wrapped_functionINS0_4lessIvEEbEEEE10hipError_tPvRmT1_T2_T3_mmT4_T5_P12ihipStream_tbEUlRKsE_EESM_SQ_SR_mSS_SV_bEUlT_E_NS1_11comp_targetILNS1_3genE3ELNS1_11target_archE908ELNS1_3gpuE7ELNS1_3repE0EEENS1_30default_config_static_selectorELNS0_4arch9wavefront6targetE1EEEvSP_.kd
    .uniform_work_group_size: 1
    .uses_dynamic_stack: false
    .vgpr_count:     0
    .vgpr_spill_count: 0
    .wavefront_size: 64
  - .agpr_count:     0
    .args:
      - .offset:         0
        .size:           56
        .value_kind:     by_value
    .group_segment_fixed_size: 0
    .kernarg_segment_align: 8
    .kernarg_segment_size: 56
    .language:       OpenCL C
    .language_version:
      - 2
      - 0
    .max_flat_workgroup_size: 256
    .name:           _ZN7rocprim17ROCPRIM_400000_NS6detail17trampoline_kernelINS0_14default_configENS1_27upper_bound_config_selectorIsiEEZNS1_14transform_implILb0ES3_S5_N6thrust23THRUST_200600_302600_NS6detail15normal_iteratorINS8_10device_ptrIsEEEENSA_INSB_IiEEEEZNS1_13binary_searchIS3_S5_SD_SD_SF_NS1_21upper_bound_search_opENS9_16wrapped_functionINS0_4lessIvEEbEEEE10hipError_tPvRmT1_T2_T3_mmT4_T5_P12ihipStream_tbEUlRKsE_EESM_SQ_SR_mSS_SV_bEUlT_E_NS1_11comp_targetILNS1_3genE2ELNS1_11target_archE906ELNS1_3gpuE6ELNS1_3repE0EEENS1_30default_config_static_selectorELNS0_4arch9wavefront6targetE1EEEvSP_
    .private_segment_fixed_size: 0
    .sgpr_count:     4
    .sgpr_spill_count: 0
    .symbol:         _ZN7rocprim17ROCPRIM_400000_NS6detail17trampoline_kernelINS0_14default_configENS1_27upper_bound_config_selectorIsiEEZNS1_14transform_implILb0ES3_S5_N6thrust23THRUST_200600_302600_NS6detail15normal_iteratorINS8_10device_ptrIsEEEENSA_INSB_IiEEEEZNS1_13binary_searchIS3_S5_SD_SD_SF_NS1_21upper_bound_search_opENS9_16wrapped_functionINS0_4lessIvEEbEEEE10hipError_tPvRmT1_T2_T3_mmT4_T5_P12ihipStream_tbEUlRKsE_EESM_SQ_SR_mSS_SV_bEUlT_E_NS1_11comp_targetILNS1_3genE2ELNS1_11target_archE906ELNS1_3gpuE6ELNS1_3repE0EEENS1_30default_config_static_selectorELNS0_4arch9wavefront6targetE1EEEvSP_.kd
    .uniform_work_group_size: 1
    .uses_dynamic_stack: false
    .vgpr_count:     0
    .vgpr_spill_count: 0
    .wavefront_size: 64
  - .agpr_count:     0
    .args:
      - .offset:         0
        .size:           56
        .value_kind:     by_value
    .group_segment_fixed_size: 0
    .kernarg_segment_align: 8
    .kernarg_segment_size: 56
    .language:       OpenCL C
    .language_version:
      - 2
      - 0
    .max_flat_workgroup_size: 256
    .name:           _ZN7rocprim17ROCPRIM_400000_NS6detail17trampoline_kernelINS0_14default_configENS1_27upper_bound_config_selectorIsiEEZNS1_14transform_implILb0ES3_S5_N6thrust23THRUST_200600_302600_NS6detail15normal_iteratorINS8_10device_ptrIsEEEENSA_INSB_IiEEEEZNS1_13binary_searchIS3_S5_SD_SD_SF_NS1_21upper_bound_search_opENS9_16wrapped_functionINS0_4lessIvEEbEEEE10hipError_tPvRmT1_T2_T3_mmT4_T5_P12ihipStream_tbEUlRKsE_EESM_SQ_SR_mSS_SV_bEUlT_E_NS1_11comp_targetILNS1_3genE10ELNS1_11target_archE1201ELNS1_3gpuE5ELNS1_3repE0EEENS1_30default_config_static_selectorELNS0_4arch9wavefront6targetE1EEEvSP_
    .private_segment_fixed_size: 0
    .sgpr_count:     4
    .sgpr_spill_count: 0
    .symbol:         _ZN7rocprim17ROCPRIM_400000_NS6detail17trampoline_kernelINS0_14default_configENS1_27upper_bound_config_selectorIsiEEZNS1_14transform_implILb0ES3_S5_N6thrust23THRUST_200600_302600_NS6detail15normal_iteratorINS8_10device_ptrIsEEEENSA_INSB_IiEEEEZNS1_13binary_searchIS3_S5_SD_SD_SF_NS1_21upper_bound_search_opENS9_16wrapped_functionINS0_4lessIvEEbEEEE10hipError_tPvRmT1_T2_T3_mmT4_T5_P12ihipStream_tbEUlRKsE_EESM_SQ_SR_mSS_SV_bEUlT_E_NS1_11comp_targetILNS1_3genE10ELNS1_11target_archE1201ELNS1_3gpuE5ELNS1_3repE0EEENS1_30default_config_static_selectorELNS0_4arch9wavefront6targetE1EEEvSP_.kd
    .uniform_work_group_size: 1
    .uses_dynamic_stack: false
    .vgpr_count:     0
    .vgpr_spill_count: 0
    .wavefront_size: 64
  - .agpr_count:     0
    .args:
      - .offset:         0
        .size:           56
        .value_kind:     by_value
    .group_segment_fixed_size: 0
    .kernarg_segment_align: 8
    .kernarg_segment_size: 56
    .language:       OpenCL C
    .language_version:
      - 2
      - 0
    .max_flat_workgroup_size: 256
    .name:           _ZN7rocprim17ROCPRIM_400000_NS6detail17trampoline_kernelINS0_14default_configENS1_27upper_bound_config_selectorIsiEEZNS1_14transform_implILb0ES3_S5_N6thrust23THRUST_200600_302600_NS6detail15normal_iteratorINS8_10device_ptrIsEEEENSA_INSB_IiEEEEZNS1_13binary_searchIS3_S5_SD_SD_SF_NS1_21upper_bound_search_opENS9_16wrapped_functionINS0_4lessIvEEbEEEE10hipError_tPvRmT1_T2_T3_mmT4_T5_P12ihipStream_tbEUlRKsE_EESM_SQ_SR_mSS_SV_bEUlT_E_NS1_11comp_targetILNS1_3genE10ELNS1_11target_archE1200ELNS1_3gpuE4ELNS1_3repE0EEENS1_30default_config_static_selectorELNS0_4arch9wavefront6targetE1EEEvSP_
    .private_segment_fixed_size: 0
    .sgpr_count:     4
    .sgpr_spill_count: 0
    .symbol:         _ZN7rocprim17ROCPRIM_400000_NS6detail17trampoline_kernelINS0_14default_configENS1_27upper_bound_config_selectorIsiEEZNS1_14transform_implILb0ES3_S5_N6thrust23THRUST_200600_302600_NS6detail15normal_iteratorINS8_10device_ptrIsEEEENSA_INSB_IiEEEEZNS1_13binary_searchIS3_S5_SD_SD_SF_NS1_21upper_bound_search_opENS9_16wrapped_functionINS0_4lessIvEEbEEEE10hipError_tPvRmT1_T2_T3_mmT4_T5_P12ihipStream_tbEUlRKsE_EESM_SQ_SR_mSS_SV_bEUlT_E_NS1_11comp_targetILNS1_3genE10ELNS1_11target_archE1200ELNS1_3gpuE4ELNS1_3repE0EEENS1_30default_config_static_selectorELNS0_4arch9wavefront6targetE1EEEvSP_.kd
    .uniform_work_group_size: 1
    .uses_dynamic_stack: false
    .vgpr_count:     0
    .vgpr_spill_count: 0
    .wavefront_size: 64
  - .agpr_count:     0
    .args:
      - .offset:         0
        .size:           56
        .value_kind:     by_value
    .group_segment_fixed_size: 0
    .kernarg_segment_align: 8
    .kernarg_segment_size: 56
    .language:       OpenCL C
    .language_version:
      - 2
      - 0
    .max_flat_workgroup_size: 256
    .name:           _ZN7rocprim17ROCPRIM_400000_NS6detail17trampoline_kernelINS0_14default_configENS1_27upper_bound_config_selectorIsiEEZNS1_14transform_implILb0ES3_S5_N6thrust23THRUST_200600_302600_NS6detail15normal_iteratorINS8_10device_ptrIsEEEENSA_INSB_IiEEEEZNS1_13binary_searchIS3_S5_SD_SD_SF_NS1_21upper_bound_search_opENS9_16wrapped_functionINS0_4lessIvEEbEEEE10hipError_tPvRmT1_T2_T3_mmT4_T5_P12ihipStream_tbEUlRKsE_EESM_SQ_SR_mSS_SV_bEUlT_E_NS1_11comp_targetILNS1_3genE9ELNS1_11target_archE1100ELNS1_3gpuE3ELNS1_3repE0EEENS1_30default_config_static_selectorELNS0_4arch9wavefront6targetE1EEEvSP_
    .private_segment_fixed_size: 0
    .sgpr_count:     4
    .sgpr_spill_count: 0
    .symbol:         _ZN7rocprim17ROCPRIM_400000_NS6detail17trampoline_kernelINS0_14default_configENS1_27upper_bound_config_selectorIsiEEZNS1_14transform_implILb0ES3_S5_N6thrust23THRUST_200600_302600_NS6detail15normal_iteratorINS8_10device_ptrIsEEEENSA_INSB_IiEEEEZNS1_13binary_searchIS3_S5_SD_SD_SF_NS1_21upper_bound_search_opENS9_16wrapped_functionINS0_4lessIvEEbEEEE10hipError_tPvRmT1_T2_T3_mmT4_T5_P12ihipStream_tbEUlRKsE_EESM_SQ_SR_mSS_SV_bEUlT_E_NS1_11comp_targetILNS1_3genE9ELNS1_11target_archE1100ELNS1_3gpuE3ELNS1_3repE0EEENS1_30default_config_static_selectorELNS0_4arch9wavefront6targetE1EEEvSP_.kd
    .uniform_work_group_size: 1
    .uses_dynamic_stack: false
    .vgpr_count:     0
    .vgpr_spill_count: 0
    .wavefront_size: 64
  - .agpr_count:     0
    .args:
      - .offset:         0
        .size:           56
        .value_kind:     by_value
    .group_segment_fixed_size: 0
    .kernarg_segment_align: 8
    .kernarg_segment_size: 56
    .language:       OpenCL C
    .language_version:
      - 2
      - 0
    .max_flat_workgroup_size: 128
    .name:           _ZN7rocprim17ROCPRIM_400000_NS6detail17trampoline_kernelINS0_14default_configENS1_27upper_bound_config_selectorIsiEEZNS1_14transform_implILb0ES3_S5_N6thrust23THRUST_200600_302600_NS6detail15normal_iteratorINS8_10device_ptrIsEEEENSA_INSB_IiEEEEZNS1_13binary_searchIS3_S5_SD_SD_SF_NS1_21upper_bound_search_opENS9_16wrapped_functionINS0_4lessIvEEbEEEE10hipError_tPvRmT1_T2_T3_mmT4_T5_P12ihipStream_tbEUlRKsE_EESM_SQ_SR_mSS_SV_bEUlT_E_NS1_11comp_targetILNS1_3genE8ELNS1_11target_archE1030ELNS1_3gpuE2ELNS1_3repE0EEENS1_30default_config_static_selectorELNS0_4arch9wavefront6targetE1EEEvSP_
    .private_segment_fixed_size: 0
    .sgpr_count:     4
    .sgpr_spill_count: 0
    .symbol:         _ZN7rocprim17ROCPRIM_400000_NS6detail17trampoline_kernelINS0_14default_configENS1_27upper_bound_config_selectorIsiEEZNS1_14transform_implILb0ES3_S5_N6thrust23THRUST_200600_302600_NS6detail15normal_iteratorINS8_10device_ptrIsEEEENSA_INSB_IiEEEEZNS1_13binary_searchIS3_S5_SD_SD_SF_NS1_21upper_bound_search_opENS9_16wrapped_functionINS0_4lessIvEEbEEEE10hipError_tPvRmT1_T2_T3_mmT4_T5_P12ihipStream_tbEUlRKsE_EESM_SQ_SR_mSS_SV_bEUlT_E_NS1_11comp_targetILNS1_3genE8ELNS1_11target_archE1030ELNS1_3gpuE2ELNS1_3repE0EEENS1_30default_config_static_selectorELNS0_4arch9wavefront6targetE1EEEvSP_.kd
    .uniform_work_group_size: 1
    .uses_dynamic_stack: false
    .vgpr_count:     0
    .vgpr_spill_count: 0
    .wavefront_size: 64
  - .agpr_count:     0
    .args:
      - .offset:         0
        .size:           56
        .value_kind:     by_value
    .group_segment_fixed_size: 0
    .kernarg_segment_align: 8
    .kernarg_segment_size: 56
    .language:       OpenCL C
    .language_version:
      - 2
      - 0
    .max_flat_workgroup_size: 128
    .name:           _ZN7rocprim17ROCPRIM_400000_NS6detail17trampoline_kernelINS0_14default_configENS1_29binary_search_config_selectorIdbEEZNS1_14transform_implILb0ES3_S5_N6thrust23THRUST_200600_302600_NS6detail15normal_iteratorINS8_10device_ptrIdEEEENSA_INSB_IbEEEEZNS1_13binary_searchIS3_S5_SD_SD_SF_NS1_16binary_search_opENS9_16wrapped_functionINS0_4lessIvEEbEEEE10hipError_tPvRmT1_T2_T3_mmT4_T5_P12ihipStream_tbEUlRKdE_EESM_SQ_SR_mSS_SV_bEUlT_E_NS1_11comp_targetILNS1_3genE0ELNS1_11target_archE4294967295ELNS1_3gpuE0ELNS1_3repE0EEENS1_30default_config_static_selectorELNS0_4arch9wavefront6targetE1EEEvSP_
    .private_segment_fixed_size: 0
    .sgpr_count:     4
    .sgpr_spill_count: 0
    .symbol:         _ZN7rocprim17ROCPRIM_400000_NS6detail17trampoline_kernelINS0_14default_configENS1_29binary_search_config_selectorIdbEEZNS1_14transform_implILb0ES3_S5_N6thrust23THRUST_200600_302600_NS6detail15normal_iteratorINS8_10device_ptrIdEEEENSA_INSB_IbEEEEZNS1_13binary_searchIS3_S5_SD_SD_SF_NS1_16binary_search_opENS9_16wrapped_functionINS0_4lessIvEEbEEEE10hipError_tPvRmT1_T2_T3_mmT4_T5_P12ihipStream_tbEUlRKdE_EESM_SQ_SR_mSS_SV_bEUlT_E_NS1_11comp_targetILNS1_3genE0ELNS1_11target_archE4294967295ELNS1_3gpuE0ELNS1_3repE0EEENS1_30default_config_static_selectorELNS0_4arch9wavefront6targetE1EEEvSP_.kd
    .uniform_work_group_size: 1
    .uses_dynamic_stack: false
    .vgpr_count:     0
    .vgpr_spill_count: 0
    .wavefront_size: 64
  - .agpr_count:     0
    .args:
      - .offset:         0
        .size:           56
        .value_kind:     by_value
    .group_segment_fixed_size: 0
    .kernarg_segment_align: 8
    .kernarg_segment_size: 56
    .language:       OpenCL C
    .language_version:
      - 2
      - 0
    .max_flat_workgroup_size: 256
    .name:           _ZN7rocprim17ROCPRIM_400000_NS6detail17trampoline_kernelINS0_14default_configENS1_29binary_search_config_selectorIdbEEZNS1_14transform_implILb0ES3_S5_N6thrust23THRUST_200600_302600_NS6detail15normal_iteratorINS8_10device_ptrIdEEEENSA_INSB_IbEEEEZNS1_13binary_searchIS3_S5_SD_SD_SF_NS1_16binary_search_opENS9_16wrapped_functionINS0_4lessIvEEbEEEE10hipError_tPvRmT1_T2_T3_mmT4_T5_P12ihipStream_tbEUlRKdE_EESM_SQ_SR_mSS_SV_bEUlT_E_NS1_11comp_targetILNS1_3genE5ELNS1_11target_archE942ELNS1_3gpuE9ELNS1_3repE0EEENS1_30default_config_static_selectorELNS0_4arch9wavefront6targetE1EEEvSP_
    .private_segment_fixed_size: 0
    .sgpr_count:     4
    .sgpr_spill_count: 0
    .symbol:         _ZN7rocprim17ROCPRIM_400000_NS6detail17trampoline_kernelINS0_14default_configENS1_29binary_search_config_selectorIdbEEZNS1_14transform_implILb0ES3_S5_N6thrust23THRUST_200600_302600_NS6detail15normal_iteratorINS8_10device_ptrIdEEEENSA_INSB_IbEEEEZNS1_13binary_searchIS3_S5_SD_SD_SF_NS1_16binary_search_opENS9_16wrapped_functionINS0_4lessIvEEbEEEE10hipError_tPvRmT1_T2_T3_mmT4_T5_P12ihipStream_tbEUlRKdE_EESM_SQ_SR_mSS_SV_bEUlT_E_NS1_11comp_targetILNS1_3genE5ELNS1_11target_archE942ELNS1_3gpuE9ELNS1_3repE0EEENS1_30default_config_static_selectorELNS0_4arch9wavefront6targetE1EEEvSP_.kd
    .uniform_work_group_size: 1
    .uses_dynamic_stack: false
    .vgpr_count:     0
    .vgpr_spill_count: 0
    .wavefront_size: 64
  - .agpr_count:     0
    .args:
      - .offset:         0
        .size:           56
        .value_kind:     by_value
      - .offset:         56
        .size:           4
        .value_kind:     hidden_block_count_x
      - .offset:         60
        .size:           4
        .value_kind:     hidden_block_count_y
      - .offset:         64
        .size:           4
        .value_kind:     hidden_block_count_z
      - .offset:         68
        .size:           2
        .value_kind:     hidden_group_size_x
      - .offset:         70
        .size:           2
        .value_kind:     hidden_group_size_y
      - .offset:         72
        .size:           2
        .value_kind:     hidden_group_size_z
      - .offset:         74
        .size:           2
        .value_kind:     hidden_remainder_x
      - .offset:         76
        .size:           2
        .value_kind:     hidden_remainder_y
      - .offset:         78
        .size:           2
        .value_kind:     hidden_remainder_z
      - .offset:         96
        .size:           8
        .value_kind:     hidden_global_offset_x
      - .offset:         104
        .size:           8
        .value_kind:     hidden_global_offset_y
      - .offset:         112
        .size:           8
        .value_kind:     hidden_global_offset_z
      - .offset:         120
        .size:           2
        .value_kind:     hidden_grid_dims
    .group_segment_fixed_size: 0
    .kernarg_segment_align: 8
    .kernarg_segment_size: 312
    .language:       OpenCL C
    .language_version:
      - 2
      - 0
    .max_flat_workgroup_size: 64
    .name:           _ZN7rocprim17ROCPRIM_400000_NS6detail17trampoline_kernelINS0_14default_configENS1_29binary_search_config_selectorIdbEEZNS1_14transform_implILb0ES3_S5_N6thrust23THRUST_200600_302600_NS6detail15normal_iteratorINS8_10device_ptrIdEEEENSA_INSB_IbEEEEZNS1_13binary_searchIS3_S5_SD_SD_SF_NS1_16binary_search_opENS9_16wrapped_functionINS0_4lessIvEEbEEEE10hipError_tPvRmT1_T2_T3_mmT4_T5_P12ihipStream_tbEUlRKdE_EESM_SQ_SR_mSS_SV_bEUlT_E_NS1_11comp_targetILNS1_3genE4ELNS1_11target_archE910ELNS1_3gpuE8ELNS1_3repE0EEENS1_30default_config_static_selectorELNS0_4arch9wavefront6targetE1EEEvSP_
    .private_segment_fixed_size: 0
    .sgpr_count:     22
    .sgpr_spill_count: 0
    .symbol:         _ZN7rocprim17ROCPRIM_400000_NS6detail17trampoline_kernelINS0_14default_configENS1_29binary_search_config_selectorIdbEEZNS1_14transform_implILb0ES3_S5_N6thrust23THRUST_200600_302600_NS6detail15normal_iteratorINS8_10device_ptrIdEEEENSA_INSB_IbEEEEZNS1_13binary_searchIS3_S5_SD_SD_SF_NS1_16binary_search_opENS9_16wrapped_functionINS0_4lessIvEEbEEEE10hipError_tPvRmT1_T2_T3_mmT4_T5_P12ihipStream_tbEUlRKdE_EESM_SQ_SR_mSS_SV_bEUlT_E_NS1_11comp_targetILNS1_3genE4ELNS1_11target_archE910ELNS1_3gpuE8ELNS1_3repE0EEENS1_30default_config_static_selectorELNS0_4arch9wavefront6targetE1EEEvSP_.kd
    .uniform_work_group_size: 1
    .uses_dynamic_stack: false
    .vgpr_count:     14
    .vgpr_spill_count: 0
    .wavefront_size: 64
  - .agpr_count:     0
    .args:
      - .offset:         0
        .size:           56
        .value_kind:     by_value
    .group_segment_fixed_size: 0
    .kernarg_segment_align: 8
    .kernarg_segment_size: 56
    .language:       OpenCL C
    .language_version:
      - 2
      - 0
    .max_flat_workgroup_size: 128
    .name:           _ZN7rocprim17ROCPRIM_400000_NS6detail17trampoline_kernelINS0_14default_configENS1_29binary_search_config_selectorIdbEEZNS1_14transform_implILb0ES3_S5_N6thrust23THRUST_200600_302600_NS6detail15normal_iteratorINS8_10device_ptrIdEEEENSA_INSB_IbEEEEZNS1_13binary_searchIS3_S5_SD_SD_SF_NS1_16binary_search_opENS9_16wrapped_functionINS0_4lessIvEEbEEEE10hipError_tPvRmT1_T2_T3_mmT4_T5_P12ihipStream_tbEUlRKdE_EESM_SQ_SR_mSS_SV_bEUlT_E_NS1_11comp_targetILNS1_3genE3ELNS1_11target_archE908ELNS1_3gpuE7ELNS1_3repE0EEENS1_30default_config_static_selectorELNS0_4arch9wavefront6targetE1EEEvSP_
    .private_segment_fixed_size: 0
    .sgpr_count:     4
    .sgpr_spill_count: 0
    .symbol:         _ZN7rocprim17ROCPRIM_400000_NS6detail17trampoline_kernelINS0_14default_configENS1_29binary_search_config_selectorIdbEEZNS1_14transform_implILb0ES3_S5_N6thrust23THRUST_200600_302600_NS6detail15normal_iteratorINS8_10device_ptrIdEEEENSA_INSB_IbEEEEZNS1_13binary_searchIS3_S5_SD_SD_SF_NS1_16binary_search_opENS9_16wrapped_functionINS0_4lessIvEEbEEEE10hipError_tPvRmT1_T2_T3_mmT4_T5_P12ihipStream_tbEUlRKdE_EESM_SQ_SR_mSS_SV_bEUlT_E_NS1_11comp_targetILNS1_3genE3ELNS1_11target_archE908ELNS1_3gpuE7ELNS1_3repE0EEENS1_30default_config_static_selectorELNS0_4arch9wavefront6targetE1EEEvSP_.kd
    .uniform_work_group_size: 1
    .uses_dynamic_stack: false
    .vgpr_count:     0
    .vgpr_spill_count: 0
    .wavefront_size: 64
  - .agpr_count:     0
    .args:
      - .offset:         0
        .size:           56
        .value_kind:     by_value
    .group_segment_fixed_size: 0
    .kernarg_segment_align: 8
    .kernarg_segment_size: 56
    .language:       OpenCL C
    .language_version:
      - 2
      - 0
    .max_flat_workgroup_size: 256
    .name:           _ZN7rocprim17ROCPRIM_400000_NS6detail17trampoline_kernelINS0_14default_configENS1_29binary_search_config_selectorIdbEEZNS1_14transform_implILb0ES3_S5_N6thrust23THRUST_200600_302600_NS6detail15normal_iteratorINS8_10device_ptrIdEEEENSA_INSB_IbEEEEZNS1_13binary_searchIS3_S5_SD_SD_SF_NS1_16binary_search_opENS9_16wrapped_functionINS0_4lessIvEEbEEEE10hipError_tPvRmT1_T2_T3_mmT4_T5_P12ihipStream_tbEUlRKdE_EESM_SQ_SR_mSS_SV_bEUlT_E_NS1_11comp_targetILNS1_3genE2ELNS1_11target_archE906ELNS1_3gpuE6ELNS1_3repE0EEENS1_30default_config_static_selectorELNS0_4arch9wavefront6targetE1EEEvSP_
    .private_segment_fixed_size: 0
    .sgpr_count:     4
    .sgpr_spill_count: 0
    .symbol:         _ZN7rocprim17ROCPRIM_400000_NS6detail17trampoline_kernelINS0_14default_configENS1_29binary_search_config_selectorIdbEEZNS1_14transform_implILb0ES3_S5_N6thrust23THRUST_200600_302600_NS6detail15normal_iteratorINS8_10device_ptrIdEEEENSA_INSB_IbEEEEZNS1_13binary_searchIS3_S5_SD_SD_SF_NS1_16binary_search_opENS9_16wrapped_functionINS0_4lessIvEEbEEEE10hipError_tPvRmT1_T2_T3_mmT4_T5_P12ihipStream_tbEUlRKdE_EESM_SQ_SR_mSS_SV_bEUlT_E_NS1_11comp_targetILNS1_3genE2ELNS1_11target_archE906ELNS1_3gpuE6ELNS1_3repE0EEENS1_30default_config_static_selectorELNS0_4arch9wavefront6targetE1EEEvSP_.kd
    .uniform_work_group_size: 1
    .uses_dynamic_stack: false
    .vgpr_count:     0
    .vgpr_spill_count: 0
    .wavefront_size: 64
  - .agpr_count:     0
    .args:
      - .offset:         0
        .size:           56
        .value_kind:     by_value
    .group_segment_fixed_size: 0
    .kernarg_segment_align: 8
    .kernarg_segment_size: 56
    .language:       OpenCL C
    .language_version:
      - 2
      - 0
    .max_flat_workgroup_size: 256
    .name:           _ZN7rocprim17ROCPRIM_400000_NS6detail17trampoline_kernelINS0_14default_configENS1_29binary_search_config_selectorIdbEEZNS1_14transform_implILb0ES3_S5_N6thrust23THRUST_200600_302600_NS6detail15normal_iteratorINS8_10device_ptrIdEEEENSA_INSB_IbEEEEZNS1_13binary_searchIS3_S5_SD_SD_SF_NS1_16binary_search_opENS9_16wrapped_functionINS0_4lessIvEEbEEEE10hipError_tPvRmT1_T2_T3_mmT4_T5_P12ihipStream_tbEUlRKdE_EESM_SQ_SR_mSS_SV_bEUlT_E_NS1_11comp_targetILNS1_3genE10ELNS1_11target_archE1201ELNS1_3gpuE5ELNS1_3repE0EEENS1_30default_config_static_selectorELNS0_4arch9wavefront6targetE1EEEvSP_
    .private_segment_fixed_size: 0
    .sgpr_count:     4
    .sgpr_spill_count: 0
    .symbol:         _ZN7rocprim17ROCPRIM_400000_NS6detail17trampoline_kernelINS0_14default_configENS1_29binary_search_config_selectorIdbEEZNS1_14transform_implILb0ES3_S5_N6thrust23THRUST_200600_302600_NS6detail15normal_iteratorINS8_10device_ptrIdEEEENSA_INSB_IbEEEEZNS1_13binary_searchIS3_S5_SD_SD_SF_NS1_16binary_search_opENS9_16wrapped_functionINS0_4lessIvEEbEEEE10hipError_tPvRmT1_T2_T3_mmT4_T5_P12ihipStream_tbEUlRKdE_EESM_SQ_SR_mSS_SV_bEUlT_E_NS1_11comp_targetILNS1_3genE10ELNS1_11target_archE1201ELNS1_3gpuE5ELNS1_3repE0EEENS1_30default_config_static_selectorELNS0_4arch9wavefront6targetE1EEEvSP_.kd
    .uniform_work_group_size: 1
    .uses_dynamic_stack: false
    .vgpr_count:     0
    .vgpr_spill_count: 0
    .wavefront_size: 64
  - .agpr_count:     0
    .args:
      - .offset:         0
        .size:           56
        .value_kind:     by_value
    .group_segment_fixed_size: 0
    .kernarg_segment_align: 8
    .kernarg_segment_size: 56
    .language:       OpenCL C
    .language_version:
      - 2
      - 0
    .max_flat_workgroup_size: 128
    .name:           _ZN7rocprim17ROCPRIM_400000_NS6detail17trampoline_kernelINS0_14default_configENS1_29binary_search_config_selectorIdbEEZNS1_14transform_implILb0ES3_S5_N6thrust23THRUST_200600_302600_NS6detail15normal_iteratorINS8_10device_ptrIdEEEENSA_INSB_IbEEEEZNS1_13binary_searchIS3_S5_SD_SD_SF_NS1_16binary_search_opENS9_16wrapped_functionINS0_4lessIvEEbEEEE10hipError_tPvRmT1_T2_T3_mmT4_T5_P12ihipStream_tbEUlRKdE_EESM_SQ_SR_mSS_SV_bEUlT_E_NS1_11comp_targetILNS1_3genE10ELNS1_11target_archE1200ELNS1_3gpuE4ELNS1_3repE0EEENS1_30default_config_static_selectorELNS0_4arch9wavefront6targetE1EEEvSP_
    .private_segment_fixed_size: 0
    .sgpr_count:     4
    .sgpr_spill_count: 0
    .symbol:         _ZN7rocprim17ROCPRIM_400000_NS6detail17trampoline_kernelINS0_14default_configENS1_29binary_search_config_selectorIdbEEZNS1_14transform_implILb0ES3_S5_N6thrust23THRUST_200600_302600_NS6detail15normal_iteratorINS8_10device_ptrIdEEEENSA_INSB_IbEEEEZNS1_13binary_searchIS3_S5_SD_SD_SF_NS1_16binary_search_opENS9_16wrapped_functionINS0_4lessIvEEbEEEE10hipError_tPvRmT1_T2_T3_mmT4_T5_P12ihipStream_tbEUlRKdE_EESM_SQ_SR_mSS_SV_bEUlT_E_NS1_11comp_targetILNS1_3genE10ELNS1_11target_archE1200ELNS1_3gpuE4ELNS1_3repE0EEENS1_30default_config_static_selectorELNS0_4arch9wavefront6targetE1EEEvSP_.kd
    .uniform_work_group_size: 1
    .uses_dynamic_stack: false
    .vgpr_count:     0
    .vgpr_spill_count: 0
    .wavefront_size: 64
  - .agpr_count:     0
    .args:
      - .offset:         0
        .size:           56
        .value_kind:     by_value
    .group_segment_fixed_size: 0
    .kernarg_segment_align: 8
    .kernarg_segment_size: 56
    .language:       OpenCL C
    .language_version:
      - 2
      - 0
    .max_flat_workgroup_size: 64
    .name:           _ZN7rocprim17ROCPRIM_400000_NS6detail17trampoline_kernelINS0_14default_configENS1_29binary_search_config_selectorIdbEEZNS1_14transform_implILb0ES3_S5_N6thrust23THRUST_200600_302600_NS6detail15normal_iteratorINS8_10device_ptrIdEEEENSA_INSB_IbEEEEZNS1_13binary_searchIS3_S5_SD_SD_SF_NS1_16binary_search_opENS9_16wrapped_functionINS0_4lessIvEEbEEEE10hipError_tPvRmT1_T2_T3_mmT4_T5_P12ihipStream_tbEUlRKdE_EESM_SQ_SR_mSS_SV_bEUlT_E_NS1_11comp_targetILNS1_3genE9ELNS1_11target_archE1100ELNS1_3gpuE3ELNS1_3repE0EEENS1_30default_config_static_selectorELNS0_4arch9wavefront6targetE1EEEvSP_
    .private_segment_fixed_size: 0
    .sgpr_count:     4
    .sgpr_spill_count: 0
    .symbol:         _ZN7rocprim17ROCPRIM_400000_NS6detail17trampoline_kernelINS0_14default_configENS1_29binary_search_config_selectorIdbEEZNS1_14transform_implILb0ES3_S5_N6thrust23THRUST_200600_302600_NS6detail15normal_iteratorINS8_10device_ptrIdEEEENSA_INSB_IbEEEEZNS1_13binary_searchIS3_S5_SD_SD_SF_NS1_16binary_search_opENS9_16wrapped_functionINS0_4lessIvEEbEEEE10hipError_tPvRmT1_T2_T3_mmT4_T5_P12ihipStream_tbEUlRKdE_EESM_SQ_SR_mSS_SV_bEUlT_E_NS1_11comp_targetILNS1_3genE9ELNS1_11target_archE1100ELNS1_3gpuE3ELNS1_3repE0EEENS1_30default_config_static_selectorELNS0_4arch9wavefront6targetE1EEEvSP_.kd
    .uniform_work_group_size: 1
    .uses_dynamic_stack: false
    .vgpr_count:     0
    .vgpr_spill_count: 0
    .wavefront_size: 64
  - .agpr_count:     0
    .args:
      - .offset:         0
        .size:           56
        .value_kind:     by_value
    .group_segment_fixed_size: 0
    .kernarg_segment_align: 8
    .kernarg_segment_size: 56
    .language:       OpenCL C
    .language_version:
      - 2
      - 0
    .max_flat_workgroup_size: 256
    .name:           _ZN7rocprim17ROCPRIM_400000_NS6detail17trampoline_kernelINS0_14default_configENS1_29binary_search_config_selectorIdbEEZNS1_14transform_implILb0ES3_S5_N6thrust23THRUST_200600_302600_NS6detail15normal_iteratorINS8_10device_ptrIdEEEENSA_INSB_IbEEEEZNS1_13binary_searchIS3_S5_SD_SD_SF_NS1_16binary_search_opENS9_16wrapped_functionINS0_4lessIvEEbEEEE10hipError_tPvRmT1_T2_T3_mmT4_T5_P12ihipStream_tbEUlRKdE_EESM_SQ_SR_mSS_SV_bEUlT_E_NS1_11comp_targetILNS1_3genE8ELNS1_11target_archE1030ELNS1_3gpuE2ELNS1_3repE0EEENS1_30default_config_static_selectorELNS0_4arch9wavefront6targetE1EEEvSP_
    .private_segment_fixed_size: 0
    .sgpr_count:     4
    .sgpr_spill_count: 0
    .symbol:         _ZN7rocprim17ROCPRIM_400000_NS6detail17trampoline_kernelINS0_14default_configENS1_29binary_search_config_selectorIdbEEZNS1_14transform_implILb0ES3_S5_N6thrust23THRUST_200600_302600_NS6detail15normal_iteratorINS8_10device_ptrIdEEEENSA_INSB_IbEEEEZNS1_13binary_searchIS3_S5_SD_SD_SF_NS1_16binary_search_opENS9_16wrapped_functionINS0_4lessIvEEbEEEE10hipError_tPvRmT1_T2_T3_mmT4_T5_P12ihipStream_tbEUlRKdE_EESM_SQ_SR_mSS_SV_bEUlT_E_NS1_11comp_targetILNS1_3genE8ELNS1_11target_archE1030ELNS1_3gpuE2ELNS1_3repE0EEENS1_30default_config_static_selectorELNS0_4arch9wavefront6targetE1EEEvSP_.kd
    .uniform_work_group_size: 1
    .uses_dynamic_stack: false
    .vgpr_count:     0
    .vgpr_spill_count: 0
    .wavefront_size: 64
  - .agpr_count:     0
    .args:
      - .offset:         0
        .size:           56
        .value_kind:     by_value
    .group_segment_fixed_size: 0
    .kernarg_segment_align: 8
    .kernarg_segment_size: 56
    .language:       OpenCL C
    .language_version:
      - 2
      - 0
    .max_flat_workgroup_size: 256
    .name:           _ZN7rocprim17ROCPRIM_400000_NS6detail17trampoline_kernelINS0_14default_configENS1_29binary_search_config_selectorIdiEEZNS1_14transform_implILb0ES3_S5_N6thrust23THRUST_200600_302600_NS6detail15normal_iteratorINS8_10device_ptrIdEEEENSA_INSB_IiEEEEZNS1_13binary_searchIS3_S5_SD_SD_SF_NS1_16binary_search_opENS9_16wrapped_functionINS0_4lessIvEEbEEEE10hipError_tPvRmT1_T2_T3_mmT4_T5_P12ihipStream_tbEUlRKdE_EESM_SQ_SR_mSS_SV_bEUlT_E_NS1_11comp_targetILNS1_3genE0ELNS1_11target_archE4294967295ELNS1_3gpuE0ELNS1_3repE0EEENS1_30default_config_static_selectorELNS0_4arch9wavefront6targetE1EEEvSP_
    .private_segment_fixed_size: 0
    .sgpr_count:     4
    .sgpr_spill_count: 0
    .symbol:         _ZN7rocprim17ROCPRIM_400000_NS6detail17trampoline_kernelINS0_14default_configENS1_29binary_search_config_selectorIdiEEZNS1_14transform_implILb0ES3_S5_N6thrust23THRUST_200600_302600_NS6detail15normal_iteratorINS8_10device_ptrIdEEEENSA_INSB_IiEEEEZNS1_13binary_searchIS3_S5_SD_SD_SF_NS1_16binary_search_opENS9_16wrapped_functionINS0_4lessIvEEbEEEE10hipError_tPvRmT1_T2_T3_mmT4_T5_P12ihipStream_tbEUlRKdE_EESM_SQ_SR_mSS_SV_bEUlT_E_NS1_11comp_targetILNS1_3genE0ELNS1_11target_archE4294967295ELNS1_3gpuE0ELNS1_3repE0EEENS1_30default_config_static_selectorELNS0_4arch9wavefront6targetE1EEEvSP_.kd
    .uniform_work_group_size: 1
    .uses_dynamic_stack: false
    .vgpr_count:     0
    .vgpr_spill_count: 0
    .wavefront_size: 64
  - .agpr_count:     0
    .args:
      - .offset:         0
        .size:           56
        .value_kind:     by_value
    .group_segment_fixed_size: 0
    .kernarg_segment_align: 8
    .kernarg_segment_size: 56
    .language:       OpenCL C
    .language_version:
      - 2
      - 0
    .max_flat_workgroup_size: 128
    .name:           _ZN7rocprim17ROCPRIM_400000_NS6detail17trampoline_kernelINS0_14default_configENS1_29binary_search_config_selectorIdiEEZNS1_14transform_implILb0ES3_S5_N6thrust23THRUST_200600_302600_NS6detail15normal_iteratorINS8_10device_ptrIdEEEENSA_INSB_IiEEEEZNS1_13binary_searchIS3_S5_SD_SD_SF_NS1_16binary_search_opENS9_16wrapped_functionINS0_4lessIvEEbEEEE10hipError_tPvRmT1_T2_T3_mmT4_T5_P12ihipStream_tbEUlRKdE_EESM_SQ_SR_mSS_SV_bEUlT_E_NS1_11comp_targetILNS1_3genE5ELNS1_11target_archE942ELNS1_3gpuE9ELNS1_3repE0EEENS1_30default_config_static_selectorELNS0_4arch9wavefront6targetE1EEEvSP_
    .private_segment_fixed_size: 0
    .sgpr_count:     4
    .sgpr_spill_count: 0
    .symbol:         _ZN7rocprim17ROCPRIM_400000_NS6detail17trampoline_kernelINS0_14default_configENS1_29binary_search_config_selectorIdiEEZNS1_14transform_implILb0ES3_S5_N6thrust23THRUST_200600_302600_NS6detail15normal_iteratorINS8_10device_ptrIdEEEENSA_INSB_IiEEEEZNS1_13binary_searchIS3_S5_SD_SD_SF_NS1_16binary_search_opENS9_16wrapped_functionINS0_4lessIvEEbEEEE10hipError_tPvRmT1_T2_T3_mmT4_T5_P12ihipStream_tbEUlRKdE_EESM_SQ_SR_mSS_SV_bEUlT_E_NS1_11comp_targetILNS1_3genE5ELNS1_11target_archE942ELNS1_3gpuE9ELNS1_3repE0EEENS1_30default_config_static_selectorELNS0_4arch9wavefront6targetE1EEEvSP_.kd
    .uniform_work_group_size: 1
    .uses_dynamic_stack: false
    .vgpr_count:     0
    .vgpr_spill_count: 0
    .wavefront_size: 64
  - .agpr_count:     0
    .args:
      - .offset:         0
        .size:           56
        .value_kind:     by_value
      - .offset:         56
        .size:           4
        .value_kind:     hidden_block_count_x
      - .offset:         60
        .size:           4
        .value_kind:     hidden_block_count_y
      - .offset:         64
        .size:           4
        .value_kind:     hidden_block_count_z
      - .offset:         68
        .size:           2
        .value_kind:     hidden_group_size_x
      - .offset:         70
        .size:           2
        .value_kind:     hidden_group_size_y
      - .offset:         72
        .size:           2
        .value_kind:     hidden_group_size_z
      - .offset:         74
        .size:           2
        .value_kind:     hidden_remainder_x
      - .offset:         76
        .size:           2
        .value_kind:     hidden_remainder_y
      - .offset:         78
        .size:           2
        .value_kind:     hidden_remainder_z
      - .offset:         96
        .size:           8
        .value_kind:     hidden_global_offset_x
      - .offset:         104
        .size:           8
        .value_kind:     hidden_global_offset_y
      - .offset:         112
        .size:           8
        .value_kind:     hidden_global_offset_z
      - .offset:         120
        .size:           2
        .value_kind:     hidden_grid_dims
    .group_segment_fixed_size: 0
    .kernarg_segment_align: 8
    .kernarg_segment_size: 312
    .language:       OpenCL C
    .language_version:
      - 2
      - 0
    .max_flat_workgroup_size: 64
    .name:           _ZN7rocprim17ROCPRIM_400000_NS6detail17trampoline_kernelINS0_14default_configENS1_29binary_search_config_selectorIdiEEZNS1_14transform_implILb0ES3_S5_N6thrust23THRUST_200600_302600_NS6detail15normal_iteratorINS8_10device_ptrIdEEEENSA_INSB_IiEEEEZNS1_13binary_searchIS3_S5_SD_SD_SF_NS1_16binary_search_opENS9_16wrapped_functionINS0_4lessIvEEbEEEE10hipError_tPvRmT1_T2_T3_mmT4_T5_P12ihipStream_tbEUlRKdE_EESM_SQ_SR_mSS_SV_bEUlT_E_NS1_11comp_targetILNS1_3genE4ELNS1_11target_archE910ELNS1_3gpuE8ELNS1_3repE0EEENS1_30default_config_static_selectorELNS0_4arch9wavefront6targetE1EEEvSP_
    .private_segment_fixed_size: 0
    .sgpr_count:     24
    .sgpr_spill_count: 0
    .symbol:         _ZN7rocprim17ROCPRIM_400000_NS6detail17trampoline_kernelINS0_14default_configENS1_29binary_search_config_selectorIdiEEZNS1_14transform_implILb0ES3_S5_N6thrust23THRUST_200600_302600_NS6detail15normal_iteratorINS8_10device_ptrIdEEEENSA_INSB_IiEEEEZNS1_13binary_searchIS3_S5_SD_SD_SF_NS1_16binary_search_opENS9_16wrapped_functionINS0_4lessIvEEbEEEE10hipError_tPvRmT1_T2_T3_mmT4_T5_P12ihipStream_tbEUlRKdE_EESM_SQ_SR_mSS_SV_bEUlT_E_NS1_11comp_targetILNS1_3genE4ELNS1_11target_archE910ELNS1_3gpuE8ELNS1_3repE0EEENS1_30default_config_static_selectorELNS0_4arch9wavefront6targetE1EEEvSP_.kd
    .uniform_work_group_size: 1
    .uses_dynamic_stack: false
    .vgpr_count:     14
    .vgpr_spill_count: 0
    .wavefront_size: 64
  - .agpr_count:     0
    .args:
      - .offset:         0
        .size:           56
        .value_kind:     by_value
    .group_segment_fixed_size: 0
    .kernarg_segment_align: 8
    .kernarg_segment_size: 56
    .language:       OpenCL C
    .language_version:
      - 2
      - 0
    .max_flat_workgroup_size: 256
    .name:           _ZN7rocprim17ROCPRIM_400000_NS6detail17trampoline_kernelINS0_14default_configENS1_29binary_search_config_selectorIdiEEZNS1_14transform_implILb0ES3_S5_N6thrust23THRUST_200600_302600_NS6detail15normal_iteratorINS8_10device_ptrIdEEEENSA_INSB_IiEEEEZNS1_13binary_searchIS3_S5_SD_SD_SF_NS1_16binary_search_opENS9_16wrapped_functionINS0_4lessIvEEbEEEE10hipError_tPvRmT1_T2_T3_mmT4_T5_P12ihipStream_tbEUlRKdE_EESM_SQ_SR_mSS_SV_bEUlT_E_NS1_11comp_targetILNS1_3genE3ELNS1_11target_archE908ELNS1_3gpuE7ELNS1_3repE0EEENS1_30default_config_static_selectorELNS0_4arch9wavefront6targetE1EEEvSP_
    .private_segment_fixed_size: 0
    .sgpr_count:     4
    .sgpr_spill_count: 0
    .symbol:         _ZN7rocprim17ROCPRIM_400000_NS6detail17trampoline_kernelINS0_14default_configENS1_29binary_search_config_selectorIdiEEZNS1_14transform_implILb0ES3_S5_N6thrust23THRUST_200600_302600_NS6detail15normal_iteratorINS8_10device_ptrIdEEEENSA_INSB_IiEEEEZNS1_13binary_searchIS3_S5_SD_SD_SF_NS1_16binary_search_opENS9_16wrapped_functionINS0_4lessIvEEbEEEE10hipError_tPvRmT1_T2_T3_mmT4_T5_P12ihipStream_tbEUlRKdE_EESM_SQ_SR_mSS_SV_bEUlT_E_NS1_11comp_targetILNS1_3genE3ELNS1_11target_archE908ELNS1_3gpuE7ELNS1_3repE0EEENS1_30default_config_static_selectorELNS0_4arch9wavefront6targetE1EEEvSP_.kd
    .uniform_work_group_size: 1
    .uses_dynamic_stack: false
    .vgpr_count:     0
    .vgpr_spill_count: 0
    .wavefront_size: 64
  - .agpr_count:     0
    .args:
      - .offset:         0
        .size:           56
        .value_kind:     by_value
    .group_segment_fixed_size: 0
    .kernarg_segment_align: 8
    .kernarg_segment_size: 56
    .language:       OpenCL C
    .language_version:
      - 2
      - 0
    .max_flat_workgroup_size: 256
    .name:           _ZN7rocprim17ROCPRIM_400000_NS6detail17trampoline_kernelINS0_14default_configENS1_29binary_search_config_selectorIdiEEZNS1_14transform_implILb0ES3_S5_N6thrust23THRUST_200600_302600_NS6detail15normal_iteratorINS8_10device_ptrIdEEEENSA_INSB_IiEEEEZNS1_13binary_searchIS3_S5_SD_SD_SF_NS1_16binary_search_opENS9_16wrapped_functionINS0_4lessIvEEbEEEE10hipError_tPvRmT1_T2_T3_mmT4_T5_P12ihipStream_tbEUlRKdE_EESM_SQ_SR_mSS_SV_bEUlT_E_NS1_11comp_targetILNS1_3genE2ELNS1_11target_archE906ELNS1_3gpuE6ELNS1_3repE0EEENS1_30default_config_static_selectorELNS0_4arch9wavefront6targetE1EEEvSP_
    .private_segment_fixed_size: 0
    .sgpr_count:     4
    .sgpr_spill_count: 0
    .symbol:         _ZN7rocprim17ROCPRIM_400000_NS6detail17trampoline_kernelINS0_14default_configENS1_29binary_search_config_selectorIdiEEZNS1_14transform_implILb0ES3_S5_N6thrust23THRUST_200600_302600_NS6detail15normal_iteratorINS8_10device_ptrIdEEEENSA_INSB_IiEEEEZNS1_13binary_searchIS3_S5_SD_SD_SF_NS1_16binary_search_opENS9_16wrapped_functionINS0_4lessIvEEbEEEE10hipError_tPvRmT1_T2_T3_mmT4_T5_P12ihipStream_tbEUlRKdE_EESM_SQ_SR_mSS_SV_bEUlT_E_NS1_11comp_targetILNS1_3genE2ELNS1_11target_archE906ELNS1_3gpuE6ELNS1_3repE0EEENS1_30default_config_static_selectorELNS0_4arch9wavefront6targetE1EEEvSP_.kd
    .uniform_work_group_size: 1
    .uses_dynamic_stack: false
    .vgpr_count:     0
    .vgpr_spill_count: 0
    .wavefront_size: 64
  - .agpr_count:     0
    .args:
      - .offset:         0
        .size:           56
        .value_kind:     by_value
    .group_segment_fixed_size: 0
    .kernarg_segment_align: 8
    .kernarg_segment_size: 56
    .language:       OpenCL C
    .language_version:
      - 2
      - 0
    .max_flat_workgroup_size: 128
    .name:           _ZN7rocprim17ROCPRIM_400000_NS6detail17trampoline_kernelINS0_14default_configENS1_29binary_search_config_selectorIdiEEZNS1_14transform_implILb0ES3_S5_N6thrust23THRUST_200600_302600_NS6detail15normal_iteratorINS8_10device_ptrIdEEEENSA_INSB_IiEEEEZNS1_13binary_searchIS3_S5_SD_SD_SF_NS1_16binary_search_opENS9_16wrapped_functionINS0_4lessIvEEbEEEE10hipError_tPvRmT1_T2_T3_mmT4_T5_P12ihipStream_tbEUlRKdE_EESM_SQ_SR_mSS_SV_bEUlT_E_NS1_11comp_targetILNS1_3genE10ELNS1_11target_archE1201ELNS1_3gpuE5ELNS1_3repE0EEENS1_30default_config_static_selectorELNS0_4arch9wavefront6targetE1EEEvSP_
    .private_segment_fixed_size: 0
    .sgpr_count:     4
    .sgpr_spill_count: 0
    .symbol:         _ZN7rocprim17ROCPRIM_400000_NS6detail17trampoline_kernelINS0_14default_configENS1_29binary_search_config_selectorIdiEEZNS1_14transform_implILb0ES3_S5_N6thrust23THRUST_200600_302600_NS6detail15normal_iteratorINS8_10device_ptrIdEEEENSA_INSB_IiEEEEZNS1_13binary_searchIS3_S5_SD_SD_SF_NS1_16binary_search_opENS9_16wrapped_functionINS0_4lessIvEEbEEEE10hipError_tPvRmT1_T2_T3_mmT4_T5_P12ihipStream_tbEUlRKdE_EESM_SQ_SR_mSS_SV_bEUlT_E_NS1_11comp_targetILNS1_3genE10ELNS1_11target_archE1201ELNS1_3gpuE5ELNS1_3repE0EEENS1_30default_config_static_selectorELNS0_4arch9wavefront6targetE1EEEvSP_.kd
    .uniform_work_group_size: 1
    .uses_dynamic_stack: false
    .vgpr_count:     0
    .vgpr_spill_count: 0
    .wavefront_size: 64
  - .agpr_count:     0
    .args:
      - .offset:         0
        .size:           56
        .value_kind:     by_value
    .group_segment_fixed_size: 0
    .kernarg_segment_align: 8
    .kernarg_segment_size: 56
    .language:       OpenCL C
    .language_version:
      - 2
      - 0
    .max_flat_workgroup_size: 128
    .name:           _ZN7rocprim17ROCPRIM_400000_NS6detail17trampoline_kernelINS0_14default_configENS1_29binary_search_config_selectorIdiEEZNS1_14transform_implILb0ES3_S5_N6thrust23THRUST_200600_302600_NS6detail15normal_iteratorINS8_10device_ptrIdEEEENSA_INSB_IiEEEEZNS1_13binary_searchIS3_S5_SD_SD_SF_NS1_16binary_search_opENS9_16wrapped_functionINS0_4lessIvEEbEEEE10hipError_tPvRmT1_T2_T3_mmT4_T5_P12ihipStream_tbEUlRKdE_EESM_SQ_SR_mSS_SV_bEUlT_E_NS1_11comp_targetILNS1_3genE10ELNS1_11target_archE1200ELNS1_3gpuE4ELNS1_3repE0EEENS1_30default_config_static_selectorELNS0_4arch9wavefront6targetE1EEEvSP_
    .private_segment_fixed_size: 0
    .sgpr_count:     4
    .sgpr_spill_count: 0
    .symbol:         _ZN7rocprim17ROCPRIM_400000_NS6detail17trampoline_kernelINS0_14default_configENS1_29binary_search_config_selectorIdiEEZNS1_14transform_implILb0ES3_S5_N6thrust23THRUST_200600_302600_NS6detail15normal_iteratorINS8_10device_ptrIdEEEENSA_INSB_IiEEEEZNS1_13binary_searchIS3_S5_SD_SD_SF_NS1_16binary_search_opENS9_16wrapped_functionINS0_4lessIvEEbEEEE10hipError_tPvRmT1_T2_T3_mmT4_T5_P12ihipStream_tbEUlRKdE_EESM_SQ_SR_mSS_SV_bEUlT_E_NS1_11comp_targetILNS1_3genE10ELNS1_11target_archE1200ELNS1_3gpuE4ELNS1_3repE0EEENS1_30default_config_static_selectorELNS0_4arch9wavefront6targetE1EEEvSP_.kd
    .uniform_work_group_size: 1
    .uses_dynamic_stack: false
    .vgpr_count:     0
    .vgpr_spill_count: 0
    .wavefront_size: 64
  - .agpr_count:     0
    .args:
      - .offset:         0
        .size:           56
        .value_kind:     by_value
    .group_segment_fixed_size: 0
    .kernarg_segment_align: 8
    .kernarg_segment_size: 56
    .language:       OpenCL C
    .language_version:
      - 2
      - 0
    .max_flat_workgroup_size: 256
    .name:           _ZN7rocprim17ROCPRIM_400000_NS6detail17trampoline_kernelINS0_14default_configENS1_29binary_search_config_selectorIdiEEZNS1_14transform_implILb0ES3_S5_N6thrust23THRUST_200600_302600_NS6detail15normal_iteratorINS8_10device_ptrIdEEEENSA_INSB_IiEEEEZNS1_13binary_searchIS3_S5_SD_SD_SF_NS1_16binary_search_opENS9_16wrapped_functionINS0_4lessIvEEbEEEE10hipError_tPvRmT1_T2_T3_mmT4_T5_P12ihipStream_tbEUlRKdE_EESM_SQ_SR_mSS_SV_bEUlT_E_NS1_11comp_targetILNS1_3genE9ELNS1_11target_archE1100ELNS1_3gpuE3ELNS1_3repE0EEENS1_30default_config_static_selectorELNS0_4arch9wavefront6targetE1EEEvSP_
    .private_segment_fixed_size: 0
    .sgpr_count:     4
    .sgpr_spill_count: 0
    .symbol:         _ZN7rocprim17ROCPRIM_400000_NS6detail17trampoline_kernelINS0_14default_configENS1_29binary_search_config_selectorIdiEEZNS1_14transform_implILb0ES3_S5_N6thrust23THRUST_200600_302600_NS6detail15normal_iteratorINS8_10device_ptrIdEEEENSA_INSB_IiEEEEZNS1_13binary_searchIS3_S5_SD_SD_SF_NS1_16binary_search_opENS9_16wrapped_functionINS0_4lessIvEEbEEEE10hipError_tPvRmT1_T2_T3_mmT4_T5_P12ihipStream_tbEUlRKdE_EESM_SQ_SR_mSS_SV_bEUlT_E_NS1_11comp_targetILNS1_3genE9ELNS1_11target_archE1100ELNS1_3gpuE3ELNS1_3repE0EEENS1_30default_config_static_selectorELNS0_4arch9wavefront6targetE1EEEvSP_.kd
    .uniform_work_group_size: 1
    .uses_dynamic_stack: false
    .vgpr_count:     0
    .vgpr_spill_count: 0
    .wavefront_size: 64
  - .agpr_count:     0
    .args:
      - .offset:         0
        .size:           56
        .value_kind:     by_value
    .group_segment_fixed_size: 0
    .kernarg_segment_align: 8
    .kernarg_segment_size: 56
    .language:       OpenCL C
    .language_version:
      - 2
      - 0
    .max_flat_workgroup_size: 256
    .name:           _ZN7rocprim17ROCPRIM_400000_NS6detail17trampoline_kernelINS0_14default_configENS1_29binary_search_config_selectorIdiEEZNS1_14transform_implILb0ES3_S5_N6thrust23THRUST_200600_302600_NS6detail15normal_iteratorINS8_10device_ptrIdEEEENSA_INSB_IiEEEEZNS1_13binary_searchIS3_S5_SD_SD_SF_NS1_16binary_search_opENS9_16wrapped_functionINS0_4lessIvEEbEEEE10hipError_tPvRmT1_T2_T3_mmT4_T5_P12ihipStream_tbEUlRKdE_EESM_SQ_SR_mSS_SV_bEUlT_E_NS1_11comp_targetILNS1_3genE8ELNS1_11target_archE1030ELNS1_3gpuE2ELNS1_3repE0EEENS1_30default_config_static_selectorELNS0_4arch9wavefront6targetE1EEEvSP_
    .private_segment_fixed_size: 0
    .sgpr_count:     4
    .sgpr_spill_count: 0
    .symbol:         _ZN7rocprim17ROCPRIM_400000_NS6detail17trampoline_kernelINS0_14default_configENS1_29binary_search_config_selectorIdiEEZNS1_14transform_implILb0ES3_S5_N6thrust23THRUST_200600_302600_NS6detail15normal_iteratorINS8_10device_ptrIdEEEENSA_INSB_IiEEEEZNS1_13binary_searchIS3_S5_SD_SD_SF_NS1_16binary_search_opENS9_16wrapped_functionINS0_4lessIvEEbEEEE10hipError_tPvRmT1_T2_T3_mmT4_T5_P12ihipStream_tbEUlRKdE_EESM_SQ_SR_mSS_SV_bEUlT_E_NS1_11comp_targetILNS1_3genE8ELNS1_11target_archE1030ELNS1_3gpuE2ELNS1_3repE0EEENS1_30default_config_static_selectorELNS0_4arch9wavefront6targetE1EEEvSP_.kd
    .uniform_work_group_size: 1
    .uses_dynamic_stack: false
    .vgpr_count:     0
    .vgpr_spill_count: 0
    .wavefront_size: 64
  - .agpr_count:     0
    .args:
      - .offset:         0
        .size:           56
        .value_kind:     by_value
    .group_segment_fixed_size: 0
    .kernarg_segment_align: 8
    .kernarg_segment_size: 56
    .language:       OpenCL C
    .language_version:
      - 2
      - 0
    .max_flat_workgroup_size: 256
    .name:           _ZN7rocprim17ROCPRIM_400000_NS6detail17trampoline_kernelINS0_14default_configENS1_29binary_search_config_selectorIfbEEZNS1_14transform_implILb0ES3_S5_N6thrust23THRUST_200600_302600_NS6detail15normal_iteratorINS8_10device_ptrIfEEEENSA_INSB_IbEEEEZNS1_13binary_searchIS3_S5_SD_SD_SF_NS1_16binary_search_opENS9_16wrapped_functionINS0_4lessIvEEbEEEE10hipError_tPvRmT1_T2_T3_mmT4_T5_P12ihipStream_tbEUlRKfE_EESM_SQ_SR_mSS_SV_bEUlT_E_NS1_11comp_targetILNS1_3genE0ELNS1_11target_archE4294967295ELNS1_3gpuE0ELNS1_3repE0EEENS1_30default_config_static_selectorELNS0_4arch9wavefront6targetE1EEEvSP_
    .private_segment_fixed_size: 0
    .sgpr_count:     4
    .sgpr_spill_count: 0
    .symbol:         _ZN7rocprim17ROCPRIM_400000_NS6detail17trampoline_kernelINS0_14default_configENS1_29binary_search_config_selectorIfbEEZNS1_14transform_implILb0ES3_S5_N6thrust23THRUST_200600_302600_NS6detail15normal_iteratorINS8_10device_ptrIfEEEENSA_INSB_IbEEEEZNS1_13binary_searchIS3_S5_SD_SD_SF_NS1_16binary_search_opENS9_16wrapped_functionINS0_4lessIvEEbEEEE10hipError_tPvRmT1_T2_T3_mmT4_T5_P12ihipStream_tbEUlRKfE_EESM_SQ_SR_mSS_SV_bEUlT_E_NS1_11comp_targetILNS1_3genE0ELNS1_11target_archE4294967295ELNS1_3gpuE0ELNS1_3repE0EEENS1_30default_config_static_selectorELNS0_4arch9wavefront6targetE1EEEvSP_.kd
    .uniform_work_group_size: 1
    .uses_dynamic_stack: false
    .vgpr_count:     0
    .vgpr_spill_count: 0
    .wavefront_size: 64
  - .agpr_count:     0
    .args:
      - .offset:         0
        .size:           56
        .value_kind:     by_value
    .group_segment_fixed_size: 0
    .kernarg_segment_align: 8
    .kernarg_segment_size: 56
    .language:       OpenCL C
    .language_version:
      - 2
      - 0
    .max_flat_workgroup_size: 128
    .name:           _ZN7rocprim17ROCPRIM_400000_NS6detail17trampoline_kernelINS0_14default_configENS1_29binary_search_config_selectorIfbEEZNS1_14transform_implILb0ES3_S5_N6thrust23THRUST_200600_302600_NS6detail15normal_iteratorINS8_10device_ptrIfEEEENSA_INSB_IbEEEEZNS1_13binary_searchIS3_S5_SD_SD_SF_NS1_16binary_search_opENS9_16wrapped_functionINS0_4lessIvEEbEEEE10hipError_tPvRmT1_T2_T3_mmT4_T5_P12ihipStream_tbEUlRKfE_EESM_SQ_SR_mSS_SV_bEUlT_E_NS1_11comp_targetILNS1_3genE5ELNS1_11target_archE942ELNS1_3gpuE9ELNS1_3repE0EEENS1_30default_config_static_selectorELNS0_4arch9wavefront6targetE1EEEvSP_
    .private_segment_fixed_size: 0
    .sgpr_count:     4
    .sgpr_spill_count: 0
    .symbol:         _ZN7rocprim17ROCPRIM_400000_NS6detail17trampoline_kernelINS0_14default_configENS1_29binary_search_config_selectorIfbEEZNS1_14transform_implILb0ES3_S5_N6thrust23THRUST_200600_302600_NS6detail15normal_iteratorINS8_10device_ptrIfEEEENSA_INSB_IbEEEEZNS1_13binary_searchIS3_S5_SD_SD_SF_NS1_16binary_search_opENS9_16wrapped_functionINS0_4lessIvEEbEEEE10hipError_tPvRmT1_T2_T3_mmT4_T5_P12ihipStream_tbEUlRKfE_EESM_SQ_SR_mSS_SV_bEUlT_E_NS1_11comp_targetILNS1_3genE5ELNS1_11target_archE942ELNS1_3gpuE9ELNS1_3repE0EEENS1_30default_config_static_selectorELNS0_4arch9wavefront6targetE1EEEvSP_.kd
    .uniform_work_group_size: 1
    .uses_dynamic_stack: false
    .vgpr_count:     0
    .vgpr_spill_count: 0
    .wavefront_size: 64
  - .agpr_count:     0
    .args:
      - .offset:         0
        .size:           56
        .value_kind:     by_value
      - .offset:         56
        .size:           4
        .value_kind:     hidden_block_count_x
      - .offset:         60
        .size:           4
        .value_kind:     hidden_block_count_y
      - .offset:         64
        .size:           4
        .value_kind:     hidden_block_count_z
      - .offset:         68
        .size:           2
        .value_kind:     hidden_group_size_x
      - .offset:         70
        .size:           2
        .value_kind:     hidden_group_size_y
      - .offset:         72
        .size:           2
        .value_kind:     hidden_group_size_z
      - .offset:         74
        .size:           2
        .value_kind:     hidden_remainder_x
      - .offset:         76
        .size:           2
        .value_kind:     hidden_remainder_y
      - .offset:         78
        .size:           2
        .value_kind:     hidden_remainder_z
      - .offset:         96
        .size:           8
        .value_kind:     hidden_global_offset_x
      - .offset:         104
        .size:           8
        .value_kind:     hidden_global_offset_y
      - .offset:         112
        .size:           8
        .value_kind:     hidden_global_offset_z
      - .offset:         120
        .size:           2
        .value_kind:     hidden_grid_dims
    .group_segment_fixed_size: 0
    .kernarg_segment_align: 8
    .kernarg_segment_size: 312
    .language:       OpenCL C
    .language_version:
      - 2
      - 0
    .max_flat_workgroup_size: 256
    .name:           _ZN7rocprim17ROCPRIM_400000_NS6detail17trampoline_kernelINS0_14default_configENS1_29binary_search_config_selectorIfbEEZNS1_14transform_implILb0ES3_S5_N6thrust23THRUST_200600_302600_NS6detail15normal_iteratorINS8_10device_ptrIfEEEENSA_INSB_IbEEEEZNS1_13binary_searchIS3_S5_SD_SD_SF_NS1_16binary_search_opENS9_16wrapped_functionINS0_4lessIvEEbEEEE10hipError_tPvRmT1_T2_T3_mmT4_T5_P12ihipStream_tbEUlRKfE_EESM_SQ_SR_mSS_SV_bEUlT_E_NS1_11comp_targetILNS1_3genE4ELNS1_11target_archE910ELNS1_3gpuE8ELNS1_3repE0EEENS1_30default_config_static_selectorELNS0_4arch9wavefront6targetE1EEEvSP_
    .private_segment_fixed_size: 0
    .sgpr_count:     22
    .sgpr_spill_count: 0
    .symbol:         _ZN7rocprim17ROCPRIM_400000_NS6detail17trampoline_kernelINS0_14default_configENS1_29binary_search_config_selectorIfbEEZNS1_14transform_implILb0ES3_S5_N6thrust23THRUST_200600_302600_NS6detail15normal_iteratorINS8_10device_ptrIfEEEENSA_INSB_IbEEEEZNS1_13binary_searchIS3_S5_SD_SD_SF_NS1_16binary_search_opENS9_16wrapped_functionINS0_4lessIvEEbEEEE10hipError_tPvRmT1_T2_T3_mmT4_T5_P12ihipStream_tbEUlRKfE_EESM_SQ_SR_mSS_SV_bEUlT_E_NS1_11comp_targetILNS1_3genE4ELNS1_11target_archE910ELNS1_3gpuE8ELNS1_3repE0EEENS1_30default_config_static_selectorELNS0_4arch9wavefront6targetE1EEEvSP_.kd
    .uniform_work_group_size: 1
    .uses_dynamic_stack: false
    .vgpr_count:     12
    .vgpr_spill_count: 0
    .wavefront_size: 64
  - .agpr_count:     0
    .args:
      - .offset:         0
        .size:           56
        .value_kind:     by_value
    .group_segment_fixed_size: 0
    .kernarg_segment_align: 8
    .kernarg_segment_size: 56
    .language:       OpenCL C
    .language_version:
      - 2
      - 0
    .max_flat_workgroup_size: 256
    .name:           _ZN7rocprim17ROCPRIM_400000_NS6detail17trampoline_kernelINS0_14default_configENS1_29binary_search_config_selectorIfbEEZNS1_14transform_implILb0ES3_S5_N6thrust23THRUST_200600_302600_NS6detail15normal_iteratorINS8_10device_ptrIfEEEENSA_INSB_IbEEEEZNS1_13binary_searchIS3_S5_SD_SD_SF_NS1_16binary_search_opENS9_16wrapped_functionINS0_4lessIvEEbEEEE10hipError_tPvRmT1_T2_T3_mmT4_T5_P12ihipStream_tbEUlRKfE_EESM_SQ_SR_mSS_SV_bEUlT_E_NS1_11comp_targetILNS1_3genE3ELNS1_11target_archE908ELNS1_3gpuE7ELNS1_3repE0EEENS1_30default_config_static_selectorELNS0_4arch9wavefront6targetE1EEEvSP_
    .private_segment_fixed_size: 0
    .sgpr_count:     4
    .sgpr_spill_count: 0
    .symbol:         _ZN7rocprim17ROCPRIM_400000_NS6detail17trampoline_kernelINS0_14default_configENS1_29binary_search_config_selectorIfbEEZNS1_14transform_implILb0ES3_S5_N6thrust23THRUST_200600_302600_NS6detail15normal_iteratorINS8_10device_ptrIfEEEENSA_INSB_IbEEEEZNS1_13binary_searchIS3_S5_SD_SD_SF_NS1_16binary_search_opENS9_16wrapped_functionINS0_4lessIvEEbEEEE10hipError_tPvRmT1_T2_T3_mmT4_T5_P12ihipStream_tbEUlRKfE_EESM_SQ_SR_mSS_SV_bEUlT_E_NS1_11comp_targetILNS1_3genE3ELNS1_11target_archE908ELNS1_3gpuE7ELNS1_3repE0EEENS1_30default_config_static_selectorELNS0_4arch9wavefront6targetE1EEEvSP_.kd
    .uniform_work_group_size: 1
    .uses_dynamic_stack: false
    .vgpr_count:     0
    .vgpr_spill_count: 0
    .wavefront_size: 64
  - .agpr_count:     0
    .args:
      - .offset:         0
        .size:           56
        .value_kind:     by_value
    .group_segment_fixed_size: 0
    .kernarg_segment_align: 8
    .kernarg_segment_size: 56
    .language:       OpenCL C
    .language_version:
      - 2
      - 0
    .max_flat_workgroup_size: 256
    .name:           _ZN7rocprim17ROCPRIM_400000_NS6detail17trampoline_kernelINS0_14default_configENS1_29binary_search_config_selectorIfbEEZNS1_14transform_implILb0ES3_S5_N6thrust23THRUST_200600_302600_NS6detail15normal_iteratorINS8_10device_ptrIfEEEENSA_INSB_IbEEEEZNS1_13binary_searchIS3_S5_SD_SD_SF_NS1_16binary_search_opENS9_16wrapped_functionINS0_4lessIvEEbEEEE10hipError_tPvRmT1_T2_T3_mmT4_T5_P12ihipStream_tbEUlRKfE_EESM_SQ_SR_mSS_SV_bEUlT_E_NS1_11comp_targetILNS1_3genE2ELNS1_11target_archE906ELNS1_3gpuE6ELNS1_3repE0EEENS1_30default_config_static_selectorELNS0_4arch9wavefront6targetE1EEEvSP_
    .private_segment_fixed_size: 0
    .sgpr_count:     4
    .sgpr_spill_count: 0
    .symbol:         _ZN7rocprim17ROCPRIM_400000_NS6detail17trampoline_kernelINS0_14default_configENS1_29binary_search_config_selectorIfbEEZNS1_14transform_implILb0ES3_S5_N6thrust23THRUST_200600_302600_NS6detail15normal_iteratorINS8_10device_ptrIfEEEENSA_INSB_IbEEEEZNS1_13binary_searchIS3_S5_SD_SD_SF_NS1_16binary_search_opENS9_16wrapped_functionINS0_4lessIvEEbEEEE10hipError_tPvRmT1_T2_T3_mmT4_T5_P12ihipStream_tbEUlRKfE_EESM_SQ_SR_mSS_SV_bEUlT_E_NS1_11comp_targetILNS1_3genE2ELNS1_11target_archE906ELNS1_3gpuE6ELNS1_3repE0EEENS1_30default_config_static_selectorELNS0_4arch9wavefront6targetE1EEEvSP_.kd
    .uniform_work_group_size: 1
    .uses_dynamic_stack: false
    .vgpr_count:     0
    .vgpr_spill_count: 0
    .wavefront_size: 64
  - .agpr_count:     0
    .args:
      - .offset:         0
        .size:           56
        .value_kind:     by_value
    .group_segment_fixed_size: 0
    .kernarg_segment_align: 8
    .kernarg_segment_size: 56
    .language:       OpenCL C
    .language_version:
      - 2
      - 0
    .max_flat_workgroup_size: 128
    .name:           _ZN7rocprim17ROCPRIM_400000_NS6detail17trampoline_kernelINS0_14default_configENS1_29binary_search_config_selectorIfbEEZNS1_14transform_implILb0ES3_S5_N6thrust23THRUST_200600_302600_NS6detail15normal_iteratorINS8_10device_ptrIfEEEENSA_INSB_IbEEEEZNS1_13binary_searchIS3_S5_SD_SD_SF_NS1_16binary_search_opENS9_16wrapped_functionINS0_4lessIvEEbEEEE10hipError_tPvRmT1_T2_T3_mmT4_T5_P12ihipStream_tbEUlRKfE_EESM_SQ_SR_mSS_SV_bEUlT_E_NS1_11comp_targetILNS1_3genE10ELNS1_11target_archE1201ELNS1_3gpuE5ELNS1_3repE0EEENS1_30default_config_static_selectorELNS0_4arch9wavefront6targetE1EEEvSP_
    .private_segment_fixed_size: 0
    .sgpr_count:     4
    .sgpr_spill_count: 0
    .symbol:         _ZN7rocprim17ROCPRIM_400000_NS6detail17trampoline_kernelINS0_14default_configENS1_29binary_search_config_selectorIfbEEZNS1_14transform_implILb0ES3_S5_N6thrust23THRUST_200600_302600_NS6detail15normal_iteratorINS8_10device_ptrIfEEEENSA_INSB_IbEEEEZNS1_13binary_searchIS3_S5_SD_SD_SF_NS1_16binary_search_opENS9_16wrapped_functionINS0_4lessIvEEbEEEE10hipError_tPvRmT1_T2_T3_mmT4_T5_P12ihipStream_tbEUlRKfE_EESM_SQ_SR_mSS_SV_bEUlT_E_NS1_11comp_targetILNS1_3genE10ELNS1_11target_archE1201ELNS1_3gpuE5ELNS1_3repE0EEENS1_30default_config_static_selectorELNS0_4arch9wavefront6targetE1EEEvSP_.kd
    .uniform_work_group_size: 1
    .uses_dynamic_stack: false
    .vgpr_count:     0
    .vgpr_spill_count: 0
    .wavefront_size: 64
  - .agpr_count:     0
    .args:
      - .offset:         0
        .size:           56
        .value_kind:     by_value
    .group_segment_fixed_size: 0
    .kernarg_segment_align: 8
    .kernarg_segment_size: 56
    .language:       OpenCL C
    .language_version:
      - 2
      - 0
    .max_flat_workgroup_size: 128
    .name:           _ZN7rocprim17ROCPRIM_400000_NS6detail17trampoline_kernelINS0_14default_configENS1_29binary_search_config_selectorIfbEEZNS1_14transform_implILb0ES3_S5_N6thrust23THRUST_200600_302600_NS6detail15normal_iteratorINS8_10device_ptrIfEEEENSA_INSB_IbEEEEZNS1_13binary_searchIS3_S5_SD_SD_SF_NS1_16binary_search_opENS9_16wrapped_functionINS0_4lessIvEEbEEEE10hipError_tPvRmT1_T2_T3_mmT4_T5_P12ihipStream_tbEUlRKfE_EESM_SQ_SR_mSS_SV_bEUlT_E_NS1_11comp_targetILNS1_3genE10ELNS1_11target_archE1200ELNS1_3gpuE4ELNS1_3repE0EEENS1_30default_config_static_selectorELNS0_4arch9wavefront6targetE1EEEvSP_
    .private_segment_fixed_size: 0
    .sgpr_count:     4
    .sgpr_spill_count: 0
    .symbol:         _ZN7rocprim17ROCPRIM_400000_NS6detail17trampoline_kernelINS0_14default_configENS1_29binary_search_config_selectorIfbEEZNS1_14transform_implILb0ES3_S5_N6thrust23THRUST_200600_302600_NS6detail15normal_iteratorINS8_10device_ptrIfEEEENSA_INSB_IbEEEEZNS1_13binary_searchIS3_S5_SD_SD_SF_NS1_16binary_search_opENS9_16wrapped_functionINS0_4lessIvEEbEEEE10hipError_tPvRmT1_T2_T3_mmT4_T5_P12ihipStream_tbEUlRKfE_EESM_SQ_SR_mSS_SV_bEUlT_E_NS1_11comp_targetILNS1_3genE10ELNS1_11target_archE1200ELNS1_3gpuE4ELNS1_3repE0EEENS1_30default_config_static_selectorELNS0_4arch9wavefront6targetE1EEEvSP_.kd
    .uniform_work_group_size: 1
    .uses_dynamic_stack: false
    .vgpr_count:     0
    .vgpr_spill_count: 0
    .wavefront_size: 64
  - .agpr_count:     0
    .args:
      - .offset:         0
        .size:           56
        .value_kind:     by_value
    .group_segment_fixed_size: 0
    .kernarg_segment_align: 8
    .kernarg_segment_size: 56
    .language:       OpenCL C
    .language_version:
      - 2
      - 0
    .max_flat_workgroup_size: 256
    .name:           _ZN7rocprim17ROCPRIM_400000_NS6detail17trampoline_kernelINS0_14default_configENS1_29binary_search_config_selectorIfbEEZNS1_14transform_implILb0ES3_S5_N6thrust23THRUST_200600_302600_NS6detail15normal_iteratorINS8_10device_ptrIfEEEENSA_INSB_IbEEEEZNS1_13binary_searchIS3_S5_SD_SD_SF_NS1_16binary_search_opENS9_16wrapped_functionINS0_4lessIvEEbEEEE10hipError_tPvRmT1_T2_T3_mmT4_T5_P12ihipStream_tbEUlRKfE_EESM_SQ_SR_mSS_SV_bEUlT_E_NS1_11comp_targetILNS1_3genE9ELNS1_11target_archE1100ELNS1_3gpuE3ELNS1_3repE0EEENS1_30default_config_static_selectorELNS0_4arch9wavefront6targetE1EEEvSP_
    .private_segment_fixed_size: 0
    .sgpr_count:     4
    .sgpr_spill_count: 0
    .symbol:         _ZN7rocprim17ROCPRIM_400000_NS6detail17trampoline_kernelINS0_14default_configENS1_29binary_search_config_selectorIfbEEZNS1_14transform_implILb0ES3_S5_N6thrust23THRUST_200600_302600_NS6detail15normal_iteratorINS8_10device_ptrIfEEEENSA_INSB_IbEEEEZNS1_13binary_searchIS3_S5_SD_SD_SF_NS1_16binary_search_opENS9_16wrapped_functionINS0_4lessIvEEbEEEE10hipError_tPvRmT1_T2_T3_mmT4_T5_P12ihipStream_tbEUlRKfE_EESM_SQ_SR_mSS_SV_bEUlT_E_NS1_11comp_targetILNS1_3genE9ELNS1_11target_archE1100ELNS1_3gpuE3ELNS1_3repE0EEENS1_30default_config_static_selectorELNS0_4arch9wavefront6targetE1EEEvSP_.kd
    .uniform_work_group_size: 1
    .uses_dynamic_stack: false
    .vgpr_count:     0
    .vgpr_spill_count: 0
    .wavefront_size: 64
  - .agpr_count:     0
    .args:
      - .offset:         0
        .size:           56
        .value_kind:     by_value
    .group_segment_fixed_size: 0
    .kernarg_segment_align: 8
    .kernarg_segment_size: 56
    .language:       OpenCL C
    .language_version:
      - 2
      - 0
    .max_flat_workgroup_size: 256
    .name:           _ZN7rocprim17ROCPRIM_400000_NS6detail17trampoline_kernelINS0_14default_configENS1_29binary_search_config_selectorIfbEEZNS1_14transform_implILb0ES3_S5_N6thrust23THRUST_200600_302600_NS6detail15normal_iteratorINS8_10device_ptrIfEEEENSA_INSB_IbEEEEZNS1_13binary_searchIS3_S5_SD_SD_SF_NS1_16binary_search_opENS9_16wrapped_functionINS0_4lessIvEEbEEEE10hipError_tPvRmT1_T2_T3_mmT4_T5_P12ihipStream_tbEUlRKfE_EESM_SQ_SR_mSS_SV_bEUlT_E_NS1_11comp_targetILNS1_3genE8ELNS1_11target_archE1030ELNS1_3gpuE2ELNS1_3repE0EEENS1_30default_config_static_selectorELNS0_4arch9wavefront6targetE1EEEvSP_
    .private_segment_fixed_size: 0
    .sgpr_count:     4
    .sgpr_spill_count: 0
    .symbol:         _ZN7rocprim17ROCPRIM_400000_NS6detail17trampoline_kernelINS0_14default_configENS1_29binary_search_config_selectorIfbEEZNS1_14transform_implILb0ES3_S5_N6thrust23THRUST_200600_302600_NS6detail15normal_iteratorINS8_10device_ptrIfEEEENSA_INSB_IbEEEEZNS1_13binary_searchIS3_S5_SD_SD_SF_NS1_16binary_search_opENS9_16wrapped_functionINS0_4lessIvEEbEEEE10hipError_tPvRmT1_T2_T3_mmT4_T5_P12ihipStream_tbEUlRKfE_EESM_SQ_SR_mSS_SV_bEUlT_E_NS1_11comp_targetILNS1_3genE8ELNS1_11target_archE1030ELNS1_3gpuE2ELNS1_3repE0EEENS1_30default_config_static_selectorELNS0_4arch9wavefront6targetE1EEEvSP_.kd
    .uniform_work_group_size: 1
    .uses_dynamic_stack: false
    .vgpr_count:     0
    .vgpr_spill_count: 0
    .wavefront_size: 64
  - .agpr_count:     0
    .args:
      - .offset:         0
        .size:           56
        .value_kind:     by_value
    .group_segment_fixed_size: 0
    .kernarg_segment_align: 8
    .kernarg_segment_size: 56
    .language:       OpenCL C
    .language_version:
      - 2
      - 0
    .max_flat_workgroup_size: 256
    .name:           _ZN7rocprim17ROCPRIM_400000_NS6detail17trampoline_kernelINS0_14default_configENS1_29binary_search_config_selectorIfiEEZNS1_14transform_implILb0ES3_S5_N6thrust23THRUST_200600_302600_NS6detail15normal_iteratorINS8_10device_ptrIfEEEENSA_INSB_IiEEEEZNS1_13binary_searchIS3_S5_SD_SD_SF_NS1_16binary_search_opENS9_16wrapped_functionINS0_4lessIvEEbEEEE10hipError_tPvRmT1_T2_T3_mmT4_T5_P12ihipStream_tbEUlRKfE_EESM_SQ_SR_mSS_SV_bEUlT_E_NS1_11comp_targetILNS1_3genE0ELNS1_11target_archE4294967295ELNS1_3gpuE0ELNS1_3repE0EEENS1_30default_config_static_selectorELNS0_4arch9wavefront6targetE1EEEvSP_
    .private_segment_fixed_size: 0
    .sgpr_count:     4
    .sgpr_spill_count: 0
    .symbol:         _ZN7rocprim17ROCPRIM_400000_NS6detail17trampoline_kernelINS0_14default_configENS1_29binary_search_config_selectorIfiEEZNS1_14transform_implILb0ES3_S5_N6thrust23THRUST_200600_302600_NS6detail15normal_iteratorINS8_10device_ptrIfEEEENSA_INSB_IiEEEEZNS1_13binary_searchIS3_S5_SD_SD_SF_NS1_16binary_search_opENS9_16wrapped_functionINS0_4lessIvEEbEEEE10hipError_tPvRmT1_T2_T3_mmT4_T5_P12ihipStream_tbEUlRKfE_EESM_SQ_SR_mSS_SV_bEUlT_E_NS1_11comp_targetILNS1_3genE0ELNS1_11target_archE4294967295ELNS1_3gpuE0ELNS1_3repE0EEENS1_30default_config_static_selectorELNS0_4arch9wavefront6targetE1EEEvSP_.kd
    .uniform_work_group_size: 1
    .uses_dynamic_stack: false
    .vgpr_count:     0
    .vgpr_spill_count: 0
    .wavefront_size: 64
  - .agpr_count:     0
    .args:
      - .offset:         0
        .size:           56
        .value_kind:     by_value
    .group_segment_fixed_size: 0
    .kernarg_segment_align: 8
    .kernarg_segment_size: 56
    .language:       OpenCL C
    .language_version:
      - 2
      - 0
    .max_flat_workgroup_size: 256
    .name:           _ZN7rocprim17ROCPRIM_400000_NS6detail17trampoline_kernelINS0_14default_configENS1_29binary_search_config_selectorIfiEEZNS1_14transform_implILb0ES3_S5_N6thrust23THRUST_200600_302600_NS6detail15normal_iteratorINS8_10device_ptrIfEEEENSA_INSB_IiEEEEZNS1_13binary_searchIS3_S5_SD_SD_SF_NS1_16binary_search_opENS9_16wrapped_functionINS0_4lessIvEEbEEEE10hipError_tPvRmT1_T2_T3_mmT4_T5_P12ihipStream_tbEUlRKfE_EESM_SQ_SR_mSS_SV_bEUlT_E_NS1_11comp_targetILNS1_3genE5ELNS1_11target_archE942ELNS1_3gpuE9ELNS1_3repE0EEENS1_30default_config_static_selectorELNS0_4arch9wavefront6targetE1EEEvSP_
    .private_segment_fixed_size: 0
    .sgpr_count:     4
    .sgpr_spill_count: 0
    .symbol:         _ZN7rocprim17ROCPRIM_400000_NS6detail17trampoline_kernelINS0_14default_configENS1_29binary_search_config_selectorIfiEEZNS1_14transform_implILb0ES3_S5_N6thrust23THRUST_200600_302600_NS6detail15normal_iteratorINS8_10device_ptrIfEEEENSA_INSB_IiEEEEZNS1_13binary_searchIS3_S5_SD_SD_SF_NS1_16binary_search_opENS9_16wrapped_functionINS0_4lessIvEEbEEEE10hipError_tPvRmT1_T2_T3_mmT4_T5_P12ihipStream_tbEUlRKfE_EESM_SQ_SR_mSS_SV_bEUlT_E_NS1_11comp_targetILNS1_3genE5ELNS1_11target_archE942ELNS1_3gpuE9ELNS1_3repE0EEENS1_30default_config_static_selectorELNS0_4arch9wavefront6targetE1EEEvSP_.kd
    .uniform_work_group_size: 1
    .uses_dynamic_stack: false
    .vgpr_count:     0
    .vgpr_spill_count: 0
    .wavefront_size: 64
  - .agpr_count:     0
    .args:
      - .offset:         0
        .size:           56
        .value_kind:     by_value
      - .offset:         56
        .size:           4
        .value_kind:     hidden_block_count_x
      - .offset:         60
        .size:           4
        .value_kind:     hidden_block_count_y
      - .offset:         64
        .size:           4
        .value_kind:     hidden_block_count_z
      - .offset:         68
        .size:           2
        .value_kind:     hidden_group_size_x
      - .offset:         70
        .size:           2
        .value_kind:     hidden_group_size_y
      - .offset:         72
        .size:           2
        .value_kind:     hidden_group_size_z
      - .offset:         74
        .size:           2
        .value_kind:     hidden_remainder_x
      - .offset:         76
        .size:           2
        .value_kind:     hidden_remainder_y
      - .offset:         78
        .size:           2
        .value_kind:     hidden_remainder_z
      - .offset:         96
        .size:           8
        .value_kind:     hidden_global_offset_x
      - .offset:         104
        .size:           8
        .value_kind:     hidden_global_offset_y
      - .offset:         112
        .size:           8
        .value_kind:     hidden_global_offset_z
      - .offset:         120
        .size:           2
        .value_kind:     hidden_grid_dims
    .group_segment_fixed_size: 0
    .kernarg_segment_align: 8
    .kernarg_segment_size: 312
    .language:       OpenCL C
    .language_version:
      - 2
      - 0
    .max_flat_workgroup_size: 256
    .name:           _ZN7rocprim17ROCPRIM_400000_NS6detail17trampoline_kernelINS0_14default_configENS1_29binary_search_config_selectorIfiEEZNS1_14transform_implILb0ES3_S5_N6thrust23THRUST_200600_302600_NS6detail15normal_iteratorINS8_10device_ptrIfEEEENSA_INSB_IiEEEEZNS1_13binary_searchIS3_S5_SD_SD_SF_NS1_16binary_search_opENS9_16wrapped_functionINS0_4lessIvEEbEEEE10hipError_tPvRmT1_T2_T3_mmT4_T5_P12ihipStream_tbEUlRKfE_EESM_SQ_SR_mSS_SV_bEUlT_E_NS1_11comp_targetILNS1_3genE4ELNS1_11target_archE910ELNS1_3gpuE8ELNS1_3repE0EEENS1_30default_config_static_selectorELNS0_4arch9wavefront6targetE1EEEvSP_
    .private_segment_fixed_size: 0
    .sgpr_count:     20
    .sgpr_spill_count: 0
    .symbol:         _ZN7rocprim17ROCPRIM_400000_NS6detail17trampoline_kernelINS0_14default_configENS1_29binary_search_config_selectorIfiEEZNS1_14transform_implILb0ES3_S5_N6thrust23THRUST_200600_302600_NS6detail15normal_iteratorINS8_10device_ptrIfEEEENSA_INSB_IiEEEEZNS1_13binary_searchIS3_S5_SD_SD_SF_NS1_16binary_search_opENS9_16wrapped_functionINS0_4lessIvEEbEEEE10hipError_tPvRmT1_T2_T3_mmT4_T5_P12ihipStream_tbEUlRKfE_EESM_SQ_SR_mSS_SV_bEUlT_E_NS1_11comp_targetILNS1_3genE4ELNS1_11target_archE910ELNS1_3gpuE8ELNS1_3repE0EEENS1_30default_config_static_selectorELNS0_4arch9wavefront6targetE1EEEvSP_.kd
    .uniform_work_group_size: 1
    .uses_dynamic_stack: false
    .vgpr_count:     13
    .vgpr_spill_count: 0
    .wavefront_size: 64
  - .agpr_count:     0
    .args:
      - .offset:         0
        .size:           56
        .value_kind:     by_value
    .group_segment_fixed_size: 0
    .kernarg_segment_align: 8
    .kernarg_segment_size: 56
    .language:       OpenCL C
    .language_version:
      - 2
      - 0
    .max_flat_workgroup_size: 256
    .name:           _ZN7rocprim17ROCPRIM_400000_NS6detail17trampoline_kernelINS0_14default_configENS1_29binary_search_config_selectorIfiEEZNS1_14transform_implILb0ES3_S5_N6thrust23THRUST_200600_302600_NS6detail15normal_iteratorINS8_10device_ptrIfEEEENSA_INSB_IiEEEEZNS1_13binary_searchIS3_S5_SD_SD_SF_NS1_16binary_search_opENS9_16wrapped_functionINS0_4lessIvEEbEEEE10hipError_tPvRmT1_T2_T3_mmT4_T5_P12ihipStream_tbEUlRKfE_EESM_SQ_SR_mSS_SV_bEUlT_E_NS1_11comp_targetILNS1_3genE3ELNS1_11target_archE908ELNS1_3gpuE7ELNS1_3repE0EEENS1_30default_config_static_selectorELNS0_4arch9wavefront6targetE1EEEvSP_
    .private_segment_fixed_size: 0
    .sgpr_count:     4
    .sgpr_spill_count: 0
    .symbol:         _ZN7rocprim17ROCPRIM_400000_NS6detail17trampoline_kernelINS0_14default_configENS1_29binary_search_config_selectorIfiEEZNS1_14transform_implILb0ES3_S5_N6thrust23THRUST_200600_302600_NS6detail15normal_iteratorINS8_10device_ptrIfEEEENSA_INSB_IiEEEEZNS1_13binary_searchIS3_S5_SD_SD_SF_NS1_16binary_search_opENS9_16wrapped_functionINS0_4lessIvEEbEEEE10hipError_tPvRmT1_T2_T3_mmT4_T5_P12ihipStream_tbEUlRKfE_EESM_SQ_SR_mSS_SV_bEUlT_E_NS1_11comp_targetILNS1_3genE3ELNS1_11target_archE908ELNS1_3gpuE7ELNS1_3repE0EEENS1_30default_config_static_selectorELNS0_4arch9wavefront6targetE1EEEvSP_.kd
    .uniform_work_group_size: 1
    .uses_dynamic_stack: false
    .vgpr_count:     0
    .vgpr_spill_count: 0
    .wavefront_size: 64
  - .agpr_count:     0
    .args:
      - .offset:         0
        .size:           56
        .value_kind:     by_value
    .group_segment_fixed_size: 0
    .kernarg_segment_align: 8
    .kernarg_segment_size: 56
    .language:       OpenCL C
    .language_version:
      - 2
      - 0
    .max_flat_workgroup_size: 256
    .name:           _ZN7rocprim17ROCPRIM_400000_NS6detail17trampoline_kernelINS0_14default_configENS1_29binary_search_config_selectorIfiEEZNS1_14transform_implILb0ES3_S5_N6thrust23THRUST_200600_302600_NS6detail15normal_iteratorINS8_10device_ptrIfEEEENSA_INSB_IiEEEEZNS1_13binary_searchIS3_S5_SD_SD_SF_NS1_16binary_search_opENS9_16wrapped_functionINS0_4lessIvEEbEEEE10hipError_tPvRmT1_T2_T3_mmT4_T5_P12ihipStream_tbEUlRKfE_EESM_SQ_SR_mSS_SV_bEUlT_E_NS1_11comp_targetILNS1_3genE2ELNS1_11target_archE906ELNS1_3gpuE6ELNS1_3repE0EEENS1_30default_config_static_selectorELNS0_4arch9wavefront6targetE1EEEvSP_
    .private_segment_fixed_size: 0
    .sgpr_count:     4
    .sgpr_spill_count: 0
    .symbol:         _ZN7rocprim17ROCPRIM_400000_NS6detail17trampoline_kernelINS0_14default_configENS1_29binary_search_config_selectorIfiEEZNS1_14transform_implILb0ES3_S5_N6thrust23THRUST_200600_302600_NS6detail15normal_iteratorINS8_10device_ptrIfEEEENSA_INSB_IiEEEEZNS1_13binary_searchIS3_S5_SD_SD_SF_NS1_16binary_search_opENS9_16wrapped_functionINS0_4lessIvEEbEEEE10hipError_tPvRmT1_T2_T3_mmT4_T5_P12ihipStream_tbEUlRKfE_EESM_SQ_SR_mSS_SV_bEUlT_E_NS1_11comp_targetILNS1_3genE2ELNS1_11target_archE906ELNS1_3gpuE6ELNS1_3repE0EEENS1_30default_config_static_selectorELNS0_4arch9wavefront6targetE1EEEvSP_.kd
    .uniform_work_group_size: 1
    .uses_dynamic_stack: false
    .vgpr_count:     0
    .vgpr_spill_count: 0
    .wavefront_size: 64
  - .agpr_count:     0
    .args:
      - .offset:         0
        .size:           56
        .value_kind:     by_value
    .group_segment_fixed_size: 0
    .kernarg_segment_align: 8
    .kernarg_segment_size: 56
    .language:       OpenCL C
    .language_version:
      - 2
      - 0
    .max_flat_workgroup_size: 128
    .name:           _ZN7rocprim17ROCPRIM_400000_NS6detail17trampoline_kernelINS0_14default_configENS1_29binary_search_config_selectorIfiEEZNS1_14transform_implILb0ES3_S5_N6thrust23THRUST_200600_302600_NS6detail15normal_iteratorINS8_10device_ptrIfEEEENSA_INSB_IiEEEEZNS1_13binary_searchIS3_S5_SD_SD_SF_NS1_16binary_search_opENS9_16wrapped_functionINS0_4lessIvEEbEEEE10hipError_tPvRmT1_T2_T3_mmT4_T5_P12ihipStream_tbEUlRKfE_EESM_SQ_SR_mSS_SV_bEUlT_E_NS1_11comp_targetILNS1_3genE10ELNS1_11target_archE1201ELNS1_3gpuE5ELNS1_3repE0EEENS1_30default_config_static_selectorELNS0_4arch9wavefront6targetE1EEEvSP_
    .private_segment_fixed_size: 0
    .sgpr_count:     4
    .sgpr_spill_count: 0
    .symbol:         _ZN7rocprim17ROCPRIM_400000_NS6detail17trampoline_kernelINS0_14default_configENS1_29binary_search_config_selectorIfiEEZNS1_14transform_implILb0ES3_S5_N6thrust23THRUST_200600_302600_NS6detail15normal_iteratorINS8_10device_ptrIfEEEENSA_INSB_IiEEEEZNS1_13binary_searchIS3_S5_SD_SD_SF_NS1_16binary_search_opENS9_16wrapped_functionINS0_4lessIvEEbEEEE10hipError_tPvRmT1_T2_T3_mmT4_T5_P12ihipStream_tbEUlRKfE_EESM_SQ_SR_mSS_SV_bEUlT_E_NS1_11comp_targetILNS1_3genE10ELNS1_11target_archE1201ELNS1_3gpuE5ELNS1_3repE0EEENS1_30default_config_static_selectorELNS0_4arch9wavefront6targetE1EEEvSP_.kd
    .uniform_work_group_size: 1
    .uses_dynamic_stack: false
    .vgpr_count:     0
    .vgpr_spill_count: 0
    .wavefront_size: 64
  - .agpr_count:     0
    .args:
      - .offset:         0
        .size:           56
        .value_kind:     by_value
    .group_segment_fixed_size: 0
    .kernarg_segment_align: 8
    .kernarg_segment_size: 56
    .language:       OpenCL C
    .language_version:
      - 2
      - 0
    .max_flat_workgroup_size: 128
    .name:           _ZN7rocprim17ROCPRIM_400000_NS6detail17trampoline_kernelINS0_14default_configENS1_29binary_search_config_selectorIfiEEZNS1_14transform_implILb0ES3_S5_N6thrust23THRUST_200600_302600_NS6detail15normal_iteratorINS8_10device_ptrIfEEEENSA_INSB_IiEEEEZNS1_13binary_searchIS3_S5_SD_SD_SF_NS1_16binary_search_opENS9_16wrapped_functionINS0_4lessIvEEbEEEE10hipError_tPvRmT1_T2_T3_mmT4_T5_P12ihipStream_tbEUlRKfE_EESM_SQ_SR_mSS_SV_bEUlT_E_NS1_11comp_targetILNS1_3genE10ELNS1_11target_archE1200ELNS1_3gpuE4ELNS1_3repE0EEENS1_30default_config_static_selectorELNS0_4arch9wavefront6targetE1EEEvSP_
    .private_segment_fixed_size: 0
    .sgpr_count:     4
    .sgpr_spill_count: 0
    .symbol:         _ZN7rocprim17ROCPRIM_400000_NS6detail17trampoline_kernelINS0_14default_configENS1_29binary_search_config_selectorIfiEEZNS1_14transform_implILb0ES3_S5_N6thrust23THRUST_200600_302600_NS6detail15normal_iteratorINS8_10device_ptrIfEEEENSA_INSB_IiEEEEZNS1_13binary_searchIS3_S5_SD_SD_SF_NS1_16binary_search_opENS9_16wrapped_functionINS0_4lessIvEEbEEEE10hipError_tPvRmT1_T2_T3_mmT4_T5_P12ihipStream_tbEUlRKfE_EESM_SQ_SR_mSS_SV_bEUlT_E_NS1_11comp_targetILNS1_3genE10ELNS1_11target_archE1200ELNS1_3gpuE4ELNS1_3repE0EEENS1_30default_config_static_selectorELNS0_4arch9wavefront6targetE1EEEvSP_.kd
    .uniform_work_group_size: 1
    .uses_dynamic_stack: false
    .vgpr_count:     0
    .vgpr_spill_count: 0
    .wavefront_size: 64
  - .agpr_count:     0
    .args:
      - .offset:         0
        .size:           56
        .value_kind:     by_value
    .group_segment_fixed_size: 0
    .kernarg_segment_align: 8
    .kernarg_segment_size: 56
    .language:       OpenCL C
    .language_version:
      - 2
      - 0
    .max_flat_workgroup_size: 256
    .name:           _ZN7rocprim17ROCPRIM_400000_NS6detail17trampoline_kernelINS0_14default_configENS1_29binary_search_config_selectorIfiEEZNS1_14transform_implILb0ES3_S5_N6thrust23THRUST_200600_302600_NS6detail15normal_iteratorINS8_10device_ptrIfEEEENSA_INSB_IiEEEEZNS1_13binary_searchIS3_S5_SD_SD_SF_NS1_16binary_search_opENS9_16wrapped_functionINS0_4lessIvEEbEEEE10hipError_tPvRmT1_T2_T3_mmT4_T5_P12ihipStream_tbEUlRKfE_EESM_SQ_SR_mSS_SV_bEUlT_E_NS1_11comp_targetILNS1_3genE9ELNS1_11target_archE1100ELNS1_3gpuE3ELNS1_3repE0EEENS1_30default_config_static_selectorELNS0_4arch9wavefront6targetE1EEEvSP_
    .private_segment_fixed_size: 0
    .sgpr_count:     4
    .sgpr_spill_count: 0
    .symbol:         _ZN7rocprim17ROCPRIM_400000_NS6detail17trampoline_kernelINS0_14default_configENS1_29binary_search_config_selectorIfiEEZNS1_14transform_implILb0ES3_S5_N6thrust23THRUST_200600_302600_NS6detail15normal_iteratorINS8_10device_ptrIfEEEENSA_INSB_IiEEEEZNS1_13binary_searchIS3_S5_SD_SD_SF_NS1_16binary_search_opENS9_16wrapped_functionINS0_4lessIvEEbEEEE10hipError_tPvRmT1_T2_T3_mmT4_T5_P12ihipStream_tbEUlRKfE_EESM_SQ_SR_mSS_SV_bEUlT_E_NS1_11comp_targetILNS1_3genE9ELNS1_11target_archE1100ELNS1_3gpuE3ELNS1_3repE0EEENS1_30default_config_static_selectorELNS0_4arch9wavefront6targetE1EEEvSP_.kd
    .uniform_work_group_size: 1
    .uses_dynamic_stack: false
    .vgpr_count:     0
    .vgpr_spill_count: 0
    .wavefront_size: 64
  - .agpr_count:     0
    .args:
      - .offset:         0
        .size:           56
        .value_kind:     by_value
    .group_segment_fixed_size: 0
    .kernarg_segment_align: 8
    .kernarg_segment_size: 56
    .language:       OpenCL C
    .language_version:
      - 2
      - 0
    .max_flat_workgroup_size: 256
    .name:           _ZN7rocprim17ROCPRIM_400000_NS6detail17trampoline_kernelINS0_14default_configENS1_29binary_search_config_selectorIfiEEZNS1_14transform_implILb0ES3_S5_N6thrust23THRUST_200600_302600_NS6detail15normal_iteratorINS8_10device_ptrIfEEEENSA_INSB_IiEEEEZNS1_13binary_searchIS3_S5_SD_SD_SF_NS1_16binary_search_opENS9_16wrapped_functionINS0_4lessIvEEbEEEE10hipError_tPvRmT1_T2_T3_mmT4_T5_P12ihipStream_tbEUlRKfE_EESM_SQ_SR_mSS_SV_bEUlT_E_NS1_11comp_targetILNS1_3genE8ELNS1_11target_archE1030ELNS1_3gpuE2ELNS1_3repE0EEENS1_30default_config_static_selectorELNS0_4arch9wavefront6targetE1EEEvSP_
    .private_segment_fixed_size: 0
    .sgpr_count:     4
    .sgpr_spill_count: 0
    .symbol:         _ZN7rocprim17ROCPRIM_400000_NS6detail17trampoline_kernelINS0_14default_configENS1_29binary_search_config_selectorIfiEEZNS1_14transform_implILb0ES3_S5_N6thrust23THRUST_200600_302600_NS6detail15normal_iteratorINS8_10device_ptrIfEEEENSA_INSB_IiEEEEZNS1_13binary_searchIS3_S5_SD_SD_SF_NS1_16binary_search_opENS9_16wrapped_functionINS0_4lessIvEEbEEEE10hipError_tPvRmT1_T2_T3_mmT4_T5_P12ihipStream_tbEUlRKfE_EESM_SQ_SR_mSS_SV_bEUlT_E_NS1_11comp_targetILNS1_3genE8ELNS1_11target_archE1030ELNS1_3gpuE2ELNS1_3repE0EEENS1_30default_config_static_selectorELNS0_4arch9wavefront6targetE1EEEvSP_.kd
    .uniform_work_group_size: 1
    .uses_dynamic_stack: false
    .vgpr_count:     0
    .vgpr_spill_count: 0
    .wavefront_size: 64
  - .agpr_count:     0
    .args:
      - .offset:         0
        .size:           56
        .value_kind:     by_value
    .group_segment_fixed_size: 0
    .kernarg_segment_align: 8
    .kernarg_segment_size: 56
    .language:       OpenCL C
    .language_version:
      - 2
      - 0
    .max_flat_workgroup_size: 256
    .name:           _ZN7rocprim17ROCPRIM_400000_NS6detail17trampoline_kernelINS0_14default_configENS1_29binary_search_config_selectorIybEEZNS1_14transform_implILb0ES3_S5_N6thrust23THRUST_200600_302600_NS6detail15normal_iteratorINS8_10device_ptrIyEEEENSA_INSB_IbEEEEZNS1_13binary_searchIS3_S5_SD_SD_SF_NS1_16binary_search_opENS9_16wrapped_functionINS0_4lessIvEEbEEEE10hipError_tPvRmT1_T2_T3_mmT4_T5_P12ihipStream_tbEUlRKyE_EESM_SQ_SR_mSS_SV_bEUlT_E_NS1_11comp_targetILNS1_3genE0ELNS1_11target_archE4294967295ELNS1_3gpuE0ELNS1_3repE0EEENS1_30default_config_static_selectorELNS0_4arch9wavefront6targetE1EEEvSP_
    .private_segment_fixed_size: 0
    .sgpr_count:     4
    .sgpr_spill_count: 0
    .symbol:         _ZN7rocprim17ROCPRIM_400000_NS6detail17trampoline_kernelINS0_14default_configENS1_29binary_search_config_selectorIybEEZNS1_14transform_implILb0ES3_S5_N6thrust23THRUST_200600_302600_NS6detail15normal_iteratorINS8_10device_ptrIyEEEENSA_INSB_IbEEEEZNS1_13binary_searchIS3_S5_SD_SD_SF_NS1_16binary_search_opENS9_16wrapped_functionINS0_4lessIvEEbEEEE10hipError_tPvRmT1_T2_T3_mmT4_T5_P12ihipStream_tbEUlRKyE_EESM_SQ_SR_mSS_SV_bEUlT_E_NS1_11comp_targetILNS1_3genE0ELNS1_11target_archE4294967295ELNS1_3gpuE0ELNS1_3repE0EEENS1_30default_config_static_selectorELNS0_4arch9wavefront6targetE1EEEvSP_.kd
    .uniform_work_group_size: 1
    .uses_dynamic_stack: false
    .vgpr_count:     0
    .vgpr_spill_count: 0
    .wavefront_size: 64
  - .agpr_count:     0
    .args:
      - .offset:         0
        .size:           56
        .value_kind:     by_value
    .group_segment_fixed_size: 0
    .kernarg_segment_align: 8
    .kernarg_segment_size: 56
    .language:       OpenCL C
    .language_version:
      - 2
      - 0
    .max_flat_workgroup_size: 64
    .name:           _ZN7rocprim17ROCPRIM_400000_NS6detail17trampoline_kernelINS0_14default_configENS1_29binary_search_config_selectorIybEEZNS1_14transform_implILb0ES3_S5_N6thrust23THRUST_200600_302600_NS6detail15normal_iteratorINS8_10device_ptrIyEEEENSA_INSB_IbEEEEZNS1_13binary_searchIS3_S5_SD_SD_SF_NS1_16binary_search_opENS9_16wrapped_functionINS0_4lessIvEEbEEEE10hipError_tPvRmT1_T2_T3_mmT4_T5_P12ihipStream_tbEUlRKyE_EESM_SQ_SR_mSS_SV_bEUlT_E_NS1_11comp_targetILNS1_3genE5ELNS1_11target_archE942ELNS1_3gpuE9ELNS1_3repE0EEENS1_30default_config_static_selectorELNS0_4arch9wavefront6targetE1EEEvSP_
    .private_segment_fixed_size: 0
    .sgpr_count:     4
    .sgpr_spill_count: 0
    .symbol:         _ZN7rocprim17ROCPRIM_400000_NS6detail17trampoline_kernelINS0_14default_configENS1_29binary_search_config_selectorIybEEZNS1_14transform_implILb0ES3_S5_N6thrust23THRUST_200600_302600_NS6detail15normal_iteratorINS8_10device_ptrIyEEEENSA_INSB_IbEEEEZNS1_13binary_searchIS3_S5_SD_SD_SF_NS1_16binary_search_opENS9_16wrapped_functionINS0_4lessIvEEbEEEE10hipError_tPvRmT1_T2_T3_mmT4_T5_P12ihipStream_tbEUlRKyE_EESM_SQ_SR_mSS_SV_bEUlT_E_NS1_11comp_targetILNS1_3genE5ELNS1_11target_archE942ELNS1_3gpuE9ELNS1_3repE0EEENS1_30default_config_static_selectorELNS0_4arch9wavefront6targetE1EEEvSP_.kd
    .uniform_work_group_size: 1
    .uses_dynamic_stack: false
    .vgpr_count:     0
    .vgpr_spill_count: 0
    .wavefront_size: 64
  - .agpr_count:     0
    .args:
      - .offset:         0
        .size:           56
        .value_kind:     by_value
      - .offset:         56
        .size:           4
        .value_kind:     hidden_block_count_x
      - .offset:         60
        .size:           4
        .value_kind:     hidden_block_count_y
      - .offset:         64
        .size:           4
        .value_kind:     hidden_block_count_z
      - .offset:         68
        .size:           2
        .value_kind:     hidden_group_size_x
      - .offset:         70
        .size:           2
        .value_kind:     hidden_group_size_y
      - .offset:         72
        .size:           2
        .value_kind:     hidden_group_size_z
      - .offset:         74
        .size:           2
        .value_kind:     hidden_remainder_x
      - .offset:         76
        .size:           2
        .value_kind:     hidden_remainder_y
      - .offset:         78
        .size:           2
        .value_kind:     hidden_remainder_z
      - .offset:         96
        .size:           8
        .value_kind:     hidden_global_offset_x
      - .offset:         104
        .size:           8
        .value_kind:     hidden_global_offset_y
      - .offset:         112
        .size:           8
        .value_kind:     hidden_global_offset_z
      - .offset:         120
        .size:           2
        .value_kind:     hidden_grid_dims
    .group_segment_fixed_size: 0
    .kernarg_segment_align: 8
    .kernarg_segment_size: 312
    .language:       OpenCL C
    .language_version:
      - 2
      - 0
    .max_flat_workgroup_size: 64
    .name:           _ZN7rocprim17ROCPRIM_400000_NS6detail17trampoline_kernelINS0_14default_configENS1_29binary_search_config_selectorIybEEZNS1_14transform_implILb0ES3_S5_N6thrust23THRUST_200600_302600_NS6detail15normal_iteratorINS8_10device_ptrIyEEEENSA_INSB_IbEEEEZNS1_13binary_searchIS3_S5_SD_SD_SF_NS1_16binary_search_opENS9_16wrapped_functionINS0_4lessIvEEbEEEE10hipError_tPvRmT1_T2_T3_mmT4_T5_P12ihipStream_tbEUlRKyE_EESM_SQ_SR_mSS_SV_bEUlT_E_NS1_11comp_targetILNS1_3genE4ELNS1_11target_archE910ELNS1_3gpuE8ELNS1_3repE0EEENS1_30default_config_static_selectorELNS0_4arch9wavefront6targetE1EEEvSP_
    .private_segment_fixed_size: 0
    .sgpr_count:     22
    .sgpr_spill_count: 0
    .symbol:         _ZN7rocprim17ROCPRIM_400000_NS6detail17trampoline_kernelINS0_14default_configENS1_29binary_search_config_selectorIybEEZNS1_14transform_implILb0ES3_S5_N6thrust23THRUST_200600_302600_NS6detail15normal_iteratorINS8_10device_ptrIyEEEENSA_INSB_IbEEEEZNS1_13binary_searchIS3_S5_SD_SD_SF_NS1_16binary_search_opENS9_16wrapped_functionINS0_4lessIvEEbEEEE10hipError_tPvRmT1_T2_T3_mmT4_T5_P12ihipStream_tbEUlRKyE_EESM_SQ_SR_mSS_SV_bEUlT_E_NS1_11comp_targetILNS1_3genE4ELNS1_11target_archE910ELNS1_3gpuE8ELNS1_3repE0EEENS1_30default_config_static_selectorELNS0_4arch9wavefront6targetE1EEEvSP_.kd
    .uniform_work_group_size: 1
    .uses_dynamic_stack: false
    .vgpr_count:     14
    .vgpr_spill_count: 0
    .wavefront_size: 64
  - .agpr_count:     0
    .args:
      - .offset:         0
        .size:           56
        .value_kind:     by_value
    .group_segment_fixed_size: 0
    .kernarg_segment_align: 8
    .kernarg_segment_size: 56
    .language:       OpenCL C
    .language_version:
      - 2
      - 0
    .max_flat_workgroup_size: 256
    .name:           _ZN7rocprim17ROCPRIM_400000_NS6detail17trampoline_kernelINS0_14default_configENS1_29binary_search_config_selectorIybEEZNS1_14transform_implILb0ES3_S5_N6thrust23THRUST_200600_302600_NS6detail15normal_iteratorINS8_10device_ptrIyEEEENSA_INSB_IbEEEEZNS1_13binary_searchIS3_S5_SD_SD_SF_NS1_16binary_search_opENS9_16wrapped_functionINS0_4lessIvEEbEEEE10hipError_tPvRmT1_T2_T3_mmT4_T5_P12ihipStream_tbEUlRKyE_EESM_SQ_SR_mSS_SV_bEUlT_E_NS1_11comp_targetILNS1_3genE3ELNS1_11target_archE908ELNS1_3gpuE7ELNS1_3repE0EEENS1_30default_config_static_selectorELNS0_4arch9wavefront6targetE1EEEvSP_
    .private_segment_fixed_size: 0
    .sgpr_count:     4
    .sgpr_spill_count: 0
    .symbol:         _ZN7rocprim17ROCPRIM_400000_NS6detail17trampoline_kernelINS0_14default_configENS1_29binary_search_config_selectorIybEEZNS1_14transform_implILb0ES3_S5_N6thrust23THRUST_200600_302600_NS6detail15normal_iteratorINS8_10device_ptrIyEEEENSA_INSB_IbEEEEZNS1_13binary_searchIS3_S5_SD_SD_SF_NS1_16binary_search_opENS9_16wrapped_functionINS0_4lessIvEEbEEEE10hipError_tPvRmT1_T2_T3_mmT4_T5_P12ihipStream_tbEUlRKyE_EESM_SQ_SR_mSS_SV_bEUlT_E_NS1_11comp_targetILNS1_3genE3ELNS1_11target_archE908ELNS1_3gpuE7ELNS1_3repE0EEENS1_30default_config_static_selectorELNS0_4arch9wavefront6targetE1EEEvSP_.kd
    .uniform_work_group_size: 1
    .uses_dynamic_stack: false
    .vgpr_count:     0
    .vgpr_spill_count: 0
    .wavefront_size: 64
  - .agpr_count:     0
    .args:
      - .offset:         0
        .size:           56
        .value_kind:     by_value
    .group_segment_fixed_size: 0
    .kernarg_segment_align: 8
    .kernarg_segment_size: 56
    .language:       OpenCL C
    .language_version:
      - 2
      - 0
    .max_flat_workgroup_size: 256
    .name:           _ZN7rocprim17ROCPRIM_400000_NS6detail17trampoline_kernelINS0_14default_configENS1_29binary_search_config_selectorIybEEZNS1_14transform_implILb0ES3_S5_N6thrust23THRUST_200600_302600_NS6detail15normal_iteratorINS8_10device_ptrIyEEEENSA_INSB_IbEEEEZNS1_13binary_searchIS3_S5_SD_SD_SF_NS1_16binary_search_opENS9_16wrapped_functionINS0_4lessIvEEbEEEE10hipError_tPvRmT1_T2_T3_mmT4_T5_P12ihipStream_tbEUlRKyE_EESM_SQ_SR_mSS_SV_bEUlT_E_NS1_11comp_targetILNS1_3genE2ELNS1_11target_archE906ELNS1_3gpuE6ELNS1_3repE0EEENS1_30default_config_static_selectorELNS0_4arch9wavefront6targetE1EEEvSP_
    .private_segment_fixed_size: 0
    .sgpr_count:     4
    .sgpr_spill_count: 0
    .symbol:         _ZN7rocprim17ROCPRIM_400000_NS6detail17trampoline_kernelINS0_14default_configENS1_29binary_search_config_selectorIybEEZNS1_14transform_implILb0ES3_S5_N6thrust23THRUST_200600_302600_NS6detail15normal_iteratorINS8_10device_ptrIyEEEENSA_INSB_IbEEEEZNS1_13binary_searchIS3_S5_SD_SD_SF_NS1_16binary_search_opENS9_16wrapped_functionINS0_4lessIvEEbEEEE10hipError_tPvRmT1_T2_T3_mmT4_T5_P12ihipStream_tbEUlRKyE_EESM_SQ_SR_mSS_SV_bEUlT_E_NS1_11comp_targetILNS1_3genE2ELNS1_11target_archE906ELNS1_3gpuE6ELNS1_3repE0EEENS1_30default_config_static_selectorELNS0_4arch9wavefront6targetE1EEEvSP_.kd
    .uniform_work_group_size: 1
    .uses_dynamic_stack: false
    .vgpr_count:     0
    .vgpr_spill_count: 0
    .wavefront_size: 64
  - .agpr_count:     0
    .args:
      - .offset:         0
        .size:           56
        .value_kind:     by_value
    .group_segment_fixed_size: 0
    .kernarg_segment_align: 8
    .kernarg_segment_size: 56
    .language:       OpenCL C
    .language_version:
      - 2
      - 0
    .max_flat_workgroup_size: 256
    .name:           _ZN7rocprim17ROCPRIM_400000_NS6detail17trampoline_kernelINS0_14default_configENS1_29binary_search_config_selectorIybEEZNS1_14transform_implILb0ES3_S5_N6thrust23THRUST_200600_302600_NS6detail15normal_iteratorINS8_10device_ptrIyEEEENSA_INSB_IbEEEEZNS1_13binary_searchIS3_S5_SD_SD_SF_NS1_16binary_search_opENS9_16wrapped_functionINS0_4lessIvEEbEEEE10hipError_tPvRmT1_T2_T3_mmT4_T5_P12ihipStream_tbEUlRKyE_EESM_SQ_SR_mSS_SV_bEUlT_E_NS1_11comp_targetILNS1_3genE10ELNS1_11target_archE1201ELNS1_3gpuE5ELNS1_3repE0EEENS1_30default_config_static_selectorELNS0_4arch9wavefront6targetE1EEEvSP_
    .private_segment_fixed_size: 0
    .sgpr_count:     4
    .sgpr_spill_count: 0
    .symbol:         _ZN7rocprim17ROCPRIM_400000_NS6detail17trampoline_kernelINS0_14default_configENS1_29binary_search_config_selectorIybEEZNS1_14transform_implILb0ES3_S5_N6thrust23THRUST_200600_302600_NS6detail15normal_iteratorINS8_10device_ptrIyEEEENSA_INSB_IbEEEEZNS1_13binary_searchIS3_S5_SD_SD_SF_NS1_16binary_search_opENS9_16wrapped_functionINS0_4lessIvEEbEEEE10hipError_tPvRmT1_T2_T3_mmT4_T5_P12ihipStream_tbEUlRKyE_EESM_SQ_SR_mSS_SV_bEUlT_E_NS1_11comp_targetILNS1_3genE10ELNS1_11target_archE1201ELNS1_3gpuE5ELNS1_3repE0EEENS1_30default_config_static_selectorELNS0_4arch9wavefront6targetE1EEEvSP_.kd
    .uniform_work_group_size: 1
    .uses_dynamic_stack: false
    .vgpr_count:     0
    .vgpr_spill_count: 0
    .wavefront_size: 64
  - .agpr_count:     0
    .args:
      - .offset:         0
        .size:           56
        .value_kind:     by_value
    .group_segment_fixed_size: 0
    .kernarg_segment_align: 8
    .kernarg_segment_size: 56
    .language:       OpenCL C
    .language_version:
      - 2
      - 0
    .max_flat_workgroup_size: 128
    .name:           _ZN7rocprim17ROCPRIM_400000_NS6detail17trampoline_kernelINS0_14default_configENS1_29binary_search_config_selectorIybEEZNS1_14transform_implILb0ES3_S5_N6thrust23THRUST_200600_302600_NS6detail15normal_iteratorINS8_10device_ptrIyEEEENSA_INSB_IbEEEEZNS1_13binary_searchIS3_S5_SD_SD_SF_NS1_16binary_search_opENS9_16wrapped_functionINS0_4lessIvEEbEEEE10hipError_tPvRmT1_T2_T3_mmT4_T5_P12ihipStream_tbEUlRKyE_EESM_SQ_SR_mSS_SV_bEUlT_E_NS1_11comp_targetILNS1_3genE10ELNS1_11target_archE1200ELNS1_3gpuE4ELNS1_3repE0EEENS1_30default_config_static_selectorELNS0_4arch9wavefront6targetE1EEEvSP_
    .private_segment_fixed_size: 0
    .sgpr_count:     4
    .sgpr_spill_count: 0
    .symbol:         _ZN7rocprim17ROCPRIM_400000_NS6detail17trampoline_kernelINS0_14default_configENS1_29binary_search_config_selectorIybEEZNS1_14transform_implILb0ES3_S5_N6thrust23THRUST_200600_302600_NS6detail15normal_iteratorINS8_10device_ptrIyEEEENSA_INSB_IbEEEEZNS1_13binary_searchIS3_S5_SD_SD_SF_NS1_16binary_search_opENS9_16wrapped_functionINS0_4lessIvEEbEEEE10hipError_tPvRmT1_T2_T3_mmT4_T5_P12ihipStream_tbEUlRKyE_EESM_SQ_SR_mSS_SV_bEUlT_E_NS1_11comp_targetILNS1_3genE10ELNS1_11target_archE1200ELNS1_3gpuE4ELNS1_3repE0EEENS1_30default_config_static_selectorELNS0_4arch9wavefront6targetE1EEEvSP_.kd
    .uniform_work_group_size: 1
    .uses_dynamic_stack: false
    .vgpr_count:     0
    .vgpr_spill_count: 0
    .wavefront_size: 64
  - .agpr_count:     0
    .args:
      - .offset:         0
        .size:           56
        .value_kind:     by_value
    .group_segment_fixed_size: 0
    .kernarg_segment_align: 8
    .kernarg_segment_size: 56
    .language:       OpenCL C
    .language_version:
      - 2
      - 0
    .max_flat_workgroup_size: 64
    .name:           _ZN7rocprim17ROCPRIM_400000_NS6detail17trampoline_kernelINS0_14default_configENS1_29binary_search_config_selectorIybEEZNS1_14transform_implILb0ES3_S5_N6thrust23THRUST_200600_302600_NS6detail15normal_iteratorINS8_10device_ptrIyEEEENSA_INSB_IbEEEEZNS1_13binary_searchIS3_S5_SD_SD_SF_NS1_16binary_search_opENS9_16wrapped_functionINS0_4lessIvEEbEEEE10hipError_tPvRmT1_T2_T3_mmT4_T5_P12ihipStream_tbEUlRKyE_EESM_SQ_SR_mSS_SV_bEUlT_E_NS1_11comp_targetILNS1_3genE9ELNS1_11target_archE1100ELNS1_3gpuE3ELNS1_3repE0EEENS1_30default_config_static_selectorELNS0_4arch9wavefront6targetE1EEEvSP_
    .private_segment_fixed_size: 0
    .sgpr_count:     4
    .sgpr_spill_count: 0
    .symbol:         _ZN7rocprim17ROCPRIM_400000_NS6detail17trampoline_kernelINS0_14default_configENS1_29binary_search_config_selectorIybEEZNS1_14transform_implILb0ES3_S5_N6thrust23THRUST_200600_302600_NS6detail15normal_iteratorINS8_10device_ptrIyEEEENSA_INSB_IbEEEEZNS1_13binary_searchIS3_S5_SD_SD_SF_NS1_16binary_search_opENS9_16wrapped_functionINS0_4lessIvEEbEEEE10hipError_tPvRmT1_T2_T3_mmT4_T5_P12ihipStream_tbEUlRKyE_EESM_SQ_SR_mSS_SV_bEUlT_E_NS1_11comp_targetILNS1_3genE9ELNS1_11target_archE1100ELNS1_3gpuE3ELNS1_3repE0EEENS1_30default_config_static_selectorELNS0_4arch9wavefront6targetE1EEEvSP_.kd
    .uniform_work_group_size: 1
    .uses_dynamic_stack: false
    .vgpr_count:     0
    .vgpr_spill_count: 0
    .wavefront_size: 64
  - .agpr_count:     0
    .args:
      - .offset:         0
        .size:           56
        .value_kind:     by_value
    .group_segment_fixed_size: 0
    .kernarg_segment_align: 8
    .kernarg_segment_size: 56
    .language:       OpenCL C
    .language_version:
      - 2
      - 0
    .max_flat_workgroup_size: 256
    .name:           _ZN7rocprim17ROCPRIM_400000_NS6detail17trampoline_kernelINS0_14default_configENS1_29binary_search_config_selectorIybEEZNS1_14transform_implILb0ES3_S5_N6thrust23THRUST_200600_302600_NS6detail15normal_iteratorINS8_10device_ptrIyEEEENSA_INSB_IbEEEEZNS1_13binary_searchIS3_S5_SD_SD_SF_NS1_16binary_search_opENS9_16wrapped_functionINS0_4lessIvEEbEEEE10hipError_tPvRmT1_T2_T3_mmT4_T5_P12ihipStream_tbEUlRKyE_EESM_SQ_SR_mSS_SV_bEUlT_E_NS1_11comp_targetILNS1_3genE8ELNS1_11target_archE1030ELNS1_3gpuE2ELNS1_3repE0EEENS1_30default_config_static_selectorELNS0_4arch9wavefront6targetE1EEEvSP_
    .private_segment_fixed_size: 0
    .sgpr_count:     4
    .sgpr_spill_count: 0
    .symbol:         _ZN7rocprim17ROCPRIM_400000_NS6detail17trampoline_kernelINS0_14default_configENS1_29binary_search_config_selectorIybEEZNS1_14transform_implILb0ES3_S5_N6thrust23THRUST_200600_302600_NS6detail15normal_iteratorINS8_10device_ptrIyEEEENSA_INSB_IbEEEEZNS1_13binary_searchIS3_S5_SD_SD_SF_NS1_16binary_search_opENS9_16wrapped_functionINS0_4lessIvEEbEEEE10hipError_tPvRmT1_T2_T3_mmT4_T5_P12ihipStream_tbEUlRKyE_EESM_SQ_SR_mSS_SV_bEUlT_E_NS1_11comp_targetILNS1_3genE8ELNS1_11target_archE1030ELNS1_3gpuE2ELNS1_3repE0EEENS1_30default_config_static_selectorELNS0_4arch9wavefront6targetE1EEEvSP_.kd
    .uniform_work_group_size: 1
    .uses_dynamic_stack: false
    .vgpr_count:     0
    .vgpr_spill_count: 0
    .wavefront_size: 64
  - .agpr_count:     0
    .args:
      - .offset:         0
        .size:           56
        .value_kind:     by_value
    .group_segment_fixed_size: 0
    .kernarg_segment_align: 8
    .kernarg_segment_size: 56
    .language:       OpenCL C
    .language_version:
      - 2
      - 0
    .max_flat_workgroup_size: 256
    .name:           _ZN7rocprim17ROCPRIM_400000_NS6detail17trampoline_kernelINS0_14default_configENS1_29binary_search_config_selectorIyiEEZNS1_14transform_implILb0ES3_S5_N6thrust23THRUST_200600_302600_NS6detail15normal_iteratorINS8_10device_ptrIyEEEENSA_INSB_IiEEEEZNS1_13binary_searchIS3_S5_SD_SD_SF_NS1_16binary_search_opENS9_16wrapped_functionINS0_4lessIvEEbEEEE10hipError_tPvRmT1_T2_T3_mmT4_T5_P12ihipStream_tbEUlRKyE_EESM_SQ_SR_mSS_SV_bEUlT_E_NS1_11comp_targetILNS1_3genE0ELNS1_11target_archE4294967295ELNS1_3gpuE0ELNS1_3repE0EEENS1_30default_config_static_selectorELNS0_4arch9wavefront6targetE1EEEvSP_
    .private_segment_fixed_size: 0
    .sgpr_count:     4
    .sgpr_spill_count: 0
    .symbol:         _ZN7rocprim17ROCPRIM_400000_NS6detail17trampoline_kernelINS0_14default_configENS1_29binary_search_config_selectorIyiEEZNS1_14transform_implILb0ES3_S5_N6thrust23THRUST_200600_302600_NS6detail15normal_iteratorINS8_10device_ptrIyEEEENSA_INSB_IiEEEEZNS1_13binary_searchIS3_S5_SD_SD_SF_NS1_16binary_search_opENS9_16wrapped_functionINS0_4lessIvEEbEEEE10hipError_tPvRmT1_T2_T3_mmT4_T5_P12ihipStream_tbEUlRKyE_EESM_SQ_SR_mSS_SV_bEUlT_E_NS1_11comp_targetILNS1_3genE0ELNS1_11target_archE4294967295ELNS1_3gpuE0ELNS1_3repE0EEENS1_30default_config_static_selectorELNS0_4arch9wavefront6targetE1EEEvSP_.kd
    .uniform_work_group_size: 1
    .uses_dynamic_stack: false
    .vgpr_count:     0
    .vgpr_spill_count: 0
    .wavefront_size: 64
  - .agpr_count:     0
    .args:
      - .offset:         0
        .size:           56
        .value_kind:     by_value
    .group_segment_fixed_size: 0
    .kernarg_segment_align: 8
    .kernarg_segment_size: 56
    .language:       OpenCL C
    .language_version:
      - 2
      - 0
    .max_flat_workgroup_size: 64
    .name:           _ZN7rocprim17ROCPRIM_400000_NS6detail17trampoline_kernelINS0_14default_configENS1_29binary_search_config_selectorIyiEEZNS1_14transform_implILb0ES3_S5_N6thrust23THRUST_200600_302600_NS6detail15normal_iteratorINS8_10device_ptrIyEEEENSA_INSB_IiEEEEZNS1_13binary_searchIS3_S5_SD_SD_SF_NS1_16binary_search_opENS9_16wrapped_functionINS0_4lessIvEEbEEEE10hipError_tPvRmT1_T2_T3_mmT4_T5_P12ihipStream_tbEUlRKyE_EESM_SQ_SR_mSS_SV_bEUlT_E_NS1_11comp_targetILNS1_3genE5ELNS1_11target_archE942ELNS1_3gpuE9ELNS1_3repE0EEENS1_30default_config_static_selectorELNS0_4arch9wavefront6targetE1EEEvSP_
    .private_segment_fixed_size: 0
    .sgpr_count:     4
    .sgpr_spill_count: 0
    .symbol:         _ZN7rocprim17ROCPRIM_400000_NS6detail17trampoline_kernelINS0_14default_configENS1_29binary_search_config_selectorIyiEEZNS1_14transform_implILb0ES3_S5_N6thrust23THRUST_200600_302600_NS6detail15normal_iteratorINS8_10device_ptrIyEEEENSA_INSB_IiEEEEZNS1_13binary_searchIS3_S5_SD_SD_SF_NS1_16binary_search_opENS9_16wrapped_functionINS0_4lessIvEEbEEEE10hipError_tPvRmT1_T2_T3_mmT4_T5_P12ihipStream_tbEUlRKyE_EESM_SQ_SR_mSS_SV_bEUlT_E_NS1_11comp_targetILNS1_3genE5ELNS1_11target_archE942ELNS1_3gpuE9ELNS1_3repE0EEENS1_30default_config_static_selectorELNS0_4arch9wavefront6targetE1EEEvSP_.kd
    .uniform_work_group_size: 1
    .uses_dynamic_stack: false
    .vgpr_count:     0
    .vgpr_spill_count: 0
    .wavefront_size: 64
  - .agpr_count:     0
    .args:
      - .offset:         0
        .size:           56
        .value_kind:     by_value
      - .offset:         56
        .size:           4
        .value_kind:     hidden_block_count_x
      - .offset:         60
        .size:           4
        .value_kind:     hidden_block_count_y
      - .offset:         64
        .size:           4
        .value_kind:     hidden_block_count_z
      - .offset:         68
        .size:           2
        .value_kind:     hidden_group_size_x
      - .offset:         70
        .size:           2
        .value_kind:     hidden_group_size_y
      - .offset:         72
        .size:           2
        .value_kind:     hidden_group_size_z
      - .offset:         74
        .size:           2
        .value_kind:     hidden_remainder_x
      - .offset:         76
        .size:           2
        .value_kind:     hidden_remainder_y
      - .offset:         78
        .size:           2
        .value_kind:     hidden_remainder_z
      - .offset:         96
        .size:           8
        .value_kind:     hidden_global_offset_x
      - .offset:         104
        .size:           8
        .value_kind:     hidden_global_offset_y
      - .offset:         112
        .size:           8
        .value_kind:     hidden_global_offset_z
      - .offset:         120
        .size:           2
        .value_kind:     hidden_grid_dims
    .group_segment_fixed_size: 0
    .kernarg_segment_align: 8
    .kernarg_segment_size: 312
    .language:       OpenCL C
    .language_version:
      - 2
      - 0
    .max_flat_workgroup_size: 64
    .name:           _ZN7rocprim17ROCPRIM_400000_NS6detail17trampoline_kernelINS0_14default_configENS1_29binary_search_config_selectorIyiEEZNS1_14transform_implILb0ES3_S5_N6thrust23THRUST_200600_302600_NS6detail15normal_iteratorINS8_10device_ptrIyEEEENSA_INSB_IiEEEEZNS1_13binary_searchIS3_S5_SD_SD_SF_NS1_16binary_search_opENS9_16wrapped_functionINS0_4lessIvEEbEEEE10hipError_tPvRmT1_T2_T3_mmT4_T5_P12ihipStream_tbEUlRKyE_EESM_SQ_SR_mSS_SV_bEUlT_E_NS1_11comp_targetILNS1_3genE4ELNS1_11target_archE910ELNS1_3gpuE8ELNS1_3repE0EEENS1_30default_config_static_selectorELNS0_4arch9wavefront6targetE1EEEvSP_
    .private_segment_fixed_size: 0
    .sgpr_count:     24
    .sgpr_spill_count: 0
    .symbol:         _ZN7rocprim17ROCPRIM_400000_NS6detail17trampoline_kernelINS0_14default_configENS1_29binary_search_config_selectorIyiEEZNS1_14transform_implILb0ES3_S5_N6thrust23THRUST_200600_302600_NS6detail15normal_iteratorINS8_10device_ptrIyEEEENSA_INSB_IiEEEEZNS1_13binary_searchIS3_S5_SD_SD_SF_NS1_16binary_search_opENS9_16wrapped_functionINS0_4lessIvEEbEEEE10hipError_tPvRmT1_T2_T3_mmT4_T5_P12ihipStream_tbEUlRKyE_EESM_SQ_SR_mSS_SV_bEUlT_E_NS1_11comp_targetILNS1_3genE4ELNS1_11target_archE910ELNS1_3gpuE8ELNS1_3repE0EEENS1_30default_config_static_selectorELNS0_4arch9wavefront6targetE1EEEvSP_.kd
    .uniform_work_group_size: 1
    .uses_dynamic_stack: false
    .vgpr_count:     14
    .vgpr_spill_count: 0
    .wavefront_size: 64
  - .agpr_count:     0
    .args:
      - .offset:         0
        .size:           56
        .value_kind:     by_value
    .group_segment_fixed_size: 0
    .kernarg_segment_align: 8
    .kernarg_segment_size: 56
    .language:       OpenCL C
    .language_version:
      - 2
      - 0
    .max_flat_workgroup_size: 256
    .name:           _ZN7rocprim17ROCPRIM_400000_NS6detail17trampoline_kernelINS0_14default_configENS1_29binary_search_config_selectorIyiEEZNS1_14transform_implILb0ES3_S5_N6thrust23THRUST_200600_302600_NS6detail15normal_iteratorINS8_10device_ptrIyEEEENSA_INSB_IiEEEEZNS1_13binary_searchIS3_S5_SD_SD_SF_NS1_16binary_search_opENS9_16wrapped_functionINS0_4lessIvEEbEEEE10hipError_tPvRmT1_T2_T3_mmT4_T5_P12ihipStream_tbEUlRKyE_EESM_SQ_SR_mSS_SV_bEUlT_E_NS1_11comp_targetILNS1_3genE3ELNS1_11target_archE908ELNS1_3gpuE7ELNS1_3repE0EEENS1_30default_config_static_selectorELNS0_4arch9wavefront6targetE1EEEvSP_
    .private_segment_fixed_size: 0
    .sgpr_count:     4
    .sgpr_spill_count: 0
    .symbol:         _ZN7rocprim17ROCPRIM_400000_NS6detail17trampoline_kernelINS0_14default_configENS1_29binary_search_config_selectorIyiEEZNS1_14transform_implILb0ES3_S5_N6thrust23THRUST_200600_302600_NS6detail15normal_iteratorINS8_10device_ptrIyEEEENSA_INSB_IiEEEEZNS1_13binary_searchIS3_S5_SD_SD_SF_NS1_16binary_search_opENS9_16wrapped_functionINS0_4lessIvEEbEEEE10hipError_tPvRmT1_T2_T3_mmT4_T5_P12ihipStream_tbEUlRKyE_EESM_SQ_SR_mSS_SV_bEUlT_E_NS1_11comp_targetILNS1_3genE3ELNS1_11target_archE908ELNS1_3gpuE7ELNS1_3repE0EEENS1_30default_config_static_selectorELNS0_4arch9wavefront6targetE1EEEvSP_.kd
    .uniform_work_group_size: 1
    .uses_dynamic_stack: false
    .vgpr_count:     0
    .vgpr_spill_count: 0
    .wavefront_size: 64
  - .agpr_count:     0
    .args:
      - .offset:         0
        .size:           56
        .value_kind:     by_value
    .group_segment_fixed_size: 0
    .kernarg_segment_align: 8
    .kernarg_segment_size: 56
    .language:       OpenCL C
    .language_version:
      - 2
      - 0
    .max_flat_workgroup_size: 256
    .name:           _ZN7rocprim17ROCPRIM_400000_NS6detail17trampoline_kernelINS0_14default_configENS1_29binary_search_config_selectorIyiEEZNS1_14transform_implILb0ES3_S5_N6thrust23THRUST_200600_302600_NS6detail15normal_iteratorINS8_10device_ptrIyEEEENSA_INSB_IiEEEEZNS1_13binary_searchIS3_S5_SD_SD_SF_NS1_16binary_search_opENS9_16wrapped_functionINS0_4lessIvEEbEEEE10hipError_tPvRmT1_T2_T3_mmT4_T5_P12ihipStream_tbEUlRKyE_EESM_SQ_SR_mSS_SV_bEUlT_E_NS1_11comp_targetILNS1_3genE2ELNS1_11target_archE906ELNS1_3gpuE6ELNS1_3repE0EEENS1_30default_config_static_selectorELNS0_4arch9wavefront6targetE1EEEvSP_
    .private_segment_fixed_size: 0
    .sgpr_count:     4
    .sgpr_spill_count: 0
    .symbol:         _ZN7rocprim17ROCPRIM_400000_NS6detail17trampoline_kernelINS0_14default_configENS1_29binary_search_config_selectorIyiEEZNS1_14transform_implILb0ES3_S5_N6thrust23THRUST_200600_302600_NS6detail15normal_iteratorINS8_10device_ptrIyEEEENSA_INSB_IiEEEEZNS1_13binary_searchIS3_S5_SD_SD_SF_NS1_16binary_search_opENS9_16wrapped_functionINS0_4lessIvEEbEEEE10hipError_tPvRmT1_T2_T3_mmT4_T5_P12ihipStream_tbEUlRKyE_EESM_SQ_SR_mSS_SV_bEUlT_E_NS1_11comp_targetILNS1_3genE2ELNS1_11target_archE906ELNS1_3gpuE6ELNS1_3repE0EEENS1_30default_config_static_selectorELNS0_4arch9wavefront6targetE1EEEvSP_.kd
    .uniform_work_group_size: 1
    .uses_dynamic_stack: false
    .vgpr_count:     0
    .vgpr_spill_count: 0
    .wavefront_size: 64
  - .agpr_count:     0
    .args:
      - .offset:         0
        .size:           56
        .value_kind:     by_value
    .group_segment_fixed_size: 0
    .kernarg_segment_align: 8
    .kernarg_segment_size: 56
    .language:       OpenCL C
    .language_version:
      - 2
      - 0
    .max_flat_workgroup_size: 128
    .name:           _ZN7rocprim17ROCPRIM_400000_NS6detail17trampoline_kernelINS0_14default_configENS1_29binary_search_config_selectorIyiEEZNS1_14transform_implILb0ES3_S5_N6thrust23THRUST_200600_302600_NS6detail15normal_iteratorINS8_10device_ptrIyEEEENSA_INSB_IiEEEEZNS1_13binary_searchIS3_S5_SD_SD_SF_NS1_16binary_search_opENS9_16wrapped_functionINS0_4lessIvEEbEEEE10hipError_tPvRmT1_T2_T3_mmT4_T5_P12ihipStream_tbEUlRKyE_EESM_SQ_SR_mSS_SV_bEUlT_E_NS1_11comp_targetILNS1_3genE10ELNS1_11target_archE1201ELNS1_3gpuE5ELNS1_3repE0EEENS1_30default_config_static_selectorELNS0_4arch9wavefront6targetE1EEEvSP_
    .private_segment_fixed_size: 0
    .sgpr_count:     4
    .sgpr_spill_count: 0
    .symbol:         _ZN7rocprim17ROCPRIM_400000_NS6detail17trampoline_kernelINS0_14default_configENS1_29binary_search_config_selectorIyiEEZNS1_14transform_implILb0ES3_S5_N6thrust23THRUST_200600_302600_NS6detail15normal_iteratorINS8_10device_ptrIyEEEENSA_INSB_IiEEEEZNS1_13binary_searchIS3_S5_SD_SD_SF_NS1_16binary_search_opENS9_16wrapped_functionINS0_4lessIvEEbEEEE10hipError_tPvRmT1_T2_T3_mmT4_T5_P12ihipStream_tbEUlRKyE_EESM_SQ_SR_mSS_SV_bEUlT_E_NS1_11comp_targetILNS1_3genE10ELNS1_11target_archE1201ELNS1_3gpuE5ELNS1_3repE0EEENS1_30default_config_static_selectorELNS0_4arch9wavefront6targetE1EEEvSP_.kd
    .uniform_work_group_size: 1
    .uses_dynamic_stack: false
    .vgpr_count:     0
    .vgpr_spill_count: 0
    .wavefront_size: 64
  - .agpr_count:     0
    .args:
      - .offset:         0
        .size:           56
        .value_kind:     by_value
    .group_segment_fixed_size: 0
    .kernarg_segment_align: 8
    .kernarg_segment_size: 56
    .language:       OpenCL C
    .language_version:
      - 2
      - 0
    .max_flat_workgroup_size: 128
    .name:           _ZN7rocprim17ROCPRIM_400000_NS6detail17trampoline_kernelINS0_14default_configENS1_29binary_search_config_selectorIyiEEZNS1_14transform_implILb0ES3_S5_N6thrust23THRUST_200600_302600_NS6detail15normal_iteratorINS8_10device_ptrIyEEEENSA_INSB_IiEEEEZNS1_13binary_searchIS3_S5_SD_SD_SF_NS1_16binary_search_opENS9_16wrapped_functionINS0_4lessIvEEbEEEE10hipError_tPvRmT1_T2_T3_mmT4_T5_P12ihipStream_tbEUlRKyE_EESM_SQ_SR_mSS_SV_bEUlT_E_NS1_11comp_targetILNS1_3genE10ELNS1_11target_archE1200ELNS1_3gpuE4ELNS1_3repE0EEENS1_30default_config_static_selectorELNS0_4arch9wavefront6targetE1EEEvSP_
    .private_segment_fixed_size: 0
    .sgpr_count:     4
    .sgpr_spill_count: 0
    .symbol:         _ZN7rocprim17ROCPRIM_400000_NS6detail17trampoline_kernelINS0_14default_configENS1_29binary_search_config_selectorIyiEEZNS1_14transform_implILb0ES3_S5_N6thrust23THRUST_200600_302600_NS6detail15normal_iteratorINS8_10device_ptrIyEEEENSA_INSB_IiEEEEZNS1_13binary_searchIS3_S5_SD_SD_SF_NS1_16binary_search_opENS9_16wrapped_functionINS0_4lessIvEEbEEEE10hipError_tPvRmT1_T2_T3_mmT4_T5_P12ihipStream_tbEUlRKyE_EESM_SQ_SR_mSS_SV_bEUlT_E_NS1_11comp_targetILNS1_3genE10ELNS1_11target_archE1200ELNS1_3gpuE4ELNS1_3repE0EEENS1_30default_config_static_selectorELNS0_4arch9wavefront6targetE1EEEvSP_.kd
    .uniform_work_group_size: 1
    .uses_dynamic_stack: false
    .vgpr_count:     0
    .vgpr_spill_count: 0
    .wavefront_size: 64
  - .agpr_count:     0
    .args:
      - .offset:         0
        .size:           56
        .value_kind:     by_value
    .group_segment_fixed_size: 0
    .kernarg_segment_align: 8
    .kernarg_segment_size: 56
    .language:       OpenCL C
    .language_version:
      - 2
      - 0
    .max_flat_workgroup_size: 256
    .name:           _ZN7rocprim17ROCPRIM_400000_NS6detail17trampoline_kernelINS0_14default_configENS1_29binary_search_config_selectorIyiEEZNS1_14transform_implILb0ES3_S5_N6thrust23THRUST_200600_302600_NS6detail15normal_iteratorINS8_10device_ptrIyEEEENSA_INSB_IiEEEEZNS1_13binary_searchIS3_S5_SD_SD_SF_NS1_16binary_search_opENS9_16wrapped_functionINS0_4lessIvEEbEEEE10hipError_tPvRmT1_T2_T3_mmT4_T5_P12ihipStream_tbEUlRKyE_EESM_SQ_SR_mSS_SV_bEUlT_E_NS1_11comp_targetILNS1_3genE9ELNS1_11target_archE1100ELNS1_3gpuE3ELNS1_3repE0EEENS1_30default_config_static_selectorELNS0_4arch9wavefront6targetE1EEEvSP_
    .private_segment_fixed_size: 0
    .sgpr_count:     4
    .sgpr_spill_count: 0
    .symbol:         _ZN7rocprim17ROCPRIM_400000_NS6detail17trampoline_kernelINS0_14default_configENS1_29binary_search_config_selectorIyiEEZNS1_14transform_implILb0ES3_S5_N6thrust23THRUST_200600_302600_NS6detail15normal_iteratorINS8_10device_ptrIyEEEENSA_INSB_IiEEEEZNS1_13binary_searchIS3_S5_SD_SD_SF_NS1_16binary_search_opENS9_16wrapped_functionINS0_4lessIvEEbEEEE10hipError_tPvRmT1_T2_T3_mmT4_T5_P12ihipStream_tbEUlRKyE_EESM_SQ_SR_mSS_SV_bEUlT_E_NS1_11comp_targetILNS1_3genE9ELNS1_11target_archE1100ELNS1_3gpuE3ELNS1_3repE0EEENS1_30default_config_static_selectorELNS0_4arch9wavefront6targetE1EEEvSP_.kd
    .uniform_work_group_size: 1
    .uses_dynamic_stack: false
    .vgpr_count:     0
    .vgpr_spill_count: 0
    .wavefront_size: 64
  - .agpr_count:     0
    .args:
      - .offset:         0
        .size:           56
        .value_kind:     by_value
    .group_segment_fixed_size: 0
    .kernarg_segment_align: 8
    .kernarg_segment_size: 56
    .language:       OpenCL C
    .language_version:
      - 2
      - 0
    .max_flat_workgroup_size: 256
    .name:           _ZN7rocprim17ROCPRIM_400000_NS6detail17trampoline_kernelINS0_14default_configENS1_29binary_search_config_selectorIyiEEZNS1_14transform_implILb0ES3_S5_N6thrust23THRUST_200600_302600_NS6detail15normal_iteratorINS8_10device_ptrIyEEEENSA_INSB_IiEEEEZNS1_13binary_searchIS3_S5_SD_SD_SF_NS1_16binary_search_opENS9_16wrapped_functionINS0_4lessIvEEbEEEE10hipError_tPvRmT1_T2_T3_mmT4_T5_P12ihipStream_tbEUlRKyE_EESM_SQ_SR_mSS_SV_bEUlT_E_NS1_11comp_targetILNS1_3genE8ELNS1_11target_archE1030ELNS1_3gpuE2ELNS1_3repE0EEENS1_30default_config_static_selectorELNS0_4arch9wavefront6targetE1EEEvSP_
    .private_segment_fixed_size: 0
    .sgpr_count:     4
    .sgpr_spill_count: 0
    .symbol:         _ZN7rocprim17ROCPRIM_400000_NS6detail17trampoline_kernelINS0_14default_configENS1_29binary_search_config_selectorIyiEEZNS1_14transform_implILb0ES3_S5_N6thrust23THRUST_200600_302600_NS6detail15normal_iteratorINS8_10device_ptrIyEEEENSA_INSB_IiEEEEZNS1_13binary_searchIS3_S5_SD_SD_SF_NS1_16binary_search_opENS9_16wrapped_functionINS0_4lessIvEEbEEEE10hipError_tPvRmT1_T2_T3_mmT4_T5_P12ihipStream_tbEUlRKyE_EESM_SQ_SR_mSS_SV_bEUlT_E_NS1_11comp_targetILNS1_3genE8ELNS1_11target_archE1030ELNS1_3gpuE2ELNS1_3repE0EEENS1_30default_config_static_selectorELNS0_4arch9wavefront6targetE1EEEvSP_.kd
    .uniform_work_group_size: 1
    .uses_dynamic_stack: false
    .vgpr_count:     0
    .vgpr_spill_count: 0
    .wavefront_size: 64
  - .agpr_count:     0
    .args:
      - .offset:         0
        .size:           56
        .value_kind:     by_value
    .group_segment_fixed_size: 0
    .kernarg_segment_align: 8
    .kernarg_segment_size: 56
    .language:       OpenCL C
    .language_version:
      - 2
      - 0
    .max_flat_workgroup_size: 256
    .name:           _ZN7rocprim17ROCPRIM_400000_NS6detail17trampoline_kernelINS0_14default_configENS1_29binary_search_config_selectorIjbEEZNS1_14transform_implILb0ES3_S5_N6thrust23THRUST_200600_302600_NS6detail15normal_iteratorINS8_10device_ptrIjEEEENSA_INSB_IbEEEEZNS1_13binary_searchIS3_S5_SD_SD_SF_NS1_16binary_search_opENS9_16wrapped_functionINS0_4lessIvEEbEEEE10hipError_tPvRmT1_T2_T3_mmT4_T5_P12ihipStream_tbEUlRKjE_EESM_SQ_SR_mSS_SV_bEUlT_E_NS1_11comp_targetILNS1_3genE0ELNS1_11target_archE4294967295ELNS1_3gpuE0ELNS1_3repE0EEENS1_30default_config_static_selectorELNS0_4arch9wavefront6targetE1EEEvSP_
    .private_segment_fixed_size: 0
    .sgpr_count:     4
    .sgpr_spill_count: 0
    .symbol:         _ZN7rocprim17ROCPRIM_400000_NS6detail17trampoline_kernelINS0_14default_configENS1_29binary_search_config_selectorIjbEEZNS1_14transform_implILb0ES3_S5_N6thrust23THRUST_200600_302600_NS6detail15normal_iteratorINS8_10device_ptrIjEEEENSA_INSB_IbEEEEZNS1_13binary_searchIS3_S5_SD_SD_SF_NS1_16binary_search_opENS9_16wrapped_functionINS0_4lessIvEEbEEEE10hipError_tPvRmT1_T2_T3_mmT4_T5_P12ihipStream_tbEUlRKjE_EESM_SQ_SR_mSS_SV_bEUlT_E_NS1_11comp_targetILNS1_3genE0ELNS1_11target_archE4294967295ELNS1_3gpuE0ELNS1_3repE0EEENS1_30default_config_static_selectorELNS0_4arch9wavefront6targetE1EEEvSP_.kd
    .uniform_work_group_size: 1
    .uses_dynamic_stack: false
    .vgpr_count:     0
    .vgpr_spill_count: 0
    .wavefront_size: 64
  - .agpr_count:     0
    .args:
      - .offset:         0
        .size:           56
        .value_kind:     by_value
    .group_segment_fixed_size: 0
    .kernarg_segment_align: 8
    .kernarg_segment_size: 56
    .language:       OpenCL C
    .language_version:
      - 2
      - 0
    .max_flat_workgroup_size: 256
    .name:           _ZN7rocprim17ROCPRIM_400000_NS6detail17trampoline_kernelINS0_14default_configENS1_29binary_search_config_selectorIjbEEZNS1_14transform_implILb0ES3_S5_N6thrust23THRUST_200600_302600_NS6detail15normal_iteratorINS8_10device_ptrIjEEEENSA_INSB_IbEEEEZNS1_13binary_searchIS3_S5_SD_SD_SF_NS1_16binary_search_opENS9_16wrapped_functionINS0_4lessIvEEbEEEE10hipError_tPvRmT1_T2_T3_mmT4_T5_P12ihipStream_tbEUlRKjE_EESM_SQ_SR_mSS_SV_bEUlT_E_NS1_11comp_targetILNS1_3genE5ELNS1_11target_archE942ELNS1_3gpuE9ELNS1_3repE0EEENS1_30default_config_static_selectorELNS0_4arch9wavefront6targetE1EEEvSP_
    .private_segment_fixed_size: 0
    .sgpr_count:     4
    .sgpr_spill_count: 0
    .symbol:         _ZN7rocprim17ROCPRIM_400000_NS6detail17trampoline_kernelINS0_14default_configENS1_29binary_search_config_selectorIjbEEZNS1_14transform_implILb0ES3_S5_N6thrust23THRUST_200600_302600_NS6detail15normal_iteratorINS8_10device_ptrIjEEEENSA_INSB_IbEEEEZNS1_13binary_searchIS3_S5_SD_SD_SF_NS1_16binary_search_opENS9_16wrapped_functionINS0_4lessIvEEbEEEE10hipError_tPvRmT1_T2_T3_mmT4_T5_P12ihipStream_tbEUlRKjE_EESM_SQ_SR_mSS_SV_bEUlT_E_NS1_11comp_targetILNS1_3genE5ELNS1_11target_archE942ELNS1_3gpuE9ELNS1_3repE0EEENS1_30default_config_static_selectorELNS0_4arch9wavefront6targetE1EEEvSP_.kd
    .uniform_work_group_size: 1
    .uses_dynamic_stack: false
    .vgpr_count:     0
    .vgpr_spill_count: 0
    .wavefront_size: 64
  - .agpr_count:     0
    .args:
      - .offset:         0
        .size:           56
        .value_kind:     by_value
      - .offset:         56
        .size:           4
        .value_kind:     hidden_block_count_x
      - .offset:         60
        .size:           4
        .value_kind:     hidden_block_count_y
      - .offset:         64
        .size:           4
        .value_kind:     hidden_block_count_z
      - .offset:         68
        .size:           2
        .value_kind:     hidden_group_size_x
      - .offset:         70
        .size:           2
        .value_kind:     hidden_group_size_y
      - .offset:         72
        .size:           2
        .value_kind:     hidden_group_size_z
      - .offset:         74
        .size:           2
        .value_kind:     hidden_remainder_x
      - .offset:         76
        .size:           2
        .value_kind:     hidden_remainder_y
      - .offset:         78
        .size:           2
        .value_kind:     hidden_remainder_z
      - .offset:         96
        .size:           8
        .value_kind:     hidden_global_offset_x
      - .offset:         104
        .size:           8
        .value_kind:     hidden_global_offset_y
      - .offset:         112
        .size:           8
        .value_kind:     hidden_global_offset_z
      - .offset:         120
        .size:           2
        .value_kind:     hidden_grid_dims
    .group_segment_fixed_size: 0
    .kernarg_segment_align: 8
    .kernarg_segment_size: 312
    .language:       OpenCL C
    .language_version:
      - 2
      - 0
    .max_flat_workgroup_size: 256
    .name:           _ZN7rocprim17ROCPRIM_400000_NS6detail17trampoline_kernelINS0_14default_configENS1_29binary_search_config_selectorIjbEEZNS1_14transform_implILb0ES3_S5_N6thrust23THRUST_200600_302600_NS6detail15normal_iteratorINS8_10device_ptrIjEEEENSA_INSB_IbEEEEZNS1_13binary_searchIS3_S5_SD_SD_SF_NS1_16binary_search_opENS9_16wrapped_functionINS0_4lessIvEEbEEEE10hipError_tPvRmT1_T2_T3_mmT4_T5_P12ihipStream_tbEUlRKjE_EESM_SQ_SR_mSS_SV_bEUlT_E_NS1_11comp_targetILNS1_3genE4ELNS1_11target_archE910ELNS1_3gpuE8ELNS1_3repE0EEENS1_30default_config_static_selectorELNS0_4arch9wavefront6targetE1EEEvSP_
    .private_segment_fixed_size: 0
    .sgpr_count:     22
    .sgpr_spill_count: 0
    .symbol:         _ZN7rocprim17ROCPRIM_400000_NS6detail17trampoline_kernelINS0_14default_configENS1_29binary_search_config_selectorIjbEEZNS1_14transform_implILb0ES3_S5_N6thrust23THRUST_200600_302600_NS6detail15normal_iteratorINS8_10device_ptrIjEEEENSA_INSB_IbEEEEZNS1_13binary_searchIS3_S5_SD_SD_SF_NS1_16binary_search_opENS9_16wrapped_functionINS0_4lessIvEEbEEEE10hipError_tPvRmT1_T2_T3_mmT4_T5_P12ihipStream_tbEUlRKjE_EESM_SQ_SR_mSS_SV_bEUlT_E_NS1_11comp_targetILNS1_3genE4ELNS1_11target_archE910ELNS1_3gpuE8ELNS1_3repE0EEENS1_30default_config_static_selectorELNS0_4arch9wavefront6targetE1EEEvSP_.kd
    .uniform_work_group_size: 1
    .uses_dynamic_stack: false
    .vgpr_count:     12
    .vgpr_spill_count: 0
    .wavefront_size: 64
  - .agpr_count:     0
    .args:
      - .offset:         0
        .size:           56
        .value_kind:     by_value
    .group_segment_fixed_size: 0
    .kernarg_segment_align: 8
    .kernarg_segment_size: 56
    .language:       OpenCL C
    .language_version:
      - 2
      - 0
    .max_flat_workgroup_size: 256
    .name:           _ZN7rocprim17ROCPRIM_400000_NS6detail17trampoline_kernelINS0_14default_configENS1_29binary_search_config_selectorIjbEEZNS1_14transform_implILb0ES3_S5_N6thrust23THRUST_200600_302600_NS6detail15normal_iteratorINS8_10device_ptrIjEEEENSA_INSB_IbEEEEZNS1_13binary_searchIS3_S5_SD_SD_SF_NS1_16binary_search_opENS9_16wrapped_functionINS0_4lessIvEEbEEEE10hipError_tPvRmT1_T2_T3_mmT4_T5_P12ihipStream_tbEUlRKjE_EESM_SQ_SR_mSS_SV_bEUlT_E_NS1_11comp_targetILNS1_3genE3ELNS1_11target_archE908ELNS1_3gpuE7ELNS1_3repE0EEENS1_30default_config_static_selectorELNS0_4arch9wavefront6targetE1EEEvSP_
    .private_segment_fixed_size: 0
    .sgpr_count:     4
    .sgpr_spill_count: 0
    .symbol:         _ZN7rocprim17ROCPRIM_400000_NS6detail17trampoline_kernelINS0_14default_configENS1_29binary_search_config_selectorIjbEEZNS1_14transform_implILb0ES3_S5_N6thrust23THRUST_200600_302600_NS6detail15normal_iteratorINS8_10device_ptrIjEEEENSA_INSB_IbEEEEZNS1_13binary_searchIS3_S5_SD_SD_SF_NS1_16binary_search_opENS9_16wrapped_functionINS0_4lessIvEEbEEEE10hipError_tPvRmT1_T2_T3_mmT4_T5_P12ihipStream_tbEUlRKjE_EESM_SQ_SR_mSS_SV_bEUlT_E_NS1_11comp_targetILNS1_3genE3ELNS1_11target_archE908ELNS1_3gpuE7ELNS1_3repE0EEENS1_30default_config_static_selectorELNS0_4arch9wavefront6targetE1EEEvSP_.kd
    .uniform_work_group_size: 1
    .uses_dynamic_stack: false
    .vgpr_count:     0
    .vgpr_spill_count: 0
    .wavefront_size: 64
  - .agpr_count:     0
    .args:
      - .offset:         0
        .size:           56
        .value_kind:     by_value
    .group_segment_fixed_size: 0
    .kernarg_segment_align: 8
    .kernarg_segment_size: 56
    .language:       OpenCL C
    .language_version:
      - 2
      - 0
    .max_flat_workgroup_size: 256
    .name:           _ZN7rocprim17ROCPRIM_400000_NS6detail17trampoline_kernelINS0_14default_configENS1_29binary_search_config_selectorIjbEEZNS1_14transform_implILb0ES3_S5_N6thrust23THRUST_200600_302600_NS6detail15normal_iteratorINS8_10device_ptrIjEEEENSA_INSB_IbEEEEZNS1_13binary_searchIS3_S5_SD_SD_SF_NS1_16binary_search_opENS9_16wrapped_functionINS0_4lessIvEEbEEEE10hipError_tPvRmT1_T2_T3_mmT4_T5_P12ihipStream_tbEUlRKjE_EESM_SQ_SR_mSS_SV_bEUlT_E_NS1_11comp_targetILNS1_3genE2ELNS1_11target_archE906ELNS1_3gpuE6ELNS1_3repE0EEENS1_30default_config_static_selectorELNS0_4arch9wavefront6targetE1EEEvSP_
    .private_segment_fixed_size: 0
    .sgpr_count:     4
    .sgpr_spill_count: 0
    .symbol:         _ZN7rocprim17ROCPRIM_400000_NS6detail17trampoline_kernelINS0_14default_configENS1_29binary_search_config_selectorIjbEEZNS1_14transform_implILb0ES3_S5_N6thrust23THRUST_200600_302600_NS6detail15normal_iteratorINS8_10device_ptrIjEEEENSA_INSB_IbEEEEZNS1_13binary_searchIS3_S5_SD_SD_SF_NS1_16binary_search_opENS9_16wrapped_functionINS0_4lessIvEEbEEEE10hipError_tPvRmT1_T2_T3_mmT4_T5_P12ihipStream_tbEUlRKjE_EESM_SQ_SR_mSS_SV_bEUlT_E_NS1_11comp_targetILNS1_3genE2ELNS1_11target_archE906ELNS1_3gpuE6ELNS1_3repE0EEENS1_30default_config_static_selectorELNS0_4arch9wavefront6targetE1EEEvSP_.kd
    .uniform_work_group_size: 1
    .uses_dynamic_stack: false
    .vgpr_count:     0
    .vgpr_spill_count: 0
    .wavefront_size: 64
  - .agpr_count:     0
    .args:
      - .offset:         0
        .size:           56
        .value_kind:     by_value
    .group_segment_fixed_size: 0
    .kernarg_segment_align: 8
    .kernarg_segment_size: 56
    .language:       OpenCL C
    .language_version:
      - 2
      - 0
    .max_flat_workgroup_size: 128
    .name:           _ZN7rocprim17ROCPRIM_400000_NS6detail17trampoline_kernelINS0_14default_configENS1_29binary_search_config_selectorIjbEEZNS1_14transform_implILb0ES3_S5_N6thrust23THRUST_200600_302600_NS6detail15normal_iteratorINS8_10device_ptrIjEEEENSA_INSB_IbEEEEZNS1_13binary_searchIS3_S5_SD_SD_SF_NS1_16binary_search_opENS9_16wrapped_functionINS0_4lessIvEEbEEEE10hipError_tPvRmT1_T2_T3_mmT4_T5_P12ihipStream_tbEUlRKjE_EESM_SQ_SR_mSS_SV_bEUlT_E_NS1_11comp_targetILNS1_3genE10ELNS1_11target_archE1201ELNS1_3gpuE5ELNS1_3repE0EEENS1_30default_config_static_selectorELNS0_4arch9wavefront6targetE1EEEvSP_
    .private_segment_fixed_size: 0
    .sgpr_count:     4
    .sgpr_spill_count: 0
    .symbol:         _ZN7rocprim17ROCPRIM_400000_NS6detail17trampoline_kernelINS0_14default_configENS1_29binary_search_config_selectorIjbEEZNS1_14transform_implILb0ES3_S5_N6thrust23THRUST_200600_302600_NS6detail15normal_iteratorINS8_10device_ptrIjEEEENSA_INSB_IbEEEEZNS1_13binary_searchIS3_S5_SD_SD_SF_NS1_16binary_search_opENS9_16wrapped_functionINS0_4lessIvEEbEEEE10hipError_tPvRmT1_T2_T3_mmT4_T5_P12ihipStream_tbEUlRKjE_EESM_SQ_SR_mSS_SV_bEUlT_E_NS1_11comp_targetILNS1_3genE10ELNS1_11target_archE1201ELNS1_3gpuE5ELNS1_3repE0EEENS1_30default_config_static_selectorELNS0_4arch9wavefront6targetE1EEEvSP_.kd
    .uniform_work_group_size: 1
    .uses_dynamic_stack: false
    .vgpr_count:     0
    .vgpr_spill_count: 0
    .wavefront_size: 64
  - .agpr_count:     0
    .args:
      - .offset:         0
        .size:           56
        .value_kind:     by_value
    .group_segment_fixed_size: 0
    .kernarg_segment_align: 8
    .kernarg_segment_size: 56
    .language:       OpenCL C
    .language_version:
      - 2
      - 0
    .max_flat_workgroup_size: 128
    .name:           _ZN7rocprim17ROCPRIM_400000_NS6detail17trampoline_kernelINS0_14default_configENS1_29binary_search_config_selectorIjbEEZNS1_14transform_implILb0ES3_S5_N6thrust23THRUST_200600_302600_NS6detail15normal_iteratorINS8_10device_ptrIjEEEENSA_INSB_IbEEEEZNS1_13binary_searchIS3_S5_SD_SD_SF_NS1_16binary_search_opENS9_16wrapped_functionINS0_4lessIvEEbEEEE10hipError_tPvRmT1_T2_T3_mmT4_T5_P12ihipStream_tbEUlRKjE_EESM_SQ_SR_mSS_SV_bEUlT_E_NS1_11comp_targetILNS1_3genE10ELNS1_11target_archE1200ELNS1_3gpuE4ELNS1_3repE0EEENS1_30default_config_static_selectorELNS0_4arch9wavefront6targetE1EEEvSP_
    .private_segment_fixed_size: 0
    .sgpr_count:     4
    .sgpr_spill_count: 0
    .symbol:         _ZN7rocprim17ROCPRIM_400000_NS6detail17trampoline_kernelINS0_14default_configENS1_29binary_search_config_selectorIjbEEZNS1_14transform_implILb0ES3_S5_N6thrust23THRUST_200600_302600_NS6detail15normal_iteratorINS8_10device_ptrIjEEEENSA_INSB_IbEEEEZNS1_13binary_searchIS3_S5_SD_SD_SF_NS1_16binary_search_opENS9_16wrapped_functionINS0_4lessIvEEbEEEE10hipError_tPvRmT1_T2_T3_mmT4_T5_P12ihipStream_tbEUlRKjE_EESM_SQ_SR_mSS_SV_bEUlT_E_NS1_11comp_targetILNS1_3genE10ELNS1_11target_archE1200ELNS1_3gpuE4ELNS1_3repE0EEENS1_30default_config_static_selectorELNS0_4arch9wavefront6targetE1EEEvSP_.kd
    .uniform_work_group_size: 1
    .uses_dynamic_stack: false
    .vgpr_count:     0
    .vgpr_spill_count: 0
    .wavefront_size: 64
  - .agpr_count:     0
    .args:
      - .offset:         0
        .size:           56
        .value_kind:     by_value
    .group_segment_fixed_size: 0
    .kernarg_segment_align: 8
    .kernarg_segment_size: 56
    .language:       OpenCL C
    .language_version:
      - 2
      - 0
    .max_flat_workgroup_size: 256
    .name:           _ZN7rocprim17ROCPRIM_400000_NS6detail17trampoline_kernelINS0_14default_configENS1_29binary_search_config_selectorIjbEEZNS1_14transform_implILb0ES3_S5_N6thrust23THRUST_200600_302600_NS6detail15normal_iteratorINS8_10device_ptrIjEEEENSA_INSB_IbEEEEZNS1_13binary_searchIS3_S5_SD_SD_SF_NS1_16binary_search_opENS9_16wrapped_functionINS0_4lessIvEEbEEEE10hipError_tPvRmT1_T2_T3_mmT4_T5_P12ihipStream_tbEUlRKjE_EESM_SQ_SR_mSS_SV_bEUlT_E_NS1_11comp_targetILNS1_3genE9ELNS1_11target_archE1100ELNS1_3gpuE3ELNS1_3repE0EEENS1_30default_config_static_selectorELNS0_4arch9wavefront6targetE1EEEvSP_
    .private_segment_fixed_size: 0
    .sgpr_count:     4
    .sgpr_spill_count: 0
    .symbol:         _ZN7rocprim17ROCPRIM_400000_NS6detail17trampoline_kernelINS0_14default_configENS1_29binary_search_config_selectorIjbEEZNS1_14transform_implILb0ES3_S5_N6thrust23THRUST_200600_302600_NS6detail15normal_iteratorINS8_10device_ptrIjEEEENSA_INSB_IbEEEEZNS1_13binary_searchIS3_S5_SD_SD_SF_NS1_16binary_search_opENS9_16wrapped_functionINS0_4lessIvEEbEEEE10hipError_tPvRmT1_T2_T3_mmT4_T5_P12ihipStream_tbEUlRKjE_EESM_SQ_SR_mSS_SV_bEUlT_E_NS1_11comp_targetILNS1_3genE9ELNS1_11target_archE1100ELNS1_3gpuE3ELNS1_3repE0EEENS1_30default_config_static_selectorELNS0_4arch9wavefront6targetE1EEEvSP_.kd
    .uniform_work_group_size: 1
    .uses_dynamic_stack: false
    .vgpr_count:     0
    .vgpr_spill_count: 0
    .wavefront_size: 64
  - .agpr_count:     0
    .args:
      - .offset:         0
        .size:           56
        .value_kind:     by_value
    .group_segment_fixed_size: 0
    .kernarg_segment_align: 8
    .kernarg_segment_size: 56
    .language:       OpenCL C
    .language_version:
      - 2
      - 0
    .max_flat_workgroup_size: 256
    .name:           _ZN7rocprim17ROCPRIM_400000_NS6detail17trampoline_kernelINS0_14default_configENS1_29binary_search_config_selectorIjbEEZNS1_14transform_implILb0ES3_S5_N6thrust23THRUST_200600_302600_NS6detail15normal_iteratorINS8_10device_ptrIjEEEENSA_INSB_IbEEEEZNS1_13binary_searchIS3_S5_SD_SD_SF_NS1_16binary_search_opENS9_16wrapped_functionINS0_4lessIvEEbEEEE10hipError_tPvRmT1_T2_T3_mmT4_T5_P12ihipStream_tbEUlRKjE_EESM_SQ_SR_mSS_SV_bEUlT_E_NS1_11comp_targetILNS1_3genE8ELNS1_11target_archE1030ELNS1_3gpuE2ELNS1_3repE0EEENS1_30default_config_static_selectorELNS0_4arch9wavefront6targetE1EEEvSP_
    .private_segment_fixed_size: 0
    .sgpr_count:     4
    .sgpr_spill_count: 0
    .symbol:         _ZN7rocprim17ROCPRIM_400000_NS6detail17trampoline_kernelINS0_14default_configENS1_29binary_search_config_selectorIjbEEZNS1_14transform_implILb0ES3_S5_N6thrust23THRUST_200600_302600_NS6detail15normal_iteratorINS8_10device_ptrIjEEEENSA_INSB_IbEEEEZNS1_13binary_searchIS3_S5_SD_SD_SF_NS1_16binary_search_opENS9_16wrapped_functionINS0_4lessIvEEbEEEE10hipError_tPvRmT1_T2_T3_mmT4_T5_P12ihipStream_tbEUlRKjE_EESM_SQ_SR_mSS_SV_bEUlT_E_NS1_11comp_targetILNS1_3genE8ELNS1_11target_archE1030ELNS1_3gpuE2ELNS1_3repE0EEENS1_30default_config_static_selectorELNS0_4arch9wavefront6targetE1EEEvSP_.kd
    .uniform_work_group_size: 1
    .uses_dynamic_stack: false
    .vgpr_count:     0
    .vgpr_spill_count: 0
    .wavefront_size: 64
  - .agpr_count:     0
    .args:
      - .offset:         0
        .size:           56
        .value_kind:     by_value
    .group_segment_fixed_size: 0
    .kernarg_segment_align: 8
    .kernarg_segment_size: 56
    .language:       OpenCL C
    .language_version:
      - 2
      - 0
    .max_flat_workgroup_size: 256
    .name:           _ZN7rocprim17ROCPRIM_400000_NS6detail17trampoline_kernelINS0_14default_configENS1_29binary_search_config_selectorIjiEEZNS1_14transform_implILb0ES3_S5_N6thrust23THRUST_200600_302600_NS6detail15normal_iteratorINS8_10device_ptrIjEEEENSA_INSB_IiEEEEZNS1_13binary_searchIS3_S5_SD_SD_SF_NS1_16binary_search_opENS9_16wrapped_functionINS0_4lessIvEEbEEEE10hipError_tPvRmT1_T2_T3_mmT4_T5_P12ihipStream_tbEUlRKjE_EESM_SQ_SR_mSS_SV_bEUlT_E_NS1_11comp_targetILNS1_3genE0ELNS1_11target_archE4294967295ELNS1_3gpuE0ELNS1_3repE0EEENS1_30default_config_static_selectorELNS0_4arch9wavefront6targetE1EEEvSP_
    .private_segment_fixed_size: 0
    .sgpr_count:     4
    .sgpr_spill_count: 0
    .symbol:         _ZN7rocprim17ROCPRIM_400000_NS6detail17trampoline_kernelINS0_14default_configENS1_29binary_search_config_selectorIjiEEZNS1_14transform_implILb0ES3_S5_N6thrust23THRUST_200600_302600_NS6detail15normal_iteratorINS8_10device_ptrIjEEEENSA_INSB_IiEEEEZNS1_13binary_searchIS3_S5_SD_SD_SF_NS1_16binary_search_opENS9_16wrapped_functionINS0_4lessIvEEbEEEE10hipError_tPvRmT1_T2_T3_mmT4_T5_P12ihipStream_tbEUlRKjE_EESM_SQ_SR_mSS_SV_bEUlT_E_NS1_11comp_targetILNS1_3genE0ELNS1_11target_archE4294967295ELNS1_3gpuE0ELNS1_3repE0EEENS1_30default_config_static_selectorELNS0_4arch9wavefront6targetE1EEEvSP_.kd
    .uniform_work_group_size: 1
    .uses_dynamic_stack: false
    .vgpr_count:     0
    .vgpr_spill_count: 0
    .wavefront_size: 64
  - .agpr_count:     0
    .args:
      - .offset:         0
        .size:           56
        .value_kind:     by_value
    .group_segment_fixed_size: 0
    .kernarg_segment_align: 8
    .kernarg_segment_size: 56
    .language:       OpenCL C
    .language_version:
      - 2
      - 0
    .max_flat_workgroup_size: 256
    .name:           _ZN7rocprim17ROCPRIM_400000_NS6detail17trampoline_kernelINS0_14default_configENS1_29binary_search_config_selectorIjiEEZNS1_14transform_implILb0ES3_S5_N6thrust23THRUST_200600_302600_NS6detail15normal_iteratorINS8_10device_ptrIjEEEENSA_INSB_IiEEEEZNS1_13binary_searchIS3_S5_SD_SD_SF_NS1_16binary_search_opENS9_16wrapped_functionINS0_4lessIvEEbEEEE10hipError_tPvRmT1_T2_T3_mmT4_T5_P12ihipStream_tbEUlRKjE_EESM_SQ_SR_mSS_SV_bEUlT_E_NS1_11comp_targetILNS1_3genE5ELNS1_11target_archE942ELNS1_3gpuE9ELNS1_3repE0EEENS1_30default_config_static_selectorELNS0_4arch9wavefront6targetE1EEEvSP_
    .private_segment_fixed_size: 0
    .sgpr_count:     4
    .sgpr_spill_count: 0
    .symbol:         _ZN7rocprim17ROCPRIM_400000_NS6detail17trampoline_kernelINS0_14default_configENS1_29binary_search_config_selectorIjiEEZNS1_14transform_implILb0ES3_S5_N6thrust23THRUST_200600_302600_NS6detail15normal_iteratorINS8_10device_ptrIjEEEENSA_INSB_IiEEEEZNS1_13binary_searchIS3_S5_SD_SD_SF_NS1_16binary_search_opENS9_16wrapped_functionINS0_4lessIvEEbEEEE10hipError_tPvRmT1_T2_T3_mmT4_T5_P12ihipStream_tbEUlRKjE_EESM_SQ_SR_mSS_SV_bEUlT_E_NS1_11comp_targetILNS1_3genE5ELNS1_11target_archE942ELNS1_3gpuE9ELNS1_3repE0EEENS1_30default_config_static_selectorELNS0_4arch9wavefront6targetE1EEEvSP_.kd
    .uniform_work_group_size: 1
    .uses_dynamic_stack: false
    .vgpr_count:     0
    .vgpr_spill_count: 0
    .wavefront_size: 64
  - .agpr_count:     0
    .args:
      - .offset:         0
        .size:           56
        .value_kind:     by_value
      - .offset:         56
        .size:           4
        .value_kind:     hidden_block_count_x
      - .offset:         60
        .size:           4
        .value_kind:     hidden_block_count_y
      - .offset:         64
        .size:           4
        .value_kind:     hidden_block_count_z
      - .offset:         68
        .size:           2
        .value_kind:     hidden_group_size_x
      - .offset:         70
        .size:           2
        .value_kind:     hidden_group_size_y
      - .offset:         72
        .size:           2
        .value_kind:     hidden_group_size_z
      - .offset:         74
        .size:           2
        .value_kind:     hidden_remainder_x
      - .offset:         76
        .size:           2
        .value_kind:     hidden_remainder_y
      - .offset:         78
        .size:           2
        .value_kind:     hidden_remainder_z
      - .offset:         96
        .size:           8
        .value_kind:     hidden_global_offset_x
      - .offset:         104
        .size:           8
        .value_kind:     hidden_global_offset_y
      - .offset:         112
        .size:           8
        .value_kind:     hidden_global_offset_z
      - .offset:         120
        .size:           2
        .value_kind:     hidden_grid_dims
    .group_segment_fixed_size: 0
    .kernarg_segment_align: 8
    .kernarg_segment_size: 312
    .language:       OpenCL C
    .language_version:
      - 2
      - 0
    .max_flat_workgroup_size: 256
    .name:           _ZN7rocprim17ROCPRIM_400000_NS6detail17trampoline_kernelINS0_14default_configENS1_29binary_search_config_selectorIjiEEZNS1_14transform_implILb0ES3_S5_N6thrust23THRUST_200600_302600_NS6detail15normal_iteratorINS8_10device_ptrIjEEEENSA_INSB_IiEEEEZNS1_13binary_searchIS3_S5_SD_SD_SF_NS1_16binary_search_opENS9_16wrapped_functionINS0_4lessIvEEbEEEE10hipError_tPvRmT1_T2_T3_mmT4_T5_P12ihipStream_tbEUlRKjE_EESM_SQ_SR_mSS_SV_bEUlT_E_NS1_11comp_targetILNS1_3genE4ELNS1_11target_archE910ELNS1_3gpuE8ELNS1_3repE0EEENS1_30default_config_static_selectorELNS0_4arch9wavefront6targetE1EEEvSP_
    .private_segment_fixed_size: 0
    .sgpr_count:     20
    .sgpr_spill_count: 0
    .symbol:         _ZN7rocprim17ROCPRIM_400000_NS6detail17trampoline_kernelINS0_14default_configENS1_29binary_search_config_selectorIjiEEZNS1_14transform_implILb0ES3_S5_N6thrust23THRUST_200600_302600_NS6detail15normal_iteratorINS8_10device_ptrIjEEEENSA_INSB_IiEEEEZNS1_13binary_searchIS3_S5_SD_SD_SF_NS1_16binary_search_opENS9_16wrapped_functionINS0_4lessIvEEbEEEE10hipError_tPvRmT1_T2_T3_mmT4_T5_P12ihipStream_tbEUlRKjE_EESM_SQ_SR_mSS_SV_bEUlT_E_NS1_11comp_targetILNS1_3genE4ELNS1_11target_archE910ELNS1_3gpuE8ELNS1_3repE0EEENS1_30default_config_static_selectorELNS0_4arch9wavefront6targetE1EEEvSP_.kd
    .uniform_work_group_size: 1
    .uses_dynamic_stack: false
    .vgpr_count:     13
    .vgpr_spill_count: 0
    .wavefront_size: 64
  - .agpr_count:     0
    .args:
      - .offset:         0
        .size:           56
        .value_kind:     by_value
    .group_segment_fixed_size: 0
    .kernarg_segment_align: 8
    .kernarg_segment_size: 56
    .language:       OpenCL C
    .language_version:
      - 2
      - 0
    .max_flat_workgroup_size: 256
    .name:           _ZN7rocprim17ROCPRIM_400000_NS6detail17trampoline_kernelINS0_14default_configENS1_29binary_search_config_selectorIjiEEZNS1_14transform_implILb0ES3_S5_N6thrust23THRUST_200600_302600_NS6detail15normal_iteratorINS8_10device_ptrIjEEEENSA_INSB_IiEEEEZNS1_13binary_searchIS3_S5_SD_SD_SF_NS1_16binary_search_opENS9_16wrapped_functionINS0_4lessIvEEbEEEE10hipError_tPvRmT1_T2_T3_mmT4_T5_P12ihipStream_tbEUlRKjE_EESM_SQ_SR_mSS_SV_bEUlT_E_NS1_11comp_targetILNS1_3genE3ELNS1_11target_archE908ELNS1_3gpuE7ELNS1_3repE0EEENS1_30default_config_static_selectorELNS0_4arch9wavefront6targetE1EEEvSP_
    .private_segment_fixed_size: 0
    .sgpr_count:     4
    .sgpr_spill_count: 0
    .symbol:         _ZN7rocprim17ROCPRIM_400000_NS6detail17trampoline_kernelINS0_14default_configENS1_29binary_search_config_selectorIjiEEZNS1_14transform_implILb0ES3_S5_N6thrust23THRUST_200600_302600_NS6detail15normal_iteratorINS8_10device_ptrIjEEEENSA_INSB_IiEEEEZNS1_13binary_searchIS3_S5_SD_SD_SF_NS1_16binary_search_opENS9_16wrapped_functionINS0_4lessIvEEbEEEE10hipError_tPvRmT1_T2_T3_mmT4_T5_P12ihipStream_tbEUlRKjE_EESM_SQ_SR_mSS_SV_bEUlT_E_NS1_11comp_targetILNS1_3genE3ELNS1_11target_archE908ELNS1_3gpuE7ELNS1_3repE0EEENS1_30default_config_static_selectorELNS0_4arch9wavefront6targetE1EEEvSP_.kd
    .uniform_work_group_size: 1
    .uses_dynamic_stack: false
    .vgpr_count:     0
    .vgpr_spill_count: 0
    .wavefront_size: 64
  - .agpr_count:     0
    .args:
      - .offset:         0
        .size:           56
        .value_kind:     by_value
    .group_segment_fixed_size: 0
    .kernarg_segment_align: 8
    .kernarg_segment_size: 56
    .language:       OpenCL C
    .language_version:
      - 2
      - 0
    .max_flat_workgroup_size: 256
    .name:           _ZN7rocprim17ROCPRIM_400000_NS6detail17trampoline_kernelINS0_14default_configENS1_29binary_search_config_selectorIjiEEZNS1_14transform_implILb0ES3_S5_N6thrust23THRUST_200600_302600_NS6detail15normal_iteratorINS8_10device_ptrIjEEEENSA_INSB_IiEEEEZNS1_13binary_searchIS3_S5_SD_SD_SF_NS1_16binary_search_opENS9_16wrapped_functionINS0_4lessIvEEbEEEE10hipError_tPvRmT1_T2_T3_mmT4_T5_P12ihipStream_tbEUlRKjE_EESM_SQ_SR_mSS_SV_bEUlT_E_NS1_11comp_targetILNS1_3genE2ELNS1_11target_archE906ELNS1_3gpuE6ELNS1_3repE0EEENS1_30default_config_static_selectorELNS0_4arch9wavefront6targetE1EEEvSP_
    .private_segment_fixed_size: 0
    .sgpr_count:     4
    .sgpr_spill_count: 0
    .symbol:         _ZN7rocprim17ROCPRIM_400000_NS6detail17trampoline_kernelINS0_14default_configENS1_29binary_search_config_selectorIjiEEZNS1_14transform_implILb0ES3_S5_N6thrust23THRUST_200600_302600_NS6detail15normal_iteratorINS8_10device_ptrIjEEEENSA_INSB_IiEEEEZNS1_13binary_searchIS3_S5_SD_SD_SF_NS1_16binary_search_opENS9_16wrapped_functionINS0_4lessIvEEbEEEE10hipError_tPvRmT1_T2_T3_mmT4_T5_P12ihipStream_tbEUlRKjE_EESM_SQ_SR_mSS_SV_bEUlT_E_NS1_11comp_targetILNS1_3genE2ELNS1_11target_archE906ELNS1_3gpuE6ELNS1_3repE0EEENS1_30default_config_static_selectorELNS0_4arch9wavefront6targetE1EEEvSP_.kd
    .uniform_work_group_size: 1
    .uses_dynamic_stack: false
    .vgpr_count:     0
    .vgpr_spill_count: 0
    .wavefront_size: 64
  - .agpr_count:     0
    .args:
      - .offset:         0
        .size:           56
        .value_kind:     by_value
    .group_segment_fixed_size: 0
    .kernarg_segment_align: 8
    .kernarg_segment_size: 56
    .language:       OpenCL C
    .language_version:
      - 2
      - 0
    .max_flat_workgroup_size: 128
    .name:           _ZN7rocprim17ROCPRIM_400000_NS6detail17trampoline_kernelINS0_14default_configENS1_29binary_search_config_selectorIjiEEZNS1_14transform_implILb0ES3_S5_N6thrust23THRUST_200600_302600_NS6detail15normal_iteratorINS8_10device_ptrIjEEEENSA_INSB_IiEEEEZNS1_13binary_searchIS3_S5_SD_SD_SF_NS1_16binary_search_opENS9_16wrapped_functionINS0_4lessIvEEbEEEE10hipError_tPvRmT1_T2_T3_mmT4_T5_P12ihipStream_tbEUlRKjE_EESM_SQ_SR_mSS_SV_bEUlT_E_NS1_11comp_targetILNS1_3genE10ELNS1_11target_archE1201ELNS1_3gpuE5ELNS1_3repE0EEENS1_30default_config_static_selectorELNS0_4arch9wavefront6targetE1EEEvSP_
    .private_segment_fixed_size: 0
    .sgpr_count:     4
    .sgpr_spill_count: 0
    .symbol:         _ZN7rocprim17ROCPRIM_400000_NS6detail17trampoline_kernelINS0_14default_configENS1_29binary_search_config_selectorIjiEEZNS1_14transform_implILb0ES3_S5_N6thrust23THRUST_200600_302600_NS6detail15normal_iteratorINS8_10device_ptrIjEEEENSA_INSB_IiEEEEZNS1_13binary_searchIS3_S5_SD_SD_SF_NS1_16binary_search_opENS9_16wrapped_functionINS0_4lessIvEEbEEEE10hipError_tPvRmT1_T2_T3_mmT4_T5_P12ihipStream_tbEUlRKjE_EESM_SQ_SR_mSS_SV_bEUlT_E_NS1_11comp_targetILNS1_3genE10ELNS1_11target_archE1201ELNS1_3gpuE5ELNS1_3repE0EEENS1_30default_config_static_selectorELNS0_4arch9wavefront6targetE1EEEvSP_.kd
    .uniform_work_group_size: 1
    .uses_dynamic_stack: false
    .vgpr_count:     0
    .vgpr_spill_count: 0
    .wavefront_size: 64
  - .agpr_count:     0
    .args:
      - .offset:         0
        .size:           56
        .value_kind:     by_value
    .group_segment_fixed_size: 0
    .kernarg_segment_align: 8
    .kernarg_segment_size: 56
    .language:       OpenCL C
    .language_version:
      - 2
      - 0
    .max_flat_workgroup_size: 128
    .name:           _ZN7rocprim17ROCPRIM_400000_NS6detail17trampoline_kernelINS0_14default_configENS1_29binary_search_config_selectorIjiEEZNS1_14transform_implILb0ES3_S5_N6thrust23THRUST_200600_302600_NS6detail15normal_iteratorINS8_10device_ptrIjEEEENSA_INSB_IiEEEEZNS1_13binary_searchIS3_S5_SD_SD_SF_NS1_16binary_search_opENS9_16wrapped_functionINS0_4lessIvEEbEEEE10hipError_tPvRmT1_T2_T3_mmT4_T5_P12ihipStream_tbEUlRKjE_EESM_SQ_SR_mSS_SV_bEUlT_E_NS1_11comp_targetILNS1_3genE10ELNS1_11target_archE1200ELNS1_3gpuE4ELNS1_3repE0EEENS1_30default_config_static_selectorELNS0_4arch9wavefront6targetE1EEEvSP_
    .private_segment_fixed_size: 0
    .sgpr_count:     4
    .sgpr_spill_count: 0
    .symbol:         _ZN7rocprim17ROCPRIM_400000_NS6detail17trampoline_kernelINS0_14default_configENS1_29binary_search_config_selectorIjiEEZNS1_14transform_implILb0ES3_S5_N6thrust23THRUST_200600_302600_NS6detail15normal_iteratorINS8_10device_ptrIjEEEENSA_INSB_IiEEEEZNS1_13binary_searchIS3_S5_SD_SD_SF_NS1_16binary_search_opENS9_16wrapped_functionINS0_4lessIvEEbEEEE10hipError_tPvRmT1_T2_T3_mmT4_T5_P12ihipStream_tbEUlRKjE_EESM_SQ_SR_mSS_SV_bEUlT_E_NS1_11comp_targetILNS1_3genE10ELNS1_11target_archE1200ELNS1_3gpuE4ELNS1_3repE0EEENS1_30default_config_static_selectorELNS0_4arch9wavefront6targetE1EEEvSP_.kd
    .uniform_work_group_size: 1
    .uses_dynamic_stack: false
    .vgpr_count:     0
    .vgpr_spill_count: 0
    .wavefront_size: 64
  - .agpr_count:     0
    .args:
      - .offset:         0
        .size:           56
        .value_kind:     by_value
    .group_segment_fixed_size: 0
    .kernarg_segment_align: 8
    .kernarg_segment_size: 56
    .language:       OpenCL C
    .language_version:
      - 2
      - 0
    .max_flat_workgroup_size: 256
    .name:           _ZN7rocprim17ROCPRIM_400000_NS6detail17trampoline_kernelINS0_14default_configENS1_29binary_search_config_selectorIjiEEZNS1_14transform_implILb0ES3_S5_N6thrust23THRUST_200600_302600_NS6detail15normal_iteratorINS8_10device_ptrIjEEEENSA_INSB_IiEEEEZNS1_13binary_searchIS3_S5_SD_SD_SF_NS1_16binary_search_opENS9_16wrapped_functionINS0_4lessIvEEbEEEE10hipError_tPvRmT1_T2_T3_mmT4_T5_P12ihipStream_tbEUlRKjE_EESM_SQ_SR_mSS_SV_bEUlT_E_NS1_11comp_targetILNS1_3genE9ELNS1_11target_archE1100ELNS1_3gpuE3ELNS1_3repE0EEENS1_30default_config_static_selectorELNS0_4arch9wavefront6targetE1EEEvSP_
    .private_segment_fixed_size: 0
    .sgpr_count:     4
    .sgpr_spill_count: 0
    .symbol:         _ZN7rocprim17ROCPRIM_400000_NS6detail17trampoline_kernelINS0_14default_configENS1_29binary_search_config_selectorIjiEEZNS1_14transform_implILb0ES3_S5_N6thrust23THRUST_200600_302600_NS6detail15normal_iteratorINS8_10device_ptrIjEEEENSA_INSB_IiEEEEZNS1_13binary_searchIS3_S5_SD_SD_SF_NS1_16binary_search_opENS9_16wrapped_functionINS0_4lessIvEEbEEEE10hipError_tPvRmT1_T2_T3_mmT4_T5_P12ihipStream_tbEUlRKjE_EESM_SQ_SR_mSS_SV_bEUlT_E_NS1_11comp_targetILNS1_3genE9ELNS1_11target_archE1100ELNS1_3gpuE3ELNS1_3repE0EEENS1_30default_config_static_selectorELNS0_4arch9wavefront6targetE1EEEvSP_.kd
    .uniform_work_group_size: 1
    .uses_dynamic_stack: false
    .vgpr_count:     0
    .vgpr_spill_count: 0
    .wavefront_size: 64
  - .agpr_count:     0
    .args:
      - .offset:         0
        .size:           56
        .value_kind:     by_value
    .group_segment_fixed_size: 0
    .kernarg_segment_align: 8
    .kernarg_segment_size: 56
    .language:       OpenCL C
    .language_version:
      - 2
      - 0
    .max_flat_workgroup_size: 256
    .name:           _ZN7rocprim17ROCPRIM_400000_NS6detail17trampoline_kernelINS0_14default_configENS1_29binary_search_config_selectorIjiEEZNS1_14transform_implILb0ES3_S5_N6thrust23THRUST_200600_302600_NS6detail15normal_iteratorINS8_10device_ptrIjEEEENSA_INSB_IiEEEEZNS1_13binary_searchIS3_S5_SD_SD_SF_NS1_16binary_search_opENS9_16wrapped_functionINS0_4lessIvEEbEEEE10hipError_tPvRmT1_T2_T3_mmT4_T5_P12ihipStream_tbEUlRKjE_EESM_SQ_SR_mSS_SV_bEUlT_E_NS1_11comp_targetILNS1_3genE8ELNS1_11target_archE1030ELNS1_3gpuE2ELNS1_3repE0EEENS1_30default_config_static_selectorELNS0_4arch9wavefront6targetE1EEEvSP_
    .private_segment_fixed_size: 0
    .sgpr_count:     4
    .sgpr_spill_count: 0
    .symbol:         _ZN7rocprim17ROCPRIM_400000_NS6detail17trampoline_kernelINS0_14default_configENS1_29binary_search_config_selectorIjiEEZNS1_14transform_implILb0ES3_S5_N6thrust23THRUST_200600_302600_NS6detail15normal_iteratorINS8_10device_ptrIjEEEENSA_INSB_IiEEEEZNS1_13binary_searchIS3_S5_SD_SD_SF_NS1_16binary_search_opENS9_16wrapped_functionINS0_4lessIvEEbEEEE10hipError_tPvRmT1_T2_T3_mmT4_T5_P12ihipStream_tbEUlRKjE_EESM_SQ_SR_mSS_SV_bEUlT_E_NS1_11comp_targetILNS1_3genE8ELNS1_11target_archE1030ELNS1_3gpuE2ELNS1_3repE0EEENS1_30default_config_static_selectorELNS0_4arch9wavefront6targetE1EEEvSP_.kd
    .uniform_work_group_size: 1
    .uses_dynamic_stack: false
    .vgpr_count:     0
    .vgpr_spill_count: 0
    .wavefront_size: 64
  - .agpr_count:     0
    .args:
      - .offset:         0
        .size:           56
        .value_kind:     by_value
    .group_segment_fixed_size: 0
    .kernarg_segment_align: 8
    .kernarg_segment_size: 56
    .language:       OpenCL C
    .language_version:
      - 2
      - 0
    .max_flat_workgroup_size: 128
    .name:           _ZN7rocprim17ROCPRIM_400000_NS6detail17trampoline_kernelINS0_14default_configENS1_29binary_search_config_selectorItbEEZNS1_14transform_implILb0ES3_S5_N6thrust23THRUST_200600_302600_NS6detail15normal_iteratorINS8_10device_ptrItEEEENSA_INSB_IbEEEEZNS1_13binary_searchIS3_S5_SD_SD_SF_NS1_16binary_search_opENS9_16wrapped_functionINS0_4lessIvEEbEEEE10hipError_tPvRmT1_T2_T3_mmT4_T5_P12ihipStream_tbEUlRKtE_EESM_SQ_SR_mSS_SV_bEUlT_E_NS1_11comp_targetILNS1_3genE0ELNS1_11target_archE4294967295ELNS1_3gpuE0ELNS1_3repE0EEENS1_30default_config_static_selectorELNS0_4arch9wavefront6targetE1EEEvSP_
    .private_segment_fixed_size: 0
    .sgpr_count:     4
    .sgpr_spill_count: 0
    .symbol:         _ZN7rocprim17ROCPRIM_400000_NS6detail17trampoline_kernelINS0_14default_configENS1_29binary_search_config_selectorItbEEZNS1_14transform_implILb0ES3_S5_N6thrust23THRUST_200600_302600_NS6detail15normal_iteratorINS8_10device_ptrItEEEENSA_INSB_IbEEEEZNS1_13binary_searchIS3_S5_SD_SD_SF_NS1_16binary_search_opENS9_16wrapped_functionINS0_4lessIvEEbEEEE10hipError_tPvRmT1_T2_T3_mmT4_T5_P12ihipStream_tbEUlRKtE_EESM_SQ_SR_mSS_SV_bEUlT_E_NS1_11comp_targetILNS1_3genE0ELNS1_11target_archE4294967295ELNS1_3gpuE0ELNS1_3repE0EEENS1_30default_config_static_selectorELNS0_4arch9wavefront6targetE1EEEvSP_.kd
    .uniform_work_group_size: 1
    .uses_dynamic_stack: false
    .vgpr_count:     0
    .vgpr_spill_count: 0
    .wavefront_size: 64
  - .agpr_count:     0
    .args:
      - .offset:         0
        .size:           56
        .value_kind:     by_value
    .group_segment_fixed_size: 0
    .kernarg_segment_align: 8
    .kernarg_segment_size: 56
    .language:       OpenCL C
    .language_version:
      - 2
      - 0
    .max_flat_workgroup_size: 256
    .name:           _ZN7rocprim17ROCPRIM_400000_NS6detail17trampoline_kernelINS0_14default_configENS1_29binary_search_config_selectorItbEEZNS1_14transform_implILb0ES3_S5_N6thrust23THRUST_200600_302600_NS6detail15normal_iteratorINS8_10device_ptrItEEEENSA_INSB_IbEEEEZNS1_13binary_searchIS3_S5_SD_SD_SF_NS1_16binary_search_opENS9_16wrapped_functionINS0_4lessIvEEbEEEE10hipError_tPvRmT1_T2_T3_mmT4_T5_P12ihipStream_tbEUlRKtE_EESM_SQ_SR_mSS_SV_bEUlT_E_NS1_11comp_targetILNS1_3genE5ELNS1_11target_archE942ELNS1_3gpuE9ELNS1_3repE0EEENS1_30default_config_static_selectorELNS0_4arch9wavefront6targetE1EEEvSP_
    .private_segment_fixed_size: 0
    .sgpr_count:     4
    .sgpr_spill_count: 0
    .symbol:         _ZN7rocprim17ROCPRIM_400000_NS6detail17trampoline_kernelINS0_14default_configENS1_29binary_search_config_selectorItbEEZNS1_14transform_implILb0ES3_S5_N6thrust23THRUST_200600_302600_NS6detail15normal_iteratorINS8_10device_ptrItEEEENSA_INSB_IbEEEEZNS1_13binary_searchIS3_S5_SD_SD_SF_NS1_16binary_search_opENS9_16wrapped_functionINS0_4lessIvEEbEEEE10hipError_tPvRmT1_T2_T3_mmT4_T5_P12ihipStream_tbEUlRKtE_EESM_SQ_SR_mSS_SV_bEUlT_E_NS1_11comp_targetILNS1_3genE5ELNS1_11target_archE942ELNS1_3gpuE9ELNS1_3repE0EEENS1_30default_config_static_selectorELNS0_4arch9wavefront6targetE1EEEvSP_.kd
    .uniform_work_group_size: 1
    .uses_dynamic_stack: false
    .vgpr_count:     0
    .vgpr_spill_count: 0
    .wavefront_size: 64
  - .agpr_count:     0
    .args:
      - .offset:         0
        .size:           56
        .value_kind:     by_value
      - .offset:         56
        .size:           4
        .value_kind:     hidden_block_count_x
      - .offset:         60
        .size:           4
        .value_kind:     hidden_block_count_y
      - .offset:         64
        .size:           4
        .value_kind:     hidden_block_count_z
      - .offset:         68
        .size:           2
        .value_kind:     hidden_group_size_x
      - .offset:         70
        .size:           2
        .value_kind:     hidden_group_size_y
      - .offset:         72
        .size:           2
        .value_kind:     hidden_group_size_z
      - .offset:         74
        .size:           2
        .value_kind:     hidden_remainder_x
      - .offset:         76
        .size:           2
        .value_kind:     hidden_remainder_y
      - .offset:         78
        .size:           2
        .value_kind:     hidden_remainder_z
      - .offset:         96
        .size:           8
        .value_kind:     hidden_global_offset_x
      - .offset:         104
        .size:           8
        .value_kind:     hidden_global_offset_y
      - .offset:         112
        .size:           8
        .value_kind:     hidden_global_offset_z
      - .offset:         120
        .size:           2
        .value_kind:     hidden_grid_dims
    .group_segment_fixed_size: 0
    .kernarg_segment_align: 8
    .kernarg_segment_size: 312
    .language:       OpenCL C
    .language_version:
      - 2
      - 0
    .max_flat_workgroup_size: 256
    .name:           _ZN7rocprim17ROCPRIM_400000_NS6detail17trampoline_kernelINS0_14default_configENS1_29binary_search_config_selectorItbEEZNS1_14transform_implILb0ES3_S5_N6thrust23THRUST_200600_302600_NS6detail15normal_iteratorINS8_10device_ptrItEEEENSA_INSB_IbEEEEZNS1_13binary_searchIS3_S5_SD_SD_SF_NS1_16binary_search_opENS9_16wrapped_functionINS0_4lessIvEEbEEEE10hipError_tPvRmT1_T2_T3_mmT4_T5_P12ihipStream_tbEUlRKtE_EESM_SQ_SR_mSS_SV_bEUlT_E_NS1_11comp_targetILNS1_3genE4ELNS1_11target_archE910ELNS1_3gpuE8ELNS1_3repE0EEENS1_30default_config_static_selectorELNS0_4arch9wavefront6targetE1EEEvSP_
    .private_segment_fixed_size: 0
    .sgpr_count:     22
    .sgpr_spill_count: 0
    .symbol:         _ZN7rocprim17ROCPRIM_400000_NS6detail17trampoline_kernelINS0_14default_configENS1_29binary_search_config_selectorItbEEZNS1_14transform_implILb0ES3_S5_N6thrust23THRUST_200600_302600_NS6detail15normal_iteratorINS8_10device_ptrItEEEENSA_INSB_IbEEEEZNS1_13binary_searchIS3_S5_SD_SD_SF_NS1_16binary_search_opENS9_16wrapped_functionINS0_4lessIvEEbEEEE10hipError_tPvRmT1_T2_T3_mmT4_T5_P12ihipStream_tbEUlRKtE_EESM_SQ_SR_mSS_SV_bEUlT_E_NS1_11comp_targetILNS1_3genE4ELNS1_11target_archE910ELNS1_3gpuE8ELNS1_3repE0EEENS1_30default_config_static_selectorELNS0_4arch9wavefront6targetE1EEEvSP_.kd
    .uniform_work_group_size: 1
    .uses_dynamic_stack: false
    .vgpr_count:     12
    .vgpr_spill_count: 0
    .wavefront_size: 64
  - .agpr_count:     0
    .args:
      - .offset:         0
        .size:           56
        .value_kind:     by_value
    .group_segment_fixed_size: 0
    .kernarg_segment_align: 8
    .kernarg_segment_size: 56
    .language:       OpenCL C
    .language_version:
      - 2
      - 0
    .max_flat_workgroup_size: 128
    .name:           _ZN7rocprim17ROCPRIM_400000_NS6detail17trampoline_kernelINS0_14default_configENS1_29binary_search_config_selectorItbEEZNS1_14transform_implILb0ES3_S5_N6thrust23THRUST_200600_302600_NS6detail15normal_iteratorINS8_10device_ptrItEEEENSA_INSB_IbEEEEZNS1_13binary_searchIS3_S5_SD_SD_SF_NS1_16binary_search_opENS9_16wrapped_functionINS0_4lessIvEEbEEEE10hipError_tPvRmT1_T2_T3_mmT4_T5_P12ihipStream_tbEUlRKtE_EESM_SQ_SR_mSS_SV_bEUlT_E_NS1_11comp_targetILNS1_3genE3ELNS1_11target_archE908ELNS1_3gpuE7ELNS1_3repE0EEENS1_30default_config_static_selectorELNS0_4arch9wavefront6targetE1EEEvSP_
    .private_segment_fixed_size: 0
    .sgpr_count:     4
    .sgpr_spill_count: 0
    .symbol:         _ZN7rocprim17ROCPRIM_400000_NS6detail17trampoline_kernelINS0_14default_configENS1_29binary_search_config_selectorItbEEZNS1_14transform_implILb0ES3_S5_N6thrust23THRUST_200600_302600_NS6detail15normal_iteratorINS8_10device_ptrItEEEENSA_INSB_IbEEEEZNS1_13binary_searchIS3_S5_SD_SD_SF_NS1_16binary_search_opENS9_16wrapped_functionINS0_4lessIvEEbEEEE10hipError_tPvRmT1_T2_T3_mmT4_T5_P12ihipStream_tbEUlRKtE_EESM_SQ_SR_mSS_SV_bEUlT_E_NS1_11comp_targetILNS1_3genE3ELNS1_11target_archE908ELNS1_3gpuE7ELNS1_3repE0EEENS1_30default_config_static_selectorELNS0_4arch9wavefront6targetE1EEEvSP_.kd
    .uniform_work_group_size: 1
    .uses_dynamic_stack: false
    .vgpr_count:     0
    .vgpr_spill_count: 0
    .wavefront_size: 64
  - .agpr_count:     0
    .args:
      - .offset:         0
        .size:           56
        .value_kind:     by_value
    .group_segment_fixed_size: 0
    .kernarg_segment_align: 8
    .kernarg_segment_size: 56
    .language:       OpenCL C
    .language_version:
      - 2
      - 0
    .max_flat_workgroup_size: 256
    .name:           _ZN7rocprim17ROCPRIM_400000_NS6detail17trampoline_kernelINS0_14default_configENS1_29binary_search_config_selectorItbEEZNS1_14transform_implILb0ES3_S5_N6thrust23THRUST_200600_302600_NS6detail15normal_iteratorINS8_10device_ptrItEEEENSA_INSB_IbEEEEZNS1_13binary_searchIS3_S5_SD_SD_SF_NS1_16binary_search_opENS9_16wrapped_functionINS0_4lessIvEEbEEEE10hipError_tPvRmT1_T2_T3_mmT4_T5_P12ihipStream_tbEUlRKtE_EESM_SQ_SR_mSS_SV_bEUlT_E_NS1_11comp_targetILNS1_3genE2ELNS1_11target_archE906ELNS1_3gpuE6ELNS1_3repE0EEENS1_30default_config_static_selectorELNS0_4arch9wavefront6targetE1EEEvSP_
    .private_segment_fixed_size: 0
    .sgpr_count:     4
    .sgpr_spill_count: 0
    .symbol:         _ZN7rocprim17ROCPRIM_400000_NS6detail17trampoline_kernelINS0_14default_configENS1_29binary_search_config_selectorItbEEZNS1_14transform_implILb0ES3_S5_N6thrust23THRUST_200600_302600_NS6detail15normal_iteratorINS8_10device_ptrItEEEENSA_INSB_IbEEEEZNS1_13binary_searchIS3_S5_SD_SD_SF_NS1_16binary_search_opENS9_16wrapped_functionINS0_4lessIvEEbEEEE10hipError_tPvRmT1_T2_T3_mmT4_T5_P12ihipStream_tbEUlRKtE_EESM_SQ_SR_mSS_SV_bEUlT_E_NS1_11comp_targetILNS1_3genE2ELNS1_11target_archE906ELNS1_3gpuE6ELNS1_3repE0EEENS1_30default_config_static_selectorELNS0_4arch9wavefront6targetE1EEEvSP_.kd
    .uniform_work_group_size: 1
    .uses_dynamic_stack: false
    .vgpr_count:     0
    .vgpr_spill_count: 0
    .wavefront_size: 64
  - .agpr_count:     0
    .args:
      - .offset:         0
        .size:           56
        .value_kind:     by_value
    .group_segment_fixed_size: 0
    .kernarg_segment_align: 8
    .kernarg_segment_size: 56
    .language:       OpenCL C
    .language_version:
      - 2
      - 0
    .max_flat_workgroup_size: 256
    .name:           _ZN7rocprim17ROCPRIM_400000_NS6detail17trampoline_kernelINS0_14default_configENS1_29binary_search_config_selectorItbEEZNS1_14transform_implILb0ES3_S5_N6thrust23THRUST_200600_302600_NS6detail15normal_iteratorINS8_10device_ptrItEEEENSA_INSB_IbEEEEZNS1_13binary_searchIS3_S5_SD_SD_SF_NS1_16binary_search_opENS9_16wrapped_functionINS0_4lessIvEEbEEEE10hipError_tPvRmT1_T2_T3_mmT4_T5_P12ihipStream_tbEUlRKtE_EESM_SQ_SR_mSS_SV_bEUlT_E_NS1_11comp_targetILNS1_3genE10ELNS1_11target_archE1201ELNS1_3gpuE5ELNS1_3repE0EEENS1_30default_config_static_selectorELNS0_4arch9wavefront6targetE1EEEvSP_
    .private_segment_fixed_size: 0
    .sgpr_count:     4
    .sgpr_spill_count: 0
    .symbol:         _ZN7rocprim17ROCPRIM_400000_NS6detail17trampoline_kernelINS0_14default_configENS1_29binary_search_config_selectorItbEEZNS1_14transform_implILb0ES3_S5_N6thrust23THRUST_200600_302600_NS6detail15normal_iteratorINS8_10device_ptrItEEEENSA_INSB_IbEEEEZNS1_13binary_searchIS3_S5_SD_SD_SF_NS1_16binary_search_opENS9_16wrapped_functionINS0_4lessIvEEbEEEE10hipError_tPvRmT1_T2_T3_mmT4_T5_P12ihipStream_tbEUlRKtE_EESM_SQ_SR_mSS_SV_bEUlT_E_NS1_11comp_targetILNS1_3genE10ELNS1_11target_archE1201ELNS1_3gpuE5ELNS1_3repE0EEENS1_30default_config_static_selectorELNS0_4arch9wavefront6targetE1EEEvSP_.kd
    .uniform_work_group_size: 1
    .uses_dynamic_stack: false
    .vgpr_count:     0
    .vgpr_spill_count: 0
    .wavefront_size: 64
  - .agpr_count:     0
    .args:
      - .offset:         0
        .size:           56
        .value_kind:     by_value
    .group_segment_fixed_size: 0
    .kernarg_segment_align: 8
    .kernarg_segment_size: 56
    .language:       OpenCL C
    .language_version:
      - 2
      - 0
    .max_flat_workgroup_size: 256
    .name:           _ZN7rocprim17ROCPRIM_400000_NS6detail17trampoline_kernelINS0_14default_configENS1_29binary_search_config_selectorItbEEZNS1_14transform_implILb0ES3_S5_N6thrust23THRUST_200600_302600_NS6detail15normal_iteratorINS8_10device_ptrItEEEENSA_INSB_IbEEEEZNS1_13binary_searchIS3_S5_SD_SD_SF_NS1_16binary_search_opENS9_16wrapped_functionINS0_4lessIvEEbEEEE10hipError_tPvRmT1_T2_T3_mmT4_T5_P12ihipStream_tbEUlRKtE_EESM_SQ_SR_mSS_SV_bEUlT_E_NS1_11comp_targetILNS1_3genE10ELNS1_11target_archE1200ELNS1_3gpuE4ELNS1_3repE0EEENS1_30default_config_static_selectorELNS0_4arch9wavefront6targetE1EEEvSP_
    .private_segment_fixed_size: 0
    .sgpr_count:     4
    .sgpr_spill_count: 0
    .symbol:         _ZN7rocprim17ROCPRIM_400000_NS6detail17trampoline_kernelINS0_14default_configENS1_29binary_search_config_selectorItbEEZNS1_14transform_implILb0ES3_S5_N6thrust23THRUST_200600_302600_NS6detail15normal_iteratorINS8_10device_ptrItEEEENSA_INSB_IbEEEEZNS1_13binary_searchIS3_S5_SD_SD_SF_NS1_16binary_search_opENS9_16wrapped_functionINS0_4lessIvEEbEEEE10hipError_tPvRmT1_T2_T3_mmT4_T5_P12ihipStream_tbEUlRKtE_EESM_SQ_SR_mSS_SV_bEUlT_E_NS1_11comp_targetILNS1_3genE10ELNS1_11target_archE1200ELNS1_3gpuE4ELNS1_3repE0EEENS1_30default_config_static_selectorELNS0_4arch9wavefront6targetE1EEEvSP_.kd
    .uniform_work_group_size: 1
    .uses_dynamic_stack: false
    .vgpr_count:     0
    .vgpr_spill_count: 0
    .wavefront_size: 64
  - .agpr_count:     0
    .args:
      - .offset:         0
        .size:           56
        .value_kind:     by_value
    .group_segment_fixed_size: 0
    .kernarg_segment_align: 8
    .kernarg_segment_size: 56
    .language:       OpenCL C
    .language_version:
      - 2
      - 0
    .max_flat_workgroup_size: 64
    .name:           _ZN7rocprim17ROCPRIM_400000_NS6detail17trampoline_kernelINS0_14default_configENS1_29binary_search_config_selectorItbEEZNS1_14transform_implILb0ES3_S5_N6thrust23THRUST_200600_302600_NS6detail15normal_iteratorINS8_10device_ptrItEEEENSA_INSB_IbEEEEZNS1_13binary_searchIS3_S5_SD_SD_SF_NS1_16binary_search_opENS9_16wrapped_functionINS0_4lessIvEEbEEEE10hipError_tPvRmT1_T2_T3_mmT4_T5_P12ihipStream_tbEUlRKtE_EESM_SQ_SR_mSS_SV_bEUlT_E_NS1_11comp_targetILNS1_3genE9ELNS1_11target_archE1100ELNS1_3gpuE3ELNS1_3repE0EEENS1_30default_config_static_selectorELNS0_4arch9wavefront6targetE1EEEvSP_
    .private_segment_fixed_size: 0
    .sgpr_count:     4
    .sgpr_spill_count: 0
    .symbol:         _ZN7rocprim17ROCPRIM_400000_NS6detail17trampoline_kernelINS0_14default_configENS1_29binary_search_config_selectorItbEEZNS1_14transform_implILb0ES3_S5_N6thrust23THRUST_200600_302600_NS6detail15normal_iteratorINS8_10device_ptrItEEEENSA_INSB_IbEEEEZNS1_13binary_searchIS3_S5_SD_SD_SF_NS1_16binary_search_opENS9_16wrapped_functionINS0_4lessIvEEbEEEE10hipError_tPvRmT1_T2_T3_mmT4_T5_P12ihipStream_tbEUlRKtE_EESM_SQ_SR_mSS_SV_bEUlT_E_NS1_11comp_targetILNS1_3genE9ELNS1_11target_archE1100ELNS1_3gpuE3ELNS1_3repE0EEENS1_30default_config_static_selectorELNS0_4arch9wavefront6targetE1EEEvSP_.kd
    .uniform_work_group_size: 1
    .uses_dynamic_stack: false
    .vgpr_count:     0
    .vgpr_spill_count: 0
    .wavefront_size: 64
  - .agpr_count:     0
    .args:
      - .offset:         0
        .size:           56
        .value_kind:     by_value
    .group_segment_fixed_size: 0
    .kernarg_segment_align: 8
    .kernarg_segment_size: 56
    .language:       OpenCL C
    .language_version:
      - 2
      - 0
    .max_flat_workgroup_size: 128
    .name:           _ZN7rocprim17ROCPRIM_400000_NS6detail17trampoline_kernelINS0_14default_configENS1_29binary_search_config_selectorItbEEZNS1_14transform_implILb0ES3_S5_N6thrust23THRUST_200600_302600_NS6detail15normal_iteratorINS8_10device_ptrItEEEENSA_INSB_IbEEEEZNS1_13binary_searchIS3_S5_SD_SD_SF_NS1_16binary_search_opENS9_16wrapped_functionINS0_4lessIvEEbEEEE10hipError_tPvRmT1_T2_T3_mmT4_T5_P12ihipStream_tbEUlRKtE_EESM_SQ_SR_mSS_SV_bEUlT_E_NS1_11comp_targetILNS1_3genE8ELNS1_11target_archE1030ELNS1_3gpuE2ELNS1_3repE0EEENS1_30default_config_static_selectorELNS0_4arch9wavefront6targetE1EEEvSP_
    .private_segment_fixed_size: 0
    .sgpr_count:     4
    .sgpr_spill_count: 0
    .symbol:         _ZN7rocprim17ROCPRIM_400000_NS6detail17trampoline_kernelINS0_14default_configENS1_29binary_search_config_selectorItbEEZNS1_14transform_implILb0ES3_S5_N6thrust23THRUST_200600_302600_NS6detail15normal_iteratorINS8_10device_ptrItEEEENSA_INSB_IbEEEEZNS1_13binary_searchIS3_S5_SD_SD_SF_NS1_16binary_search_opENS9_16wrapped_functionINS0_4lessIvEEbEEEE10hipError_tPvRmT1_T2_T3_mmT4_T5_P12ihipStream_tbEUlRKtE_EESM_SQ_SR_mSS_SV_bEUlT_E_NS1_11comp_targetILNS1_3genE8ELNS1_11target_archE1030ELNS1_3gpuE2ELNS1_3repE0EEENS1_30default_config_static_selectorELNS0_4arch9wavefront6targetE1EEEvSP_.kd
    .uniform_work_group_size: 1
    .uses_dynamic_stack: false
    .vgpr_count:     0
    .vgpr_spill_count: 0
    .wavefront_size: 64
  - .agpr_count:     0
    .args:
      - .offset:         0
        .size:           56
        .value_kind:     by_value
    .group_segment_fixed_size: 0
    .kernarg_segment_align: 8
    .kernarg_segment_size: 56
    .language:       OpenCL C
    .language_version:
      - 2
      - 0
    .max_flat_workgroup_size: 128
    .name:           _ZN7rocprim17ROCPRIM_400000_NS6detail17trampoline_kernelINS0_14default_configENS1_29binary_search_config_selectorItiEEZNS1_14transform_implILb0ES3_S5_N6thrust23THRUST_200600_302600_NS6detail15normal_iteratorINS8_10device_ptrItEEEENSA_INSB_IiEEEEZNS1_13binary_searchIS3_S5_SD_SD_SF_NS1_16binary_search_opENS9_16wrapped_functionINS0_4lessIvEEbEEEE10hipError_tPvRmT1_T2_T3_mmT4_T5_P12ihipStream_tbEUlRKtE_EESM_SQ_SR_mSS_SV_bEUlT_E_NS1_11comp_targetILNS1_3genE0ELNS1_11target_archE4294967295ELNS1_3gpuE0ELNS1_3repE0EEENS1_30default_config_static_selectorELNS0_4arch9wavefront6targetE1EEEvSP_
    .private_segment_fixed_size: 0
    .sgpr_count:     4
    .sgpr_spill_count: 0
    .symbol:         _ZN7rocprim17ROCPRIM_400000_NS6detail17trampoline_kernelINS0_14default_configENS1_29binary_search_config_selectorItiEEZNS1_14transform_implILb0ES3_S5_N6thrust23THRUST_200600_302600_NS6detail15normal_iteratorINS8_10device_ptrItEEEENSA_INSB_IiEEEEZNS1_13binary_searchIS3_S5_SD_SD_SF_NS1_16binary_search_opENS9_16wrapped_functionINS0_4lessIvEEbEEEE10hipError_tPvRmT1_T2_T3_mmT4_T5_P12ihipStream_tbEUlRKtE_EESM_SQ_SR_mSS_SV_bEUlT_E_NS1_11comp_targetILNS1_3genE0ELNS1_11target_archE4294967295ELNS1_3gpuE0ELNS1_3repE0EEENS1_30default_config_static_selectorELNS0_4arch9wavefront6targetE1EEEvSP_.kd
    .uniform_work_group_size: 1
    .uses_dynamic_stack: false
    .vgpr_count:     0
    .vgpr_spill_count: 0
    .wavefront_size: 64
  - .agpr_count:     0
    .args:
      - .offset:         0
        .size:           56
        .value_kind:     by_value
    .group_segment_fixed_size: 0
    .kernarg_segment_align: 8
    .kernarg_segment_size: 56
    .language:       OpenCL C
    .language_version:
      - 2
      - 0
    .max_flat_workgroup_size: 256
    .name:           _ZN7rocprim17ROCPRIM_400000_NS6detail17trampoline_kernelINS0_14default_configENS1_29binary_search_config_selectorItiEEZNS1_14transform_implILb0ES3_S5_N6thrust23THRUST_200600_302600_NS6detail15normal_iteratorINS8_10device_ptrItEEEENSA_INSB_IiEEEEZNS1_13binary_searchIS3_S5_SD_SD_SF_NS1_16binary_search_opENS9_16wrapped_functionINS0_4lessIvEEbEEEE10hipError_tPvRmT1_T2_T3_mmT4_T5_P12ihipStream_tbEUlRKtE_EESM_SQ_SR_mSS_SV_bEUlT_E_NS1_11comp_targetILNS1_3genE5ELNS1_11target_archE942ELNS1_3gpuE9ELNS1_3repE0EEENS1_30default_config_static_selectorELNS0_4arch9wavefront6targetE1EEEvSP_
    .private_segment_fixed_size: 0
    .sgpr_count:     4
    .sgpr_spill_count: 0
    .symbol:         _ZN7rocprim17ROCPRIM_400000_NS6detail17trampoline_kernelINS0_14default_configENS1_29binary_search_config_selectorItiEEZNS1_14transform_implILb0ES3_S5_N6thrust23THRUST_200600_302600_NS6detail15normal_iteratorINS8_10device_ptrItEEEENSA_INSB_IiEEEEZNS1_13binary_searchIS3_S5_SD_SD_SF_NS1_16binary_search_opENS9_16wrapped_functionINS0_4lessIvEEbEEEE10hipError_tPvRmT1_T2_T3_mmT4_T5_P12ihipStream_tbEUlRKtE_EESM_SQ_SR_mSS_SV_bEUlT_E_NS1_11comp_targetILNS1_3genE5ELNS1_11target_archE942ELNS1_3gpuE9ELNS1_3repE0EEENS1_30default_config_static_selectorELNS0_4arch9wavefront6targetE1EEEvSP_.kd
    .uniform_work_group_size: 1
    .uses_dynamic_stack: false
    .vgpr_count:     0
    .vgpr_spill_count: 0
    .wavefront_size: 64
  - .agpr_count:     0
    .args:
      - .offset:         0
        .size:           56
        .value_kind:     by_value
      - .offset:         56
        .size:           4
        .value_kind:     hidden_block_count_x
      - .offset:         60
        .size:           4
        .value_kind:     hidden_block_count_y
      - .offset:         64
        .size:           4
        .value_kind:     hidden_block_count_z
      - .offset:         68
        .size:           2
        .value_kind:     hidden_group_size_x
      - .offset:         70
        .size:           2
        .value_kind:     hidden_group_size_y
      - .offset:         72
        .size:           2
        .value_kind:     hidden_group_size_z
      - .offset:         74
        .size:           2
        .value_kind:     hidden_remainder_x
      - .offset:         76
        .size:           2
        .value_kind:     hidden_remainder_y
      - .offset:         78
        .size:           2
        .value_kind:     hidden_remainder_z
      - .offset:         96
        .size:           8
        .value_kind:     hidden_global_offset_x
      - .offset:         104
        .size:           8
        .value_kind:     hidden_global_offset_y
      - .offset:         112
        .size:           8
        .value_kind:     hidden_global_offset_z
      - .offset:         120
        .size:           2
        .value_kind:     hidden_grid_dims
    .group_segment_fixed_size: 0
    .kernarg_segment_align: 8
    .kernarg_segment_size: 312
    .language:       OpenCL C
    .language_version:
      - 2
      - 0
    .max_flat_workgroup_size: 256
    .name:           _ZN7rocprim17ROCPRIM_400000_NS6detail17trampoline_kernelINS0_14default_configENS1_29binary_search_config_selectorItiEEZNS1_14transform_implILb0ES3_S5_N6thrust23THRUST_200600_302600_NS6detail15normal_iteratorINS8_10device_ptrItEEEENSA_INSB_IiEEEEZNS1_13binary_searchIS3_S5_SD_SD_SF_NS1_16binary_search_opENS9_16wrapped_functionINS0_4lessIvEEbEEEE10hipError_tPvRmT1_T2_T3_mmT4_T5_P12ihipStream_tbEUlRKtE_EESM_SQ_SR_mSS_SV_bEUlT_E_NS1_11comp_targetILNS1_3genE4ELNS1_11target_archE910ELNS1_3gpuE8ELNS1_3repE0EEENS1_30default_config_static_selectorELNS0_4arch9wavefront6targetE1EEEvSP_
    .private_segment_fixed_size: 0
    .sgpr_count:     24
    .sgpr_spill_count: 0
    .symbol:         _ZN7rocprim17ROCPRIM_400000_NS6detail17trampoline_kernelINS0_14default_configENS1_29binary_search_config_selectorItiEEZNS1_14transform_implILb0ES3_S5_N6thrust23THRUST_200600_302600_NS6detail15normal_iteratorINS8_10device_ptrItEEEENSA_INSB_IiEEEEZNS1_13binary_searchIS3_S5_SD_SD_SF_NS1_16binary_search_opENS9_16wrapped_functionINS0_4lessIvEEbEEEE10hipError_tPvRmT1_T2_T3_mmT4_T5_P12ihipStream_tbEUlRKtE_EESM_SQ_SR_mSS_SV_bEUlT_E_NS1_11comp_targetILNS1_3genE4ELNS1_11target_archE910ELNS1_3gpuE8ELNS1_3repE0EEENS1_30default_config_static_selectorELNS0_4arch9wavefront6targetE1EEEvSP_.kd
    .uniform_work_group_size: 1
    .uses_dynamic_stack: false
    .vgpr_count:     12
    .vgpr_spill_count: 0
    .wavefront_size: 64
  - .agpr_count:     0
    .args:
      - .offset:         0
        .size:           56
        .value_kind:     by_value
    .group_segment_fixed_size: 0
    .kernarg_segment_align: 8
    .kernarg_segment_size: 56
    .language:       OpenCL C
    .language_version:
      - 2
      - 0
    .max_flat_workgroup_size: 128
    .name:           _ZN7rocprim17ROCPRIM_400000_NS6detail17trampoline_kernelINS0_14default_configENS1_29binary_search_config_selectorItiEEZNS1_14transform_implILb0ES3_S5_N6thrust23THRUST_200600_302600_NS6detail15normal_iteratorINS8_10device_ptrItEEEENSA_INSB_IiEEEEZNS1_13binary_searchIS3_S5_SD_SD_SF_NS1_16binary_search_opENS9_16wrapped_functionINS0_4lessIvEEbEEEE10hipError_tPvRmT1_T2_T3_mmT4_T5_P12ihipStream_tbEUlRKtE_EESM_SQ_SR_mSS_SV_bEUlT_E_NS1_11comp_targetILNS1_3genE3ELNS1_11target_archE908ELNS1_3gpuE7ELNS1_3repE0EEENS1_30default_config_static_selectorELNS0_4arch9wavefront6targetE1EEEvSP_
    .private_segment_fixed_size: 0
    .sgpr_count:     4
    .sgpr_spill_count: 0
    .symbol:         _ZN7rocprim17ROCPRIM_400000_NS6detail17trampoline_kernelINS0_14default_configENS1_29binary_search_config_selectorItiEEZNS1_14transform_implILb0ES3_S5_N6thrust23THRUST_200600_302600_NS6detail15normal_iteratorINS8_10device_ptrItEEEENSA_INSB_IiEEEEZNS1_13binary_searchIS3_S5_SD_SD_SF_NS1_16binary_search_opENS9_16wrapped_functionINS0_4lessIvEEbEEEE10hipError_tPvRmT1_T2_T3_mmT4_T5_P12ihipStream_tbEUlRKtE_EESM_SQ_SR_mSS_SV_bEUlT_E_NS1_11comp_targetILNS1_3genE3ELNS1_11target_archE908ELNS1_3gpuE7ELNS1_3repE0EEENS1_30default_config_static_selectorELNS0_4arch9wavefront6targetE1EEEvSP_.kd
    .uniform_work_group_size: 1
    .uses_dynamic_stack: false
    .vgpr_count:     0
    .vgpr_spill_count: 0
    .wavefront_size: 64
  - .agpr_count:     0
    .args:
      - .offset:         0
        .size:           56
        .value_kind:     by_value
    .group_segment_fixed_size: 0
    .kernarg_segment_align: 8
    .kernarg_segment_size: 56
    .language:       OpenCL C
    .language_version:
      - 2
      - 0
    .max_flat_workgroup_size: 256
    .name:           _ZN7rocprim17ROCPRIM_400000_NS6detail17trampoline_kernelINS0_14default_configENS1_29binary_search_config_selectorItiEEZNS1_14transform_implILb0ES3_S5_N6thrust23THRUST_200600_302600_NS6detail15normal_iteratorINS8_10device_ptrItEEEENSA_INSB_IiEEEEZNS1_13binary_searchIS3_S5_SD_SD_SF_NS1_16binary_search_opENS9_16wrapped_functionINS0_4lessIvEEbEEEE10hipError_tPvRmT1_T2_T3_mmT4_T5_P12ihipStream_tbEUlRKtE_EESM_SQ_SR_mSS_SV_bEUlT_E_NS1_11comp_targetILNS1_3genE2ELNS1_11target_archE906ELNS1_3gpuE6ELNS1_3repE0EEENS1_30default_config_static_selectorELNS0_4arch9wavefront6targetE1EEEvSP_
    .private_segment_fixed_size: 0
    .sgpr_count:     4
    .sgpr_spill_count: 0
    .symbol:         _ZN7rocprim17ROCPRIM_400000_NS6detail17trampoline_kernelINS0_14default_configENS1_29binary_search_config_selectorItiEEZNS1_14transform_implILb0ES3_S5_N6thrust23THRUST_200600_302600_NS6detail15normal_iteratorINS8_10device_ptrItEEEENSA_INSB_IiEEEEZNS1_13binary_searchIS3_S5_SD_SD_SF_NS1_16binary_search_opENS9_16wrapped_functionINS0_4lessIvEEbEEEE10hipError_tPvRmT1_T2_T3_mmT4_T5_P12ihipStream_tbEUlRKtE_EESM_SQ_SR_mSS_SV_bEUlT_E_NS1_11comp_targetILNS1_3genE2ELNS1_11target_archE906ELNS1_3gpuE6ELNS1_3repE0EEENS1_30default_config_static_selectorELNS0_4arch9wavefront6targetE1EEEvSP_.kd
    .uniform_work_group_size: 1
    .uses_dynamic_stack: false
    .vgpr_count:     0
    .vgpr_spill_count: 0
    .wavefront_size: 64
  - .agpr_count:     0
    .args:
      - .offset:         0
        .size:           56
        .value_kind:     by_value
    .group_segment_fixed_size: 0
    .kernarg_segment_align: 8
    .kernarg_segment_size: 56
    .language:       OpenCL C
    .language_version:
      - 2
      - 0
    .max_flat_workgroup_size: 256
    .name:           _ZN7rocprim17ROCPRIM_400000_NS6detail17trampoline_kernelINS0_14default_configENS1_29binary_search_config_selectorItiEEZNS1_14transform_implILb0ES3_S5_N6thrust23THRUST_200600_302600_NS6detail15normal_iteratorINS8_10device_ptrItEEEENSA_INSB_IiEEEEZNS1_13binary_searchIS3_S5_SD_SD_SF_NS1_16binary_search_opENS9_16wrapped_functionINS0_4lessIvEEbEEEE10hipError_tPvRmT1_T2_T3_mmT4_T5_P12ihipStream_tbEUlRKtE_EESM_SQ_SR_mSS_SV_bEUlT_E_NS1_11comp_targetILNS1_3genE10ELNS1_11target_archE1201ELNS1_3gpuE5ELNS1_3repE0EEENS1_30default_config_static_selectorELNS0_4arch9wavefront6targetE1EEEvSP_
    .private_segment_fixed_size: 0
    .sgpr_count:     4
    .sgpr_spill_count: 0
    .symbol:         _ZN7rocprim17ROCPRIM_400000_NS6detail17trampoline_kernelINS0_14default_configENS1_29binary_search_config_selectorItiEEZNS1_14transform_implILb0ES3_S5_N6thrust23THRUST_200600_302600_NS6detail15normal_iteratorINS8_10device_ptrItEEEENSA_INSB_IiEEEEZNS1_13binary_searchIS3_S5_SD_SD_SF_NS1_16binary_search_opENS9_16wrapped_functionINS0_4lessIvEEbEEEE10hipError_tPvRmT1_T2_T3_mmT4_T5_P12ihipStream_tbEUlRKtE_EESM_SQ_SR_mSS_SV_bEUlT_E_NS1_11comp_targetILNS1_3genE10ELNS1_11target_archE1201ELNS1_3gpuE5ELNS1_3repE0EEENS1_30default_config_static_selectorELNS0_4arch9wavefront6targetE1EEEvSP_.kd
    .uniform_work_group_size: 1
    .uses_dynamic_stack: false
    .vgpr_count:     0
    .vgpr_spill_count: 0
    .wavefront_size: 64
  - .agpr_count:     0
    .args:
      - .offset:         0
        .size:           56
        .value_kind:     by_value
    .group_segment_fixed_size: 0
    .kernarg_segment_align: 8
    .kernarg_segment_size: 56
    .language:       OpenCL C
    .language_version:
      - 2
      - 0
    .max_flat_workgroup_size: 256
    .name:           _ZN7rocprim17ROCPRIM_400000_NS6detail17trampoline_kernelINS0_14default_configENS1_29binary_search_config_selectorItiEEZNS1_14transform_implILb0ES3_S5_N6thrust23THRUST_200600_302600_NS6detail15normal_iteratorINS8_10device_ptrItEEEENSA_INSB_IiEEEEZNS1_13binary_searchIS3_S5_SD_SD_SF_NS1_16binary_search_opENS9_16wrapped_functionINS0_4lessIvEEbEEEE10hipError_tPvRmT1_T2_T3_mmT4_T5_P12ihipStream_tbEUlRKtE_EESM_SQ_SR_mSS_SV_bEUlT_E_NS1_11comp_targetILNS1_3genE10ELNS1_11target_archE1200ELNS1_3gpuE4ELNS1_3repE0EEENS1_30default_config_static_selectorELNS0_4arch9wavefront6targetE1EEEvSP_
    .private_segment_fixed_size: 0
    .sgpr_count:     4
    .sgpr_spill_count: 0
    .symbol:         _ZN7rocprim17ROCPRIM_400000_NS6detail17trampoline_kernelINS0_14default_configENS1_29binary_search_config_selectorItiEEZNS1_14transform_implILb0ES3_S5_N6thrust23THRUST_200600_302600_NS6detail15normal_iteratorINS8_10device_ptrItEEEENSA_INSB_IiEEEEZNS1_13binary_searchIS3_S5_SD_SD_SF_NS1_16binary_search_opENS9_16wrapped_functionINS0_4lessIvEEbEEEE10hipError_tPvRmT1_T2_T3_mmT4_T5_P12ihipStream_tbEUlRKtE_EESM_SQ_SR_mSS_SV_bEUlT_E_NS1_11comp_targetILNS1_3genE10ELNS1_11target_archE1200ELNS1_3gpuE4ELNS1_3repE0EEENS1_30default_config_static_selectorELNS0_4arch9wavefront6targetE1EEEvSP_.kd
    .uniform_work_group_size: 1
    .uses_dynamic_stack: false
    .vgpr_count:     0
    .vgpr_spill_count: 0
    .wavefront_size: 64
  - .agpr_count:     0
    .args:
      - .offset:         0
        .size:           56
        .value_kind:     by_value
    .group_segment_fixed_size: 0
    .kernarg_segment_align: 8
    .kernarg_segment_size: 56
    .language:       OpenCL C
    .language_version:
      - 2
      - 0
    .max_flat_workgroup_size: 64
    .name:           _ZN7rocprim17ROCPRIM_400000_NS6detail17trampoline_kernelINS0_14default_configENS1_29binary_search_config_selectorItiEEZNS1_14transform_implILb0ES3_S5_N6thrust23THRUST_200600_302600_NS6detail15normal_iteratorINS8_10device_ptrItEEEENSA_INSB_IiEEEEZNS1_13binary_searchIS3_S5_SD_SD_SF_NS1_16binary_search_opENS9_16wrapped_functionINS0_4lessIvEEbEEEE10hipError_tPvRmT1_T2_T3_mmT4_T5_P12ihipStream_tbEUlRKtE_EESM_SQ_SR_mSS_SV_bEUlT_E_NS1_11comp_targetILNS1_3genE9ELNS1_11target_archE1100ELNS1_3gpuE3ELNS1_3repE0EEENS1_30default_config_static_selectorELNS0_4arch9wavefront6targetE1EEEvSP_
    .private_segment_fixed_size: 0
    .sgpr_count:     4
    .sgpr_spill_count: 0
    .symbol:         _ZN7rocprim17ROCPRIM_400000_NS6detail17trampoline_kernelINS0_14default_configENS1_29binary_search_config_selectorItiEEZNS1_14transform_implILb0ES3_S5_N6thrust23THRUST_200600_302600_NS6detail15normal_iteratorINS8_10device_ptrItEEEENSA_INSB_IiEEEEZNS1_13binary_searchIS3_S5_SD_SD_SF_NS1_16binary_search_opENS9_16wrapped_functionINS0_4lessIvEEbEEEE10hipError_tPvRmT1_T2_T3_mmT4_T5_P12ihipStream_tbEUlRKtE_EESM_SQ_SR_mSS_SV_bEUlT_E_NS1_11comp_targetILNS1_3genE9ELNS1_11target_archE1100ELNS1_3gpuE3ELNS1_3repE0EEENS1_30default_config_static_selectorELNS0_4arch9wavefront6targetE1EEEvSP_.kd
    .uniform_work_group_size: 1
    .uses_dynamic_stack: false
    .vgpr_count:     0
    .vgpr_spill_count: 0
    .wavefront_size: 64
  - .agpr_count:     0
    .args:
      - .offset:         0
        .size:           56
        .value_kind:     by_value
    .group_segment_fixed_size: 0
    .kernarg_segment_align: 8
    .kernarg_segment_size: 56
    .language:       OpenCL C
    .language_version:
      - 2
      - 0
    .max_flat_workgroup_size: 128
    .name:           _ZN7rocprim17ROCPRIM_400000_NS6detail17trampoline_kernelINS0_14default_configENS1_29binary_search_config_selectorItiEEZNS1_14transform_implILb0ES3_S5_N6thrust23THRUST_200600_302600_NS6detail15normal_iteratorINS8_10device_ptrItEEEENSA_INSB_IiEEEEZNS1_13binary_searchIS3_S5_SD_SD_SF_NS1_16binary_search_opENS9_16wrapped_functionINS0_4lessIvEEbEEEE10hipError_tPvRmT1_T2_T3_mmT4_T5_P12ihipStream_tbEUlRKtE_EESM_SQ_SR_mSS_SV_bEUlT_E_NS1_11comp_targetILNS1_3genE8ELNS1_11target_archE1030ELNS1_3gpuE2ELNS1_3repE0EEENS1_30default_config_static_selectorELNS0_4arch9wavefront6targetE1EEEvSP_
    .private_segment_fixed_size: 0
    .sgpr_count:     4
    .sgpr_spill_count: 0
    .symbol:         _ZN7rocprim17ROCPRIM_400000_NS6detail17trampoline_kernelINS0_14default_configENS1_29binary_search_config_selectorItiEEZNS1_14transform_implILb0ES3_S5_N6thrust23THRUST_200600_302600_NS6detail15normal_iteratorINS8_10device_ptrItEEEENSA_INSB_IiEEEEZNS1_13binary_searchIS3_S5_SD_SD_SF_NS1_16binary_search_opENS9_16wrapped_functionINS0_4lessIvEEbEEEE10hipError_tPvRmT1_T2_T3_mmT4_T5_P12ihipStream_tbEUlRKtE_EESM_SQ_SR_mSS_SV_bEUlT_E_NS1_11comp_targetILNS1_3genE8ELNS1_11target_archE1030ELNS1_3gpuE2ELNS1_3repE0EEENS1_30default_config_static_selectorELNS0_4arch9wavefront6targetE1EEEvSP_.kd
    .uniform_work_group_size: 1
    .uses_dynamic_stack: false
    .vgpr_count:     0
    .vgpr_spill_count: 0
    .wavefront_size: 64
  - .agpr_count:     0
    .args:
      - .offset:         0
        .size:           56
        .value_kind:     by_value
    .group_segment_fixed_size: 0
    .kernarg_segment_align: 8
    .kernarg_segment_size: 56
    .language:       OpenCL C
    .language_version:
      - 2
      - 0
    .max_flat_workgroup_size: 256
    .name:           _ZN7rocprim17ROCPRIM_400000_NS6detail17trampoline_kernelINS0_14default_configENS1_29binary_search_config_selectorIxbEEZNS1_14transform_implILb0ES3_S5_N6thrust23THRUST_200600_302600_NS6detail15normal_iteratorINS8_10device_ptrIxEEEENSA_INSB_IbEEEEZNS1_13binary_searchIS3_S5_SD_SD_SF_NS1_16binary_search_opENS9_16wrapped_functionINS0_4lessIvEEbEEEE10hipError_tPvRmT1_T2_T3_mmT4_T5_P12ihipStream_tbEUlRKxE_EESM_SQ_SR_mSS_SV_bEUlT_E_NS1_11comp_targetILNS1_3genE0ELNS1_11target_archE4294967295ELNS1_3gpuE0ELNS1_3repE0EEENS1_30default_config_static_selectorELNS0_4arch9wavefront6targetE1EEEvSP_
    .private_segment_fixed_size: 0
    .sgpr_count:     4
    .sgpr_spill_count: 0
    .symbol:         _ZN7rocprim17ROCPRIM_400000_NS6detail17trampoline_kernelINS0_14default_configENS1_29binary_search_config_selectorIxbEEZNS1_14transform_implILb0ES3_S5_N6thrust23THRUST_200600_302600_NS6detail15normal_iteratorINS8_10device_ptrIxEEEENSA_INSB_IbEEEEZNS1_13binary_searchIS3_S5_SD_SD_SF_NS1_16binary_search_opENS9_16wrapped_functionINS0_4lessIvEEbEEEE10hipError_tPvRmT1_T2_T3_mmT4_T5_P12ihipStream_tbEUlRKxE_EESM_SQ_SR_mSS_SV_bEUlT_E_NS1_11comp_targetILNS1_3genE0ELNS1_11target_archE4294967295ELNS1_3gpuE0ELNS1_3repE0EEENS1_30default_config_static_selectorELNS0_4arch9wavefront6targetE1EEEvSP_.kd
    .uniform_work_group_size: 1
    .uses_dynamic_stack: false
    .vgpr_count:     0
    .vgpr_spill_count: 0
    .wavefront_size: 64
  - .agpr_count:     0
    .args:
      - .offset:         0
        .size:           56
        .value_kind:     by_value
    .group_segment_fixed_size: 0
    .kernarg_segment_align: 8
    .kernarg_segment_size: 56
    .language:       OpenCL C
    .language_version:
      - 2
      - 0
    .max_flat_workgroup_size: 64
    .name:           _ZN7rocprim17ROCPRIM_400000_NS6detail17trampoline_kernelINS0_14default_configENS1_29binary_search_config_selectorIxbEEZNS1_14transform_implILb0ES3_S5_N6thrust23THRUST_200600_302600_NS6detail15normal_iteratorINS8_10device_ptrIxEEEENSA_INSB_IbEEEEZNS1_13binary_searchIS3_S5_SD_SD_SF_NS1_16binary_search_opENS9_16wrapped_functionINS0_4lessIvEEbEEEE10hipError_tPvRmT1_T2_T3_mmT4_T5_P12ihipStream_tbEUlRKxE_EESM_SQ_SR_mSS_SV_bEUlT_E_NS1_11comp_targetILNS1_3genE5ELNS1_11target_archE942ELNS1_3gpuE9ELNS1_3repE0EEENS1_30default_config_static_selectorELNS0_4arch9wavefront6targetE1EEEvSP_
    .private_segment_fixed_size: 0
    .sgpr_count:     4
    .sgpr_spill_count: 0
    .symbol:         _ZN7rocprim17ROCPRIM_400000_NS6detail17trampoline_kernelINS0_14default_configENS1_29binary_search_config_selectorIxbEEZNS1_14transform_implILb0ES3_S5_N6thrust23THRUST_200600_302600_NS6detail15normal_iteratorINS8_10device_ptrIxEEEENSA_INSB_IbEEEEZNS1_13binary_searchIS3_S5_SD_SD_SF_NS1_16binary_search_opENS9_16wrapped_functionINS0_4lessIvEEbEEEE10hipError_tPvRmT1_T2_T3_mmT4_T5_P12ihipStream_tbEUlRKxE_EESM_SQ_SR_mSS_SV_bEUlT_E_NS1_11comp_targetILNS1_3genE5ELNS1_11target_archE942ELNS1_3gpuE9ELNS1_3repE0EEENS1_30default_config_static_selectorELNS0_4arch9wavefront6targetE1EEEvSP_.kd
    .uniform_work_group_size: 1
    .uses_dynamic_stack: false
    .vgpr_count:     0
    .vgpr_spill_count: 0
    .wavefront_size: 64
  - .agpr_count:     0
    .args:
      - .offset:         0
        .size:           56
        .value_kind:     by_value
      - .offset:         56
        .size:           4
        .value_kind:     hidden_block_count_x
      - .offset:         60
        .size:           4
        .value_kind:     hidden_block_count_y
      - .offset:         64
        .size:           4
        .value_kind:     hidden_block_count_z
      - .offset:         68
        .size:           2
        .value_kind:     hidden_group_size_x
      - .offset:         70
        .size:           2
        .value_kind:     hidden_group_size_y
      - .offset:         72
        .size:           2
        .value_kind:     hidden_group_size_z
      - .offset:         74
        .size:           2
        .value_kind:     hidden_remainder_x
      - .offset:         76
        .size:           2
        .value_kind:     hidden_remainder_y
      - .offset:         78
        .size:           2
        .value_kind:     hidden_remainder_z
      - .offset:         96
        .size:           8
        .value_kind:     hidden_global_offset_x
      - .offset:         104
        .size:           8
        .value_kind:     hidden_global_offset_y
      - .offset:         112
        .size:           8
        .value_kind:     hidden_global_offset_z
      - .offset:         120
        .size:           2
        .value_kind:     hidden_grid_dims
    .group_segment_fixed_size: 0
    .kernarg_segment_align: 8
    .kernarg_segment_size: 312
    .language:       OpenCL C
    .language_version:
      - 2
      - 0
    .max_flat_workgroup_size: 64
    .name:           _ZN7rocprim17ROCPRIM_400000_NS6detail17trampoline_kernelINS0_14default_configENS1_29binary_search_config_selectorIxbEEZNS1_14transform_implILb0ES3_S5_N6thrust23THRUST_200600_302600_NS6detail15normal_iteratorINS8_10device_ptrIxEEEENSA_INSB_IbEEEEZNS1_13binary_searchIS3_S5_SD_SD_SF_NS1_16binary_search_opENS9_16wrapped_functionINS0_4lessIvEEbEEEE10hipError_tPvRmT1_T2_T3_mmT4_T5_P12ihipStream_tbEUlRKxE_EESM_SQ_SR_mSS_SV_bEUlT_E_NS1_11comp_targetILNS1_3genE4ELNS1_11target_archE910ELNS1_3gpuE8ELNS1_3repE0EEENS1_30default_config_static_selectorELNS0_4arch9wavefront6targetE1EEEvSP_
    .private_segment_fixed_size: 0
    .sgpr_count:     22
    .sgpr_spill_count: 0
    .symbol:         _ZN7rocprim17ROCPRIM_400000_NS6detail17trampoline_kernelINS0_14default_configENS1_29binary_search_config_selectorIxbEEZNS1_14transform_implILb0ES3_S5_N6thrust23THRUST_200600_302600_NS6detail15normal_iteratorINS8_10device_ptrIxEEEENSA_INSB_IbEEEEZNS1_13binary_searchIS3_S5_SD_SD_SF_NS1_16binary_search_opENS9_16wrapped_functionINS0_4lessIvEEbEEEE10hipError_tPvRmT1_T2_T3_mmT4_T5_P12ihipStream_tbEUlRKxE_EESM_SQ_SR_mSS_SV_bEUlT_E_NS1_11comp_targetILNS1_3genE4ELNS1_11target_archE910ELNS1_3gpuE8ELNS1_3repE0EEENS1_30default_config_static_selectorELNS0_4arch9wavefront6targetE1EEEvSP_.kd
    .uniform_work_group_size: 1
    .uses_dynamic_stack: false
    .vgpr_count:     14
    .vgpr_spill_count: 0
    .wavefront_size: 64
  - .agpr_count:     0
    .args:
      - .offset:         0
        .size:           56
        .value_kind:     by_value
    .group_segment_fixed_size: 0
    .kernarg_segment_align: 8
    .kernarg_segment_size: 56
    .language:       OpenCL C
    .language_version:
      - 2
      - 0
    .max_flat_workgroup_size: 256
    .name:           _ZN7rocprim17ROCPRIM_400000_NS6detail17trampoline_kernelINS0_14default_configENS1_29binary_search_config_selectorIxbEEZNS1_14transform_implILb0ES3_S5_N6thrust23THRUST_200600_302600_NS6detail15normal_iteratorINS8_10device_ptrIxEEEENSA_INSB_IbEEEEZNS1_13binary_searchIS3_S5_SD_SD_SF_NS1_16binary_search_opENS9_16wrapped_functionINS0_4lessIvEEbEEEE10hipError_tPvRmT1_T2_T3_mmT4_T5_P12ihipStream_tbEUlRKxE_EESM_SQ_SR_mSS_SV_bEUlT_E_NS1_11comp_targetILNS1_3genE3ELNS1_11target_archE908ELNS1_3gpuE7ELNS1_3repE0EEENS1_30default_config_static_selectorELNS0_4arch9wavefront6targetE1EEEvSP_
    .private_segment_fixed_size: 0
    .sgpr_count:     4
    .sgpr_spill_count: 0
    .symbol:         _ZN7rocprim17ROCPRIM_400000_NS6detail17trampoline_kernelINS0_14default_configENS1_29binary_search_config_selectorIxbEEZNS1_14transform_implILb0ES3_S5_N6thrust23THRUST_200600_302600_NS6detail15normal_iteratorINS8_10device_ptrIxEEEENSA_INSB_IbEEEEZNS1_13binary_searchIS3_S5_SD_SD_SF_NS1_16binary_search_opENS9_16wrapped_functionINS0_4lessIvEEbEEEE10hipError_tPvRmT1_T2_T3_mmT4_T5_P12ihipStream_tbEUlRKxE_EESM_SQ_SR_mSS_SV_bEUlT_E_NS1_11comp_targetILNS1_3genE3ELNS1_11target_archE908ELNS1_3gpuE7ELNS1_3repE0EEENS1_30default_config_static_selectorELNS0_4arch9wavefront6targetE1EEEvSP_.kd
    .uniform_work_group_size: 1
    .uses_dynamic_stack: false
    .vgpr_count:     0
    .vgpr_spill_count: 0
    .wavefront_size: 64
  - .agpr_count:     0
    .args:
      - .offset:         0
        .size:           56
        .value_kind:     by_value
    .group_segment_fixed_size: 0
    .kernarg_segment_align: 8
    .kernarg_segment_size: 56
    .language:       OpenCL C
    .language_version:
      - 2
      - 0
    .max_flat_workgroup_size: 256
    .name:           _ZN7rocprim17ROCPRIM_400000_NS6detail17trampoline_kernelINS0_14default_configENS1_29binary_search_config_selectorIxbEEZNS1_14transform_implILb0ES3_S5_N6thrust23THRUST_200600_302600_NS6detail15normal_iteratorINS8_10device_ptrIxEEEENSA_INSB_IbEEEEZNS1_13binary_searchIS3_S5_SD_SD_SF_NS1_16binary_search_opENS9_16wrapped_functionINS0_4lessIvEEbEEEE10hipError_tPvRmT1_T2_T3_mmT4_T5_P12ihipStream_tbEUlRKxE_EESM_SQ_SR_mSS_SV_bEUlT_E_NS1_11comp_targetILNS1_3genE2ELNS1_11target_archE906ELNS1_3gpuE6ELNS1_3repE0EEENS1_30default_config_static_selectorELNS0_4arch9wavefront6targetE1EEEvSP_
    .private_segment_fixed_size: 0
    .sgpr_count:     4
    .sgpr_spill_count: 0
    .symbol:         _ZN7rocprim17ROCPRIM_400000_NS6detail17trampoline_kernelINS0_14default_configENS1_29binary_search_config_selectorIxbEEZNS1_14transform_implILb0ES3_S5_N6thrust23THRUST_200600_302600_NS6detail15normal_iteratorINS8_10device_ptrIxEEEENSA_INSB_IbEEEEZNS1_13binary_searchIS3_S5_SD_SD_SF_NS1_16binary_search_opENS9_16wrapped_functionINS0_4lessIvEEbEEEE10hipError_tPvRmT1_T2_T3_mmT4_T5_P12ihipStream_tbEUlRKxE_EESM_SQ_SR_mSS_SV_bEUlT_E_NS1_11comp_targetILNS1_3genE2ELNS1_11target_archE906ELNS1_3gpuE6ELNS1_3repE0EEENS1_30default_config_static_selectorELNS0_4arch9wavefront6targetE1EEEvSP_.kd
    .uniform_work_group_size: 1
    .uses_dynamic_stack: false
    .vgpr_count:     0
    .vgpr_spill_count: 0
    .wavefront_size: 64
  - .agpr_count:     0
    .args:
      - .offset:         0
        .size:           56
        .value_kind:     by_value
    .group_segment_fixed_size: 0
    .kernarg_segment_align: 8
    .kernarg_segment_size: 56
    .language:       OpenCL C
    .language_version:
      - 2
      - 0
    .max_flat_workgroup_size: 256
    .name:           _ZN7rocprim17ROCPRIM_400000_NS6detail17trampoline_kernelINS0_14default_configENS1_29binary_search_config_selectorIxbEEZNS1_14transform_implILb0ES3_S5_N6thrust23THRUST_200600_302600_NS6detail15normal_iteratorINS8_10device_ptrIxEEEENSA_INSB_IbEEEEZNS1_13binary_searchIS3_S5_SD_SD_SF_NS1_16binary_search_opENS9_16wrapped_functionINS0_4lessIvEEbEEEE10hipError_tPvRmT1_T2_T3_mmT4_T5_P12ihipStream_tbEUlRKxE_EESM_SQ_SR_mSS_SV_bEUlT_E_NS1_11comp_targetILNS1_3genE10ELNS1_11target_archE1201ELNS1_3gpuE5ELNS1_3repE0EEENS1_30default_config_static_selectorELNS0_4arch9wavefront6targetE1EEEvSP_
    .private_segment_fixed_size: 0
    .sgpr_count:     4
    .sgpr_spill_count: 0
    .symbol:         _ZN7rocprim17ROCPRIM_400000_NS6detail17trampoline_kernelINS0_14default_configENS1_29binary_search_config_selectorIxbEEZNS1_14transform_implILb0ES3_S5_N6thrust23THRUST_200600_302600_NS6detail15normal_iteratorINS8_10device_ptrIxEEEENSA_INSB_IbEEEEZNS1_13binary_searchIS3_S5_SD_SD_SF_NS1_16binary_search_opENS9_16wrapped_functionINS0_4lessIvEEbEEEE10hipError_tPvRmT1_T2_T3_mmT4_T5_P12ihipStream_tbEUlRKxE_EESM_SQ_SR_mSS_SV_bEUlT_E_NS1_11comp_targetILNS1_3genE10ELNS1_11target_archE1201ELNS1_3gpuE5ELNS1_3repE0EEENS1_30default_config_static_selectorELNS0_4arch9wavefront6targetE1EEEvSP_.kd
    .uniform_work_group_size: 1
    .uses_dynamic_stack: false
    .vgpr_count:     0
    .vgpr_spill_count: 0
    .wavefront_size: 64
  - .agpr_count:     0
    .args:
      - .offset:         0
        .size:           56
        .value_kind:     by_value
    .group_segment_fixed_size: 0
    .kernarg_segment_align: 8
    .kernarg_segment_size: 56
    .language:       OpenCL C
    .language_version:
      - 2
      - 0
    .max_flat_workgroup_size: 128
    .name:           _ZN7rocprim17ROCPRIM_400000_NS6detail17trampoline_kernelINS0_14default_configENS1_29binary_search_config_selectorIxbEEZNS1_14transform_implILb0ES3_S5_N6thrust23THRUST_200600_302600_NS6detail15normal_iteratorINS8_10device_ptrIxEEEENSA_INSB_IbEEEEZNS1_13binary_searchIS3_S5_SD_SD_SF_NS1_16binary_search_opENS9_16wrapped_functionINS0_4lessIvEEbEEEE10hipError_tPvRmT1_T2_T3_mmT4_T5_P12ihipStream_tbEUlRKxE_EESM_SQ_SR_mSS_SV_bEUlT_E_NS1_11comp_targetILNS1_3genE10ELNS1_11target_archE1200ELNS1_3gpuE4ELNS1_3repE0EEENS1_30default_config_static_selectorELNS0_4arch9wavefront6targetE1EEEvSP_
    .private_segment_fixed_size: 0
    .sgpr_count:     4
    .sgpr_spill_count: 0
    .symbol:         _ZN7rocprim17ROCPRIM_400000_NS6detail17trampoline_kernelINS0_14default_configENS1_29binary_search_config_selectorIxbEEZNS1_14transform_implILb0ES3_S5_N6thrust23THRUST_200600_302600_NS6detail15normal_iteratorINS8_10device_ptrIxEEEENSA_INSB_IbEEEEZNS1_13binary_searchIS3_S5_SD_SD_SF_NS1_16binary_search_opENS9_16wrapped_functionINS0_4lessIvEEbEEEE10hipError_tPvRmT1_T2_T3_mmT4_T5_P12ihipStream_tbEUlRKxE_EESM_SQ_SR_mSS_SV_bEUlT_E_NS1_11comp_targetILNS1_3genE10ELNS1_11target_archE1200ELNS1_3gpuE4ELNS1_3repE0EEENS1_30default_config_static_selectorELNS0_4arch9wavefront6targetE1EEEvSP_.kd
    .uniform_work_group_size: 1
    .uses_dynamic_stack: false
    .vgpr_count:     0
    .vgpr_spill_count: 0
    .wavefront_size: 64
  - .agpr_count:     0
    .args:
      - .offset:         0
        .size:           56
        .value_kind:     by_value
    .group_segment_fixed_size: 0
    .kernarg_segment_align: 8
    .kernarg_segment_size: 56
    .language:       OpenCL C
    .language_version:
      - 2
      - 0
    .max_flat_workgroup_size: 64
    .name:           _ZN7rocprim17ROCPRIM_400000_NS6detail17trampoline_kernelINS0_14default_configENS1_29binary_search_config_selectorIxbEEZNS1_14transform_implILb0ES3_S5_N6thrust23THRUST_200600_302600_NS6detail15normal_iteratorINS8_10device_ptrIxEEEENSA_INSB_IbEEEEZNS1_13binary_searchIS3_S5_SD_SD_SF_NS1_16binary_search_opENS9_16wrapped_functionINS0_4lessIvEEbEEEE10hipError_tPvRmT1_T2_T3_mmT4_T5_P12ihipStream_tbEUlRKxE_EESM_SQ_SR_mSS_SV_bEUlT_E_NS1_11comp_targetILNS1_3genE9ELNS1_11target_archE1100ELNS1_3gpuE3ELNS1_3repE0EEENS1_30default_config_static_selectorELNS0_4arch9wavefront6targetE1EEEvSP_
    .private_segment_fixed_size: 0
    .sgpr_count:     4
    .sgpr_spill_count: 0
    .symbol:         _ZN7rocprim17ROCPRIM_400000_NS6detail17trampoline_kernelINS0_14default_configENS1_29binary_search_config_selectorIxbEEZNS1_14transform_implILb0ES3_S5_N6thrust23THRUST_200600_302600_NS6detail15normal_iteratorINS8_10device_ptrIxEEEENSA_INSB_IbEEEEZNS1_13binary_searchIS3_S5_SD_SD_SF_NS1_16binary_search_opENS9_16wrapped_functionINS0_4lessIvEEbEEEE10hipError_tPvRmT1_T2_T3_mmT4_T5_P12ihipStream_tbEUlRKxE_EESM_SQ_SR_mSS_SV_bEUlT_E_NS1_11comp_targetILNS1_3genE9ELNS1_11target_archE1100ELNS1_3gpuE3ELNS1_3repE0EEENS1_30default_config_static_selectorELNS0_4arch9wavefront6targetE1EEEvSP_.kd
    .uniform_work_group_size: 1
    .uses_dynamic_stack: false
    .vgpr_count:     0
    .vgpr_spill_count: 0
    .wavefront_size: 64
  - .agpr_count:     0
    .args:
      - .offset:         0
        .size:           56
        .value_kind:     by_value
    .group_segment_fixed_size: 0
    .kernarg_segment_align: 8
    .kernarg_segment_size: 56
    .language:       OpenCL C
    .language_version:
      - 2
      - 0
    .max_flat_workgroup_size: 256
    .name:           _ZN7rocprim17ROCPRIM_400000_NS6detail17trampoline_kernelINS0_14default_configENS1_29binary_search_config_selectorIxbEEZNS1_14transform_implILb0ES3_S5_N6thrust23THRUST_200600_302600_NS6detail15normal_iteratorINS8_10device_ptrIxEEEENSA_INSB_IbEEEEZNS1_13binary_searchIS3_S5_SD_SD_SF_NS1_16binary_search_opENS9_16wrapped_functionINS0_4lessIvEEbEEEE10hipError_tPvRmT1_T2_T3_mmT4_T5_P12ihipStream_tbEUlRKxE_EESM_SQ_SR_mSS_SV_bEUlT_E_NS1_11comp_targetILNS1_3genE8ELNS1_11target_archE1030ELNS1_3gpuE2ELNS1_3repE0EEENS1_30default_config_static_selectorELNS0_4arch9wavefront6targetE1EEEvSP_
    .private_segment_fixed_size: 0
    .sgpr_count:     4
    .sgpr_spill_count: 0
    .symbol:         _ZN7rocprim17ROCPRIM_400000_NS6detail17trampoline_kernelINS0_14default_configENS1_29binary_search_config_selectorIxbEEZNS1_14transform_implILb0ES3_S5_N6thrust23THRUST_200600_302600_NS6detail15normal_iteratorINS8_10device_ptrIxEEEENSA_INSB_IbEEEEZNS1_13binary_searchIS3_S5_SD_SD_SF_NS1_16binary_search_opENS9_16wrapped_functionINS0_4lessIvEEbEEEE10hipError_tPvRmT1_T2_T3_mmT4_T5_P12ihipStream_tbEUlRKxE_EESM_SQ_SR_mSS_SV_bEUlT_E_NS1_11comp_targetILNS1_3genE8ELNS1_11target_archE1030ELNS1_3gpuE2ELNS1_3repE0EEENS1_30default_config_static_selectorELNS0_4arch9wavefront6targetE1EEEvSP_.kd
    .uniform_work_group_size: 1
    .uses_dynamic_stack: false
    .vgpr_count:     0
    .vgpr_spill_count: 0
    .wavefront_size: 64
  - .agpr_count:     0
    .args:
      - .offset:         0
        .size:           56
        .value_kind:     by_value
    .group_segment_fixed_size: 0
    .kernarg_segment_align: 8
    .kernarg_segment_size: 56
    .language:       OpenCL C
    .language_version:
      - 2
      - 0
    .max_flat_workgroup_size: 256
    .name:           _ZN7rocprim17ROCPRIM_400000_NS6detail17trampoline_kernelINS0_14default_configENS1_29binary_search_config_selectorIxiEEZNS1_14transform_implILb0ES3_S5_N6thrust23THRUST_200600_302600_NS6detail15normal_iteratorINS8_10device_ptrIxEEEENSA_INSB_IiEEEEZNS1_13binary_searchIS3_S5_SD_SD_SF_NS1_16binary_search_opENS9_16wrapped_functionINS0_4lessIvEEbEEEE10hipError_tPvRmT1_T2_T3_mmT4_T5_P12ihipStream_tbEUlRKxE_EESM_SQ_SR_mSS_SV_bEUlT_E_NS1_11comp_targetILNS1_3genE0ELNS1_11target_archE4294967295ELNS1_3gpuE0ELNS1_3repE0EEENS1_30default_config_static_selectorELNS0_4arch9wavefront6targetE1EEEvSP_
    .private_segment_fixed_size: 0
    .sgpr_count:     4
    .sgpr_spill_count: 0
    .symbol:         _ZN7rocprim17ROCPRIM_400000_NS6detail17trampoline_kernelINS0_14default_configENS1_29binary_search_config_selectorIxiEEZNS1_14transform_implILb0ES3_S5_N6thrust23THRUST_200600_302600_NS6detail15normal_iteratorINS8_10device_ptrIxEEEENSA_INSB_IiEEEEZNS1_13binary_searchIS3_S5_SD_SD_SF_NS1_16binary_search_opENS9_16wrapped_functionINS0_4lessIvEEbEEEE10hipError_tPvRmT1_T2_T3_mmT4_T5_P12ihipStream_tbEUlRKxE_EESM_SQ_SR_mSS_SV_bEUlT_E_NS1_11comp_targetILNS1_3genE0ELNS1_11target_archE4294967295ELNS1_3gpuE0ELNS1_3repE0EEENS1_30default_config_static_selectorELNS0_4arch9wavefront6targetE1EEEvSP_.kd
    .uniform_work_group_size: 1
    .uses_dynamic_stack: false
    .vgpr_count:     0
    .vgpr_spill_count: 0
    .wavefront_size: 64
  - .agpr_count:     0
    .args:
      - .offset:         0
        .size:           56
        .value_kind:     by_value
    .group_segment_fixed_size: 0
    .kernarg_segment_align: 8
    .kernarg_segment_size: 56
    .language:       OpenCL C
    .language_version:
      - 2
      - 0
    .max_flat_workgroup_size: 64
    .name:           _ZN7rocprim17ROCPRIM_400000_NS6detail17trampoline_kernelINS0_14default_configENS1_29binary_search_config_selectorIxiEEZNS1_14transform_implILb0ES3_S5_N6thrust23THRUST_200600_302600_NS6detail15normal_iteratorINS8_10device_ptrIxEEEENSA_INSB_IiEEEEZNS1_13binary_searchIS3_S5_SD_SD_SF_NS1_16binary_search_opENS9_16wrapped_functionINS0_4lessIvEEbEEEE10hipError_tPvRmT1_T2_T3_mmT4_T5_P12ihipStream_tbEUlRKxE_EESM_SQ_SR_mSS_SV_bEUlT_E_NS1_11comp_targetILNS1_3genE5ELNS1_11target_archE942ELNS1_3gpuE9ELNS1_3repE0EEENS1_30default_config_static_selectorELNS0_4arch9wavefront6targetE1EEEvSP_
    .private_segment_fixed_size: 0
    .sgpr_count:     4
    .sgpr_spill_count: 0
    .symbol:         _ZN7rocprim17ROCPRIM_400000_NS6detail17trampoline_kernelINS0_14default_configENS1_29binary_search_config_selectorIxiEEZNS1_14transform_implILb0ES3_S5_N6thrust23THRUST_200600_302600_NS6detail15normal_iteratorINS8_10device_ptrIxEEEENSA_INSB_IiEEEEZNS1_13binary_searchIS3_S5_SD_SD_SF_NS1_16binary_search_opENS9_16wrapped_functionINS0_4lessIvEEbEEEE10hipError_tPvRmT1_T2_T3_mmT4_T5_P12ihipStream_tbEUlRKxE_EESM_SQ_SR_mSS_SV_bEUlT_E_NS1_11comp_targetILNS1_3genE5ELNS1_11target_archE942ELNS1_3gpuE9ELNS1_3repE0EEENS1_30default_config_static_selectorELNS0_4arch9wavefront6targetE1EEEvSP_.kd
    .uniform_work_group_size: 1
    .uses_dynamic_stack: false
    .vgpr_count:     0
    .vgpr_spill_count: 0
    .wavefront_size: 64
  - .agpr_count:     0
    .args:
      - .offset:         0
        .size:           56
        .value_kind:     by_value
      - .offset:         56
        .size:           4
        .value_kind:     hidden_block_count_x
      - .offset:         60
        .size:           4
        .value_kind:     hidden_block_count_y
      - .offset:         64
        .size:           4
        .value_kind:     hidden_block_count_z
      - .offset:         68
        .size:           2
        .value_kind:     hidden_group_size_x
      - .offset:         70
        .size:           2
        .value_kind:     hidden_group_size_y
      - .offset:         72
        .size:           2
        .value_kind:     hidden_group_size_z
      - .offset:         74
        .size:           2
        .value_kind:     hidden_remainder_x
      - .offset:         76
        .size:           2
        .value_kind:     hidden_remainder_y
      - .offset:         78
        .size:           2
        .value_kind:     hidden_remainder_z
      - .offset:         96
        .size:           8
        .value_kind:     hidden_global_offset_x
      - .offset:         104
        .size:           8
        .value_kind:     hidden_global_offset_y
      - .offset:         112
        .size:           8
        .value_kind:     hidden_global_offset_z
      - .offset:         120
        .size:           2
        .value_kind:     hidden_grid_dims
    .group_segment_fixed_size: 0
    .kernarg_segment_align: 8
    .kernarg_segment_size: 312
    .language:       OpenCL C
    .language_version:
      - 2
      - 0
    .max_flat_workgroup_size: 64
    .name:           _ZN7rocprim17ROCPRIM_400000_NS6detail17trampoline_kernelINS0_14default_configENS1_29binary_search_config_selectorIxiEEZNS1_14transform_implILb0ES3_S5_N6thrust23THRUST_200600_302600_NS6detail15normal_iteratorINS8_10device_ptrIxEEEENSA_INSB_IiEEEEZNS1_13binary_searchIS3_S5_SD_SD_SF_NS1_16binary_search_opENS9_16wrapped_functionINS0_4lessIvEEbEEEE10hipError_tPvRmT1_T2_T3_mmT4_T5_P12ihipStream_tbEUlRKxE_EESM_SQ_SR_mSS_SV_bEUlT_E_NS1_11comp_targetILNS1_3genE4ELNS1_11target_archE910ELNS1_3gpuE8ELNS1_3repE0EEENS1_30default_config_static_selectorELNS0_4arch9wavefront6targetE1EEEvSP_
    .private_segment_fixed_size: 0
    .sgpr_count:     24
    .sgpr_spill_count: 0
    .symbol:         _ZN7rocprim17ROCPRIM_400000_NS6detail17trampoline_kernelINS0_14default_configENS1_29binary_search_config_selectorIxiEEZNS1_14transform_implILb0ES3_S5_N6thrust23THRUST_200600_302600_NS6detail15normal_iteratorINS8_10device_ptrIxEEEENSA_INSB_IiEEEEZNS1_13binary_searchIS3_S5_SD_SD_SF_NS1_16binary_search_opENS9_16wrapped_functionINS0_4lessIvEEbEEEE10hipError_tPvRmT1_T2_T3_mmT4_T5_P12ihipStream_tbEUlRKxE_EESM_SQ_SR_mSS_SV_bEUlT_E_NS1_11comp_targetILNS1_3genE4ELNS1_11target_archE910ELNS1_3gpuE8ELNS1_3repE0EEENS1_30default_config_static_selectorELNS0_4arch9wavefront6targetE1EEEvSP_.kd
    .uniform_work_group_size: 1
    .uses_dynamic_stack: false
    .vgpr_count:     14
    .vgpr_spill_count: 0
    .wavefront_size: 64
  - .agpr_count:     0
    .args:
      - .offset:         0
        .size:           56
        .value_kind:     by_value
    .group_segment_fixed_size: 0
    .kernarg_segment_align: 8
    .kernarg_segment_size: 56
    .language:       OpenCL C
    .language_version:
      - 2
      - 0
    .max_flat_workgroup_size: 256
    .name:           _ZN7rocprim17ROCPRIM_400000_NS6detail17trampoline_kernelINS0_14default_configENS1_29binary_search_config_selectorIxiEEZNS1_14transform_implILb0ES3_S5_N6thrust23THRUST_200600_302600_NS6detail15normal_iteratorINS8_10device_ptrIxEEEENSA_INSB_IiEEEEZNS1_13binary_searchIS3_S5_SD_SD_SF_NS1_16binary_search_opENS9_16wrapped_functionINS0_4lessIvEEbEEEE10hipError_tPvRmT1_T2_T3_mmT4_T5_P12ihipStream_tbEUlRKxE_EESM_SQ_SR_mSS_SV_bEUlT_E_NS1_11comp_targetILNS1_3genE3ELNS1_11target_archE908ELNS1_3gpuE7ELNS1_3repE0EEENS1_30default_config_static_selectorELNS0_4arch9wavefront6targetE1EEEvSP_
    .private_segment_fixed_size: 0
    .sgpr_count:     4
    .sgpr_spill_count: 0
    .symbol:         _ZN7rocprim17ROCPRIM_400000_NS6detail17trampoline_kernelINS0_14default_configENS1_29binary_search_config_selectorIxiEEZNS1_14transform_implILb0ES3_S5_N6thrust23THRUST_200600_302600_NS6detail15normal_iteratorINS8_10device_ptrIxEEEENSA_INSB_IiEEEEZNS1_13binary_searchIS3_S5_SD_SD_SF_NS1_16binary_search_opENS9_16wrapped_functionINS0_4lessIvEEbEEEE10hipError_tPvRmT1_T2_T3_mmT4_T5_P12ihipStream_tbEUlRKxE_EESM_SQ_SR_mSS_SV_bEUlT_E_NS1_11comp_targetILNS1_3genE3ELNS1_11target_archE908ELNS1_3gpuE7ELNS1_3repE0EEENS1_30default_config_static_selectorELNS0_4arch9wavefront6targetE1EEEvSP_.kd
    .uniform_work_group_size: 1
    .uses_dynamic_stack: false
    .vgpr_count:     0
    .vgpr_spill_count: 0
    .wavefront_size: 64
  - .agpr_count:     0
    .args:
      - .offset:         0
        .size:           56
        .value_kind:     by_value
    .group_segment_fixed_size: 0
    .kernarg_segment_align: 8
    .kernarg_segment_size: 56
    .language:       OpenCL C
    .language_version:
      - 2
      - 0
    .max_flat_workgroup_size: 256
    .name:           _ZN7rocprim17ROCPRIM_400000_NS6detail17trampoline_kernelINS0_14default_configENS1_29binary_search_config_selectorIxiEEZNS1_14transform_implILb0ES3_S5_N6thrust23THRUST_200600_302600_NS6detail15normal_iteratorINS8_10device_ptrIxEEEENSA_INSB_IiEEEEZNS1_13binary_searchIS3_S5_SD_SD_SF_NS1_16binary_search_opENS9_16wrapped_functionINS0_4lessIvEEbEEEE10hipError_tPvRmT1_T2_T3_mmT4_T5_P12ihipStream_tbEUlRKxE_EESM_SQ_SR_mSS_SV_bEUlT_E_NS1_11comp_targetILNS1_3genE2ELNS1_11target_archE906ELNS1_3gpuE6ELNS1_3repE0EEENS1_30default_config_static_selectorELNS0_4arch9wavefront6targetE1EEEvSP_
    .private_segment_fixed_size: 0
    .sgpr_count:     4
    .sgpr_spill_count: 0
    .symbol:         _ZN7rocprim17ROCPRIM_400000_NS6detail17trampoline_kernelINS0_14default_configENS1_29binary_search_config_selectorIxiEEZNS1_14transform_implILb0ES3_S5_N6thrust23THRUST_200600_302600_NS6detail15normal_iteratorINS8_10device_ptrIxEEEENSA_INSB_IiEEEEZNS1_13binary_searchIS3_S5_SD_SD_SF_NS1_16binary_search_opENS9_16wrapped_functionINS0_4lessIvEEbEEEE10hipError_tPvRmT1_T2_T3_mmT4_T5_P12ihipStream_tbEUlRKxE_EESM_SQ_SR_mSS_SV_bEUlT_E_NS1_11comp_targetILNS1_3genE2ELNS1_11target_archE906ELNS1_3gpuE6ELNS1_3repE0EEENS1_30default_config_static_selectorELNS0_4arch9wavefront6targetE1EEEvSP_.kd
    .uniform_work_group_size: 1
    .uses_dynamic_stack: false
    .vgpr_count:     0
    .vgpr_spill_count: 0
    .wavefront_size: 64
  - .agpr_count:     0
    .args:
      - .offset:         0
        .size:           56
        .value_kind:     by_value
    .group_segment_fixed_size: 0
    .kernarg_segment_align: 8
    .kernarg_segment_size: 56
    .language:       OpenCL C
    .language_version:
      - 2
      - 0
    .max_flat_workgroup_size: 128
    .name:           _ZN7rocprim17ROCPRIM_400000_NS6detail17trampoline_kernelINS0_14default_configENS1_29binary_search_config_selectorIxiEEZNS1_14transform_implILb0ES3_S5_N6thrust23THRUST_200600_302600_NS6detail15normal_iteratorINS8_10device_ptrIxEEEENSA_INSB_IiEEEEZNS1_13binary_searchIS3_S5_SD_SD_SF_NS1_16binary_search_opENS9_16wrapped_functionINS0_4lessIvEEbEEEE10hipError_tPvRmT1_T2_T3_mmT4_T5_P12ihipStream_tbEUlRKxE_EESM_SQ_SR_mSS_SV_bEUlT_E_NS1_11comp_targetILNS1_3genE10ELNS1_11target_archE1201ELNS1_3gpuE5ELNS1_3repE0EEENS1_30default_config_static_selectorELNS0_4arch9wavefront6targetE1EEEvSP_
    .private_segment_fixed_size: 0
    .sgpr_count:     4
    .sgpr_spill_count: 0
    .symbol:         _ZN7rocprim17ROCPRIM_400000_NS6detail17trampoline_kernelINS0_14default_configENS1_29binary_search_config_selectorIxiEEZNS1_14transform_implILb0ES3_S5_N6thrust23THRUST_200600_302600_NS6detail15normal_iteratorINS8_10device_ptrIxEEEENSA_INSB_IiEEEEZNS1_13binary_searchIS3_S5_SD_SD_SF_NS1_16binary_search_opENS9_16wrapped_functionINS0_4lessIvEEbEEEE10hipError_tPvRmT1_T2_T3_mmT4_T5_P12ihipStream_tbEUlRKxE_EESM_SQ_SR_mSS_SV_bEUlT_E_NS1_11comp_targetILNS1_3genE10ELNS1_11target_archE1201ELNS1_3gpuE5ELNS1_3repE0EEENS1_30default_config_static_selectorELNS0_4arch9wavefront6targetE1EEEvSP_.kd
    .uniform_work_group_size: 1
    .uses_dynamic_stack: false
    .vgpr_count:     0
    .vgpr_spill_count: 0
    .wavefront_size: 64
  - .agpr_count:     0
    .args:
      - .offset:         0
        .size:           56
        .value_kind:     by_value
    .group_segment_fixed_size: 0
    .kernarg_segment_align: 8
    .kernarg_segment_size: 56
    .language:       OpenCL C
    .language_version:
      - 2
      - 0
    .max_flat_workgroup_size: 128
    .name:           _ZN7rocprim17ROCPRIM_400000_NS6detail17trampoline_kernelINS0_14default_configENS1_29binary_search_config_selectorIxiEEZNS1_14transform_implILb0ES3_S5_N6thrust23THRUST_200600_302600_NS6detail15normal_iteratorINS8_10device_ptrIxEEEENSA_INSB_IiEEEEZNS1_13binary_searchIS3_S5_SD_SD_SF_NS1_16binary_search_opENS9_16wrapped_functionINS0_4lessIvEEbEEEE10hipError_tPvRmT1_T2_T3_mmT4_T5_P12ihipStream_tbEUlRKxE_EESM_SQ_SR_mSS_SV_bEUlT_E_NS1_11comp_targetILNS1_3genE10ELNS1_11target_archE1200ELNS1_3gpuE4ELNS1_3repE0EEENS1_30default_config_static_selectorELNS0_4arch9wavefront6targetE1EEEvSP_
    .private_segment_fixed_size: 0
    .sgpr_count:     4
    .sgpr_spill_count: 0
    .symbol:         _ZN7rocprim17ROCPRIM_400000_NS6detail17trampoline_kernelINS0_14default_configENS1_29binary_search_config_selectorIxiEEZNS1_14transform_implILb0ES3_S5_N6thrust23THRUST_200600_302600_NS6detail15normal_iteratorINS8_10device_ptrIxEEEENSA_INSB_IiEEEEZNS1_13binary_searchIS3_S5_SD_SD_SF_NS1_16binary_search_opENS9_16wrapped_functionINS0_4lessIvEEbEEEE10hipError_tPvRmT1_T2_T3_mmT4_T5_P12ihipStream_tbEUlRKxE_EESM_SQ_SR_mSS_SV_bEUlT_E_NS1_11comp_targetILNS1_3genE10ELNS1_11target_archE1200ELNS1_3gpuE4ELNS1_3repE0EEENS1_30default_config_static_selectorELNS0_4arch9wavefront6targetE1EEEvSP_.kd
    .uniform_work_group_size: 1
    .uses_dynamic_stack: false
    .vgpr_count:     0
    .vgpr_spill_count: 0
    .wavefront_size: 64
  - .agpr_count:     0
    .args:
      - .offset:         0
        .size:           56
        .value_kind:     by_value
    .group_segment_fixed_size: 0
    .kernarg_segment_align: 8
    .kernarg_segment_size: 56
    .language:       OpenCL C
    .language_version:
      - 2
      - 0
    .max_flat_workgroup_size: 256
    .name:           _ZN7rocprim17ROCPRIM_400000_NS6detail17trampoline_kernelINS0_14default_configENS1_29binary_search_config_selectorIxiEEZNS1_14transform_implILb0ES3_S5_N6thrust23THRUST_200600_302600_NS6detail15normal_iteratorINS8_10device_ptrIxEEEENSA_INSB_IiEEEEZNS1_13binary_searchIS3_S5_SD_SD_SF_NS1_16binary_search_opENS9_16wrapped_functionINS0_4lessIvEEbEEEE10hipError_tPvRmT1_T2_T3_mmT4_T5_P12ihipStream_tbEUlRKxE_EESM_SQ_SR_mSS_SV_bEUlT_E_NS1_11comp_targetILNS1_3genE9ELNS1_11target_archE1100ELNS1_3gpuE3ELNS1_3repE0EEENS1_30default_config_static_selectorELNS0_4arch9wavefront6targetE1EEEvSP_
    .private_segment_fixed_size: 0
    .sgpr_count:     4
    .sgpr_spill_count: 0
    .symbol:         _ZN7rocprim17ROCPRIM_400000_NS6detail17trampoline_kernelINS0_14default_configENS1_29binary_search_config_selectorIxiEEZNS1_14transform_implILb0ES3_S5_N6thrust23THRUST_200600_302600_NS6detail15normal_iteratorINS8_10device_ptrIxEEEENSA_INSB_IiEEEEZNS1_13binary_searchIS3_S5_SD_SD_SF_NS1_16binary_search_opENS9_16wrapped_functionINS0_4lessIvEEbEEEE10hipError_tPvRmT1_T2_T3_mmT4_T5_P12ihipStream_tbEUlRKxE_EESM_SQ_SR_mSS_SV_bEUlT_E_NS1_11comp_targetILNS1_3genE9ELNS1_11target_archE1100ELNS1_3gpuE3ELNS1_3repE0EEENS1_30default_config_static_selectorELNS0_4arch9wavefront6targetE1EEEvSP_.kd
    .uniform_work_group_size: 1
    .uses_dynamic_stack: false
    .vgpr_count:     0
    .vgpr_spill_count: 0
    .wavefront_size: 64
  - .agpr_count:     0
    .args:
      - .offset:         0
        .size:           56
        .value_kind:     by_value
    .group_segment_fixed_size: 0
    .kernarg_segment_align: 8
    .kernarg_segment_size: 56
    .language:       OpenCL C
    .language_version:
      - 2
      - 0
    .max_flat_workgroup_size: 256
    .name:           _ZN7rocprim17ROCPRIM_400000_NS6detail17trampoline_kernelINS0_14default_configENS1_29binary_search_config_selectorIxiEEZNS1_14transform_implILb0ES3_S5_N6thrust23THRUST_200600_302600_NS6detail15normal_iteratorINS8_10device_ptrIxEEEENSA_INSB_IiEEEEZNS1_13binary_searchIS3_S5_SD_SD_SF_NS1_16binary_search_opENS9_16wrapped_functionINS0_4lessIvEEbEEEE10hipError_tPvRmT1_T2_T3_mmT4_T5_P12ihipStream_tbEUlRKxE_EESM_SQ_SR_mSS_SV_bEUlT_E_NS1_11comp_targetILNS1_3genE8ELNS1_11target_archE1030ELNS1_3gpuE2ELNS1_3repE0EEENS1_30default_config_static_selectorELNS0_4arch9wavefront6targetE1EEEvSP_
    .private_segment_fixed_size: 0
    .sgpr_count:     4
    .sgpr_spill_count: 0
    .symbol:         _ZN7rocprim17ROCPRIM_400000_NS6detail17trampoline_kernelINS0_14default_configENS1_29binary_search_config_selectorIxiEEZNS1_14transform_implILb0ES3_S5_N6thrust23THRUST_200600_302600_NS6detail15normal_iteratorINS8_10device_ptrIxEEEENSA_INSB_IiEEEEZNS1_13binary_searchIS3_S5_SD_SD_SF_NS1_16binary_search_opENS9_16wrapped_functionINS0_4lessIvEEbEEEE10hipError_tPvRmT1_T2_T3_mmT4_T5_P12ihipStream_tbEUlRKxE_EESM_SQ_SR_mSS_SV_bEUlT_E_NS1_11comp_targetILNS1_3genE8ELNS1_11target_archE1030ELNS1_3gpuE2ELNS1_3repE0EEENS1_30default_config_static_selectorELNS0_4arch9wavefront6targetE1EEEvSP_.kd
    .uniform_work_group_size: 1
    .uses_dynamic_stack: false
    .vgpr_count:     0
    .vgpr_spill_count: 0
    .wavefront_size: 64
  - .agpr_count:     0
    .args:
      - .offset:         0
        .size:           56
        .value_kind:     by_value
    .group_segment_fixed_size: 0
    .kernarg_segment_align: 8
    .kernarg_segment_size: 56
    .language:       OpenCL C
    .language_version:
      - 2
      - 0
    .max_flat_workgroup_size: 256
    .name:           _ZN7rocprim17ROCPRIM_400000_NS6detail17trampoline_kernelINS0_14default_configENS1_29binary_search_config_selectorIibEEZNS1_14transform_implILb0ES3_S5_N6thrust23THRUST_200600_302600_NS6detail15normal_iteratorINS8_10device_ptrIiEEEENSA_INSB_IbEEEEZNS1_13binary_searchIS3_S5_SD_SD_SF_NS1_16binary_search_opENS9_16wrapped_functionINS0_4lessIvEEbEEEE10hipError_tPvRmT1_T2_T3_mmT4_T5_P12ihipStream_tbEUlRKiE_EESM_SQ_SR_mSS_SV_bEUlT_E_NS1_11comp_targetILNS1_3genE0ELNS1_11target_archE4294967295ELNS1_3gpuE0ELNS1_3repE0EEENS1_30default_config_static_selectorELNS0_4arch9wavefront6targetE1EEEvSP_
    .private_segment_fixed_size: 0
    .sgpr_count:     4
    .sgpr_spill_count: 0
    .symbol:         _ZN7rocprim17ROCPRIM_400000_NS6detail17trampoline_kernelINS0_14default_configENS1_29binary_search_config_selectorIibEEZNS1_14transform_implILb0ES3_S5_N6thrust23THRUST_200600_302600_NS6detail15normal_iteratorINS8_10device_ptrIiEEEENSA_INSB_IbEEEEZNS1_13binary_searchIS3_S5_SD_SD_SF_NS1_16binary_search_opENS9_16wrapped_functionINS0_4lessIvEEbEEEE10hipError_tPvRmT1_T2_T3_mmT4_T5_P12ihipStream_tbEUlRKiE_EESM_SQ_SR_mSS_SV_bEUlT_E_NS1_11comp_targetILNS1_3genE0ELNS1_11target_archE4294967295ELNS1_3gpuE0ELNS1_3repE0EEENS1_30default_config_static_selectorELNS0_4arch9wavefront6targetE1EEEvSP_.kd
    .uniform_work_group_size: 1
    .uses_dynamic_stack: false
    .vgpr_count:     0
    .vgpr_spill_count: 0
    .wavefront_size: 64
  - .agpr_count:     0
    .args:
      - .offset:         0
        .size:           56
        .value_kind:     by_value
    .group_segment_fixed_size: 0
    .kernarg_segment_align: 8
    .kernarg_segment_size: 56
    .language:       OpenCL C
    .language_version:
      - 2
      - 0
    .max_flat_workgroup_size: 256
    .name:           _ZN7rocprim17ROCPRIM_400000_NS6detail17trampoline_kernelINS0_14default_configENS1_29binary_search_config_selectorIibEEZNS1_14transform_implILb0ES3_S5_N6thrust23THRUST_200600_302600_NS6detail15normal_iteratorINS8_10device_ptrIiEEEENSA_INSB_IbEEEEZNS1_13binary_searchIS3_S5_SD_SD_SF_NS1_16binary_search_opENS9_16wrapped_functionINS0_4lessIvEEbEEEE10hipError_tPvRmT1_T2_T3_mmT4_T5_P12ihipStream_tbEUlRKiE_EESM_SQ_SR_mSS_SV_bEUlT_E_NS1_11comp_targetILNS1_3genE5ELNS1_11target_archE942ELNS1_3gpuE9ELNS1_3repE0EEENS1_30default_config_static_selectorELNS0_4arch9wavefront6targetE1EEEvSP_
    .private_segment_fixed_size: 0
    .sgpr_count:     4
    .sgpr_spill_count: 0
    .symbol:         _ZN7rocprim17ROCPRIM_400000_NS6detail17trampoline_kernelINS0_14default_configENS1_29binary_search_config_selectorIibEEZNS1_14transform_implILb0ES3_S5_N6thrust23THRUST_200600_302600_NS6detail15normal_iteratorINS8_10device_ptrIiEEEENSA_INSB_IbEEEEZNS1_13binary_searchIS3_S5_SD_SD_SF_NS1_16binary_search_opENS9_16wrapped_functionINS0_4lessIvEEbEEEE10hipError_tPvRmT1_T2_T3_mmT4_T5_P12ihipStream_tbEUlRKiE_EESM_SQ_SR_mSS_SV_bEUlT_E_NS1_11comp_targetILNS1_3genE5ELNS1_11target_archE942ELNS1_3gpuE9ELNS1_3repE0EEENS1_30default_config_static_selectorELNS0_4arch9wavefront6targetE1EEEvSP_.kd
    .uniform_work_group_size: 1
    .uses_dynamic_stack: false
    .vgpr_count:     0
    .vgpr_spill_count: 0
    .wavefront_size: 64
  - .agpr_count:     0
    .args:
      - .offset:         0
        .size:           56
        .value_kind:     by_value
      - .offset:         56
        .size:           4
        .value_kind:     hidden_block_count_x
      - .offset:         60
        .size:           4
        .value_kind:     hidden_block_count_y
      - .offset:         64
        .size:           4
        .value_kind:     hidden_block_count_z
      - .offset:         68
        .size:           2
        .value_kind:     hidden_group_size_x
      - .offset:         70
        .size:           2
        .value_kind:     hidden_group_size_y
      - .offset:         72
        .size:           2
        .value_kind:     hidden_group_size_z
      - .offset:         74
        .size:           2
        .value_kind:     hidden_remainder_x
      - .offset:         76
        .size:           2
        .value_kind:     hidden_remainder_y
      - .offset:         78
        .size:           2
        .value_kind:     hidden_remainder_z
      - .offset:         96
        .size:           8
        .value_kind:     hidden_global_offset_x
      - .offset:         104
        .size:           8
        .value_kind:     hidden_global_offset_y
      - .offset:         112
        .size:           8
        .value_kind:     hidden_global_offset_z
      - .offset:         120
        .size:           2
        .value_kind:     hidden_grid_dims
    .group_segment_fixed_size: 0
    .kernarg_segment_align: 8
    .kernarg_segment_size: 312
    .language:       OpenCL C
    .language_version:
      - 2
      - 0
    .max_flat_workgroup_size: 256
    .name:           _ZN7rocprim17ROCPRIM_400000_NS6detail17trampoline_kernelINS0_14default_configENS1_29binary_search_config_selectorIibEEZNS1_14transform_implILb0ES3_S5_N6thrust23THRUST_200600_302600_NS6detail15normal_iteratorINS8_10device_ptrIiEEEENSA_INSB_IbEEEEZNS1_13binary_searchIS3_S5_SD_SD_SF_NS1_16binary_search_opENS9_16wrapped_functionINS0_4lessIvEEbEEEE10hipError_tPvRmT1_T2_T3_mmT4_T5_P12ihipStream_tbEUlRKiE_EESM_SQ_SR_mSS_SV_bEUlT_E_NS1_11comp_targetILNS1_3genE4ELNS1_11target_archE910ELNS1_3gpuE8ELNS1_3repE0EEENS1_30default_config_static_selectorELNS0_4arch9wavefront6targetE1EEEvSP_
    .private_segment_fixed_size: 0
    .sgpr_count:     22
    .sgpr_spill_count: 0
    .symbol:         _ZN7rocprim17ROCPRIM_400000_NS6detail17trampoline_kernelINS0_14default_configENS1_29binary_search_config_selectorIibEEZNS1_14transform_implILb0ES3_S5_N6thrust23THRUST_200600_302600_NS6detail15normal_iteratorINS8_10device_ptrIiEEEENSA_INSB_IbEEEEZNS1_13binary_searchIS3_S5_SD_SD_SF_NS1_16binary_search_opENS9_16wrapped_functionINS0_4lessIvEEbEEEE10hipError_tPvRmT1_T2_T3_mmT4_T5_P12ihipStream_tbEUlRKiE_EESM_SQ_SR_mSS_SV_bEUlT_E_NS1_11comp_targetILNS1_3genE4ELNS1_11target_archE910ELNS1_3gpuE8ELNS1_3repE0EEENS1_30default_config_static_selectorELNS0_4arch9wavefront6targetE1EEEvSP_.kd
    .uniform_work_group_size: 1
    .uses_dynamic_stack: false
    .vgpr_count:     12
    .vgpr_spill_count: 0
    .wavefront_size: 64
  - .agpr_count:     0
    .args:
      - .offset:         0
        .size:           56
        .value_kind:     by_value
    .group_segment_fixed_size: 0
    .kernarg_segment_align: 8
    .kernarg_segment_size: 56
    .language:       OpenCL C
    .language_version:
      - 2
      - 0
    .max_flat_workgroup_size: 256
    .name:           _ZN7rocprim17ROCPRIM_400000_NS6detail17trampoline_kernelINS0_14default_configENS1_29binary_search_config_selectorIibEEZNS1_14transform_implILb0ES3_S5_N6thrust23THRUST_200600_302600_NS6detail15normal_iteratorINS8_10device_ptrIiEEEENSA_INSB_IbEEEEZNS1_13binary_searchIS3_S5_SD_SD_SF_NS1_16binary_search_opENS9_16wrapped_functionINS0_4lessIvEEbEEEE10hipError_tPvRmT1_T2_T3_mmT4_T5_P12ihipStream_tbEUlRKiE_EESM_SQ_SR_mSS_SV_bEUlT_E_NS1_11comp_targetILNS1_3genE3ELNS1_11target_archE908ELNS1_3gpuE7ELNS1_3repE0EEENS1_30default_config_static_selectorELNS0_4arch9wavefront6targetE1EEEvSP_
    .private_segment_fixed_size: 0
    .sgpr_count:     4
    .sgpr_spill_count: 0
    .symbol:         _ZN7rocprim17ROCPRIM_400000_NS6detail17trampoline_kernelINS0_14default_configENS1_29binary_search_config_selectorIibEEZNS1_14transform_implILb0ES3_S5_N6thrust23THRUST_200600_302600_NS6detail15normal_iteratorINS8_10device_ptrIiEEEENSA_INSB_IbEEEEZNS1_13binary_searchIS3_S5_SD_SD_SF_NS1_16binary_search_opENS9_16wrapped_functionINS0_4lessIvEEbEEEE10hipError_tPvRmT1_T2_T3_mmT4_T5_P12ihipStream_tbEUlRKiE_EESM_SQ_SR_mSS_SV_bEUlT_E_NS1_11comp_targetILNS1_3genE3ELNS1_11target_archE908ELNS1_3gpuE7ELNS1_3repE0EEENS1_30default_config_static_selectorELNS0_4arch9wavefront6targetE1EEEvSP_.kd
    .uniform_work_group_size: 1
    .uses_dynamic_stack: false
    .vgpr_count:     0
    .vgpr_spill_count: 0
    .wavefront_size: 64
  - .agpr_count:     0
    .args:
      - .offset:         0
        .size:           56
        .value_kind:     by_value
    .group_segment_fixed_size: 0
    .kernarg_segment_align: 8
    .kernarg_segment_size: 56
    .language:       OpenCL C
    .language_version:
      - 2
      - 0
    .max_flat_workgroup_size: 256
    .name:           _ZN7rocprim17ROCPRIM_400000_NS6detail17trampoline_kernelINS0_14default_configENS1_29binary_search_config_selectorIibEEZNS1_14transform_implILb0ES3_S5_N6thrust23THRUST_200600_302600_NS6detail15normal_iteratorINS8_10device_ptrIiEEEENSA_INSB_IbEEEEZNS1_13binary_searchIS3_S5_SD_SD_SF_NS1_16binary_search_opENS9_16wrapped_functionINS0_4lessIvEEbEEEE10hipError_tPvRmT1_T2_T3_mmT4_T5_P12ihipStream_tbEUlRKiE_EESM_SQ_SR_mSS_SV_bEUlT_E_NS1_11comp_targetILNS1_3genE2ELNS1_11target_archE906ELNS1_3gpuE6ELNS1_3repE0EEENS1_30default_config_static_selectorELNS0_4arch9wavefront6targetE1EEEvSP_
    .private_segment_fixed_size: 0
    .sgpr_count:     4
    .sgpr_spill_count: 0
    .symbol:         _ZN7rocprim17ROCPRIM_400000_NS6detail17trampoline_kernelINS0_14default_configENS1_29binary_search_config_selectorIibEEZNS1_14transform_implILb0ES3_S5_N6thrust23THRUST_200600_302600_NS6detail15normal_iteratorINS8_10device_ptrIiEEEENSA_INSB_IbEEEEZNS1_13binary_searchIS3_S5_SD_SD_SF_NS1_16binary_search_opENS9_16wrapped_functionINS0_4lessIvEEbEEEE10hipError_tPvRmT1_T2_T3_mmT4_T5_P12ihipStream_tbEUlRKiE_EESM_SQ_SR_mSS_SV_bEUlT_E_NS1_11comp_targetILNS1_3genE2ELNS1_11target_archE906ELNS1_3gpuE6ELNS1_3repE0EEENS1_30default_config_static_selectorELNS0_4arch9wavefront6targetE1EEEvSP_.kd
    .uniform_work_group_size: 1
    .uses_dynamic_stack: false
    .vgpr_count:     0
    .vgpr_spill_count: 0
    .wavefront_size: 64
  - .agpr_count:     0
    .args:
      - .offset:         0
        .size:           56
        .value_kind:     by_value
    .group_segment_fixed_size: 0
    .kernarg_segment_align: 8
    .kernarg_segment_size: 56
    .language:       OpenCL C
    .language_version:
      - 2
      - 0
    .max_flat_workgroup_size: 128
    .name:           _ZN7rocprim17ROCPRIM_400000_NS6detail17trampoline_kernelINS0_14default_configENS1_29binary_search_config_selectorIibEEZNS1_14transform_implILb0ES3_S5_N6thrust23THRUST_200600_302600_NS6detail15normal_iteratorINS8_10device_ptrIiEEEENSA_INSB_IbEEEEZNS1_13binary_searchIS3_S5_SD_SD_SF_NS1_16binary_search_opENS9_16wrapped_functionINS0_4lessIvEEbEEEE10hipError_tPvRmT1_T2_T3_mmT4_T5_P12ihipStream_tbEUlRKiE_EESM_SQ_SR_mSS_SV_bEUlT_E_NS1_11comp_targetILNS1_3genE10ELNS1_11target_archE1201ELNS1_3gpuE5ELNS1_3repE0EEENS1_30default_config_static_selectorELNS0_4arch9wavefront6targetE1EEEvSP_
    .private_segment_fixed_size: 0
    .sgpr_count:     4
    .sgpr_spill_count: 0
    .symbol:         _ZN7rocprim17ROCPRIM_400000_NS6detail17trampoline_kernelINS0_14default_configENS1_29binary_search_config_selectorIibEEZNS1_14transform_implILb0ES3_S5_N6thrust23THRUST_200600_302600_NS6detail15normal_iteratorINS8_10device_ptrIiEEEENSA_INSB_IbEEEEZNS1_13binary_searchIS3_S5_SD_SD_SF_NS1_16binary_search_opENS9_16wrapped_functionINS0_4lessIvEEbEEEE10hipError_tPvRmT1_T2_T3_mmT4_T5_P12ihipStream_tbEUlRKiE_EESM_SQ_SR_mSS_SV_bEUlT_E_NS1_11comp_targetILNS1_3genE10ELNS1_11target_archE1201ELNS1_3gpuE5ELNS1_3repE0EEENS1_30default_config_static_selectorELNS0_4arch9wavefront6targetE1EEEvSP_.kd
    .uniform_work_group_size: 1
    .uses_dynamic_stack: false
    .vgpr_count:     0
    .vgpr_spill_count: 0
    .wavefront_size: 64
  - .agpr_count:     0
    .args:
      - .offset:         0
        .size:           56
        .value_kind:     by_value
    .group_segment_fixed_size: 0
    .kernarg_segment_align: 8
    .kernarg_segment_size: 56
    .language:       OpenCL C
    .language_version:
      - 2
      - 0
    .max_flat_workgroup_size: 128
    .name:           _ZN7rocprim17ROCPRIM_400000_NS6detail17trampoline_kernelINS0_14default_configENS1_29binary_search_config_selectorIibEEZNS1_14transform_implILb0ES3_S5_N6thrust23THRUST_200600_302600_NS6detail15normal_iteratorINS8_10device_ptrIiEEEENSA_INSB_IbEEEEZNS1_13binary_searchIS3_S5_SD_SD_SF_NS1_16binary_search_opENS9_16wrapped_functionINS0_4lessIvEEbEEEE10hipError_tPvRmT1_T2_T3_mmT4_T5_P12ihipStream_tbEUlRKiE_EESM_SQ_SR_mSS_SV_bEUlT_E_NS1_11comp_targetILNS1_3genE10ELNS1_11target_archE1200ELNS1_3gpuE4ELNS1_3repE0EEENS1_30default_config_static_selectorELNS0_4arch9wavefront6targetE1EEEvSP_
    .private_segment_fixed_size: 0
    .sgpr_count:     4
    .sgpr_spill_count: 0
    .symbol:         _ZN7rocprim17ROCPRIM_400000_NS6detail17trampoline_kernelINS0_14default_configENS1_29binary_search_config_selectorIibEEZNS1_14transform_implILb0ES3_S5_N6thrust23THRUST_200600_302600_NS6detail15normal_iteratorINS8_10device_ptrIiEEEENSA_INSB_IbEEEEZNS1_13binary_searchIS3_S5_SD_SD_SF_NS1_16binary_search_opENS9_16wrapped_functionINS0_4lessIvEEbEEEE10hipError_tPvRmT1_T2_T3_mmT4_T5_P12ihipStream_tbEUlRKiE_EESM_SQ_SR_mSS_SV_bEUlT_E_NS1_11comp_targetILNS1_3genE10ELNS1_11target_archE1200ELNS1_3gpuE4ELNS1_3repE0EEENS1_30default_config_static_selectorELNS0_4arch9wavefront6targetE1EEEvSP_.kd
    .uniform_work_group_size: 1
    .uses_dynamic_stack: false
    .vgpr_count:     0
    .vgpr_spill_count: 0
    .wavefront_size: 64
  - .agpr_count:     0
    .args:
      - .offset:         0
        .size:           56
        .value_kind:     by_value
    .group_segment_fixed_size: 0
    .kernarg_segment_align: 8
    .kernarg_segment_size: 56
    .language:       OpenCL C
    .language_version:
      - 2
      - 0
    .max_flat_workgroup_size: 256
    .name:           _ZN7rocprim17ROCPRIM_400000_NS6detail17trampoline_kernelINS0_14default_configENS1_29binary_search_config_selectorIibEEZNS1_14transform_implILb0ES3_S5_N6thrust23THRUST_200600_302600_NS6detail15normal_iteratorINS8_10device_ptrIiEEEENSA_INSB_IbEEEEZNS1_13binary_searchIS3_S5_SD_SD_SF_NS1_16binary_search_opENS9_16wrapped_functionINS0_4lessIvEEbEEEE10hipError_tPvRmT1_T2_T3_mmT4_T5_P12ihipStream_tbEUlRKiE_EESM_SQ_SR_mSS_SV_bEUlT_E_NS1_11comp_targetILNS1_3genE9ELNS1_11target_archE1100ELNS1_3gpuE3ELNS1_3repE0EEENS1_30default_config_static_selectorELNS0_4arch9wavefront6targetE1EEEvSP_
    .private_segment_fixed_size: 0
    .sgpr_count:     4
    .sgpr_spill_count: 0
    .symbol:         _ZN7rocprim17ROCPRIM_400000_NS6detail17trampoline_kernelINS0_14default_configENS1_29binary_search_config_selectorIibEEZNS1_14transform_implILb0ES3_S5_N6thrust23THRUST_200600_302600_NS6detail15normal_iteratorINS8_10device_ptrIiEEEENSA_INSB_IbEEEEZNS1_13binary_searchIS3_S5_SD_SD_SF_NS1_16binary_search_opENS9_16wrapped_functionINS0_4lessIvEEbEEEE10hipError_tPvRmT1_T2_T3_mmT4_T5_P12ihipStream_tbEUlRKiE_EESM_SQ_SR_mSS_SV_bEUlT_E_NS1_11comp_targetILNS1_3genE9ELNS1_11target_archE1100ELNS1_3gpuE3ELNS1_3repE0EEENS1_30default_config_static_selectorELNS0_4arch9wavefront6targetE1EEEvSP_.kd
    .uniform_work_group_size: 1
    .uses_dynamic_stack: false
    .vgpr_count:     0
    .vgpr_spill_count: 0
    .wavefront_size: 64
  - .agpr_count:     0
    .args:
      - .offset:         0
        .size:           56
        .value_kind:     by_value
    .group_segment_fixed_size: 0
    .kernarg_segment_align: 8
    .kernarg_segment_size: 56
    .language:       OpenCL C
    .language_version:
      - 2
      - 0
    .max_flat_workgroup_size: 256
    .name:           _ZN7rocprim17ROCPRIM_400000_NS6detail17trampoline_kernelINS0_14default_configENS1_29binary_search_config_selectorIibEEZNS1_14transform_implILb0ES3_S5_N6thrust23THRUST_200600_302600_NS6detail15normal_iteratorINS8_10device_ptrIiEEEENSA_INSB_IbEEEEZNS1_13binary_searchIS3_S5_SD_SD_SF_NS1_16binary_search_opENS9_16wrapped_functionINS0_4lessIvEEbEEEE10hipError_tPvRmT1_T2_T3_mmT4_T5_P12ihipStream_tbEUlRKiE_EESM_SQ_SR_mSS_SV_bEUlT_E_NS1_11comp_targetILNS1_3genE8ELNS1_11target_archE1030ELNS1_3gpuE2ELNS1_3repE0EEENS1_30default_config_static_selectorELNS0_4arch9wavefront6targetE1EEEvSP_
    .private_segment_fixed_size: 0
    .sgpr_count:     4
    .sgpr_spill_count: 0
    .symbol:         _ZN7rocprim17ROCPRIM_400000_NS6detail17trampoline_kernelINS0_14default_configENS1_29binary_search_config_selectorIibEEZNS1_14transform_implILb0ES3_S5_N6thrust23THRUST_200600_302600_NS6detail15normal_iteratorINS8_10device_ptrIiEEEENSA_INSB_IbEEEEZNS1_13binary_searchIS3_S5_SD_SD_SF_NS1_16binary_search_opENS9_16wrapped_functionINS0_4lessIvEEbEEEE10hipError_tPvRmT1_T2_T3_mmT4_T5_P12ihipStream_tbEUlRKiE_EESM_SQ_SR_mSS_SV_bEUlT_E_NS1_11comp_targetILNS1_3genE8ELNS1_11target_archE1030ELNS1_3gpuE2ELNS1_3repE0EEENS1_30default_config_static_selectorELNS0_4arch9wavefront6targetE1EEEvSP_.kd
    .uniform_work_group_size: 1
    .uses_dynamic_stack: false
    .vgpr_count:     0
    .vgpr_spill_count: 0
    .wavefront_size: 64
  - .agpr_count:     0
    .args:
      - .offset:         0
        .size:           56
        .value_kind:     by_value
    .group_segment_fixed_size: 0
    .kernarg_segment_align: 8
    .kernarg_segment_size: 56
    .language:       OpenCL C
    .language_version:
      - 2
      - 0
    .max_flat_workgroup_size: 256
    .name:           _ZN7rocprim17ROCPRIM_400000_NS6detail17trampoline_kernelINS0_14default_configENS1_29binary_search_config_selectorIiiEEZNS1_14transform_implILb0ES3_S5_N6thrust23THRUST_200600_302600_NS6detail15normal_iteratorINS8_10device_ptrIiEEEESD_ZNS1_13binary_searchIS3_S5_SD_SD_SD_NS1_16binary_search_opENS9_16wrapped_functionINS0_4lessIvEEbEEEE10hipError_tPvRmT1_T2_T3_mmT4_T5_P12ihipStream_tbEUlRKiE_EESK_SO_SP_mSQ_ST_bEUlT_E_NS1_11comp_targetILNS1_3genE0ELNS1_11target_archE4294967295ELNS1_3gpuE0ELNS1_3repE0EEENS1_30default_config_static_selectorELNS0_4arch9wavefront6targetE1EEEvSN_
    .private_segment_fixed_size: 0
    .sgpr_count:     4
    .sgpr_spill_count: 0
    .symbol:         _ZN7rocprim17ROCPRIM_400000_NS6detail17trampoline_kernelINS0_14default_configENS1_29binary_search_config_selectorIiiEEZNS1_14transform_implILb0ES3_S5_N6thrust23THRUST_200600_302600_NS6detail15normal_iteratorINS8_10device_ptrIiEEEESD_ZNS1_13binary_searchIS3_S5_SD_SD_SD_NS1_16binary_search_opENS9_16wrapped_functionINS0_4lessIvEEbEEEE10hipError_tPvRmT1_T2_T3_mmT4_T5_P12ihipStream_tbEUlRKiE_EESK_SO_SP_mSQ_ST_bEUlT_E_NS1_11comp_targetILNS1_3genE0ELNS1_11target_archE4294967295ELNS1_3gpuE0ELNS1_3repE0EEENS1_30default_config_static_selectorELNS0_4arch9wavefront6targetE1EEEvSN_.kd
    .uniform_work_group_size: 1
    .uses_dynamic_stack: false
    .vgpr_count:     0
    .vgpr_spill_count: 0
    .wavefront_size: 64
  - .agpr_count:     0
    .args:
      - .offset:         0
        .size:           56
        .value_kind:     by_value
    .group_segment_fixed_size: 0
    .kernarg_segment_align: 8
    .kernarg_segment_size: 56
    .language:       OpenCL C
    .language_version:
      - 2
      - 0
    .max_flat_workgroup_size: 256
    .name:           _ZN7rocprim17ROCPRIM_400000_NS6detail17trampoline_kernelINS0_14default_configENS1_29binary_search_config_selectorIiiEEZNS1_14transform_implILb0ES3_S5_N6thrust23THRUST_200600_302600_NS6detail15normal_iteratorINS8_10device_ptrIiEEEESD_ZNS1_13binary_searchIS3_S5_SD_SD_SD_NS1_16binary_search_opENS9_16wrapped_functionINS0_4lessIvEEbEEEE10hipError_tPvRmT1_T2_T3_mmT4_T5_P12ihipStream_tbEUlRKiE_EESK_SO_SP_mSQ_ST_bEUlT_E_NS1_11comp_targetILNS1_3genE5ELNS1_11target_archE942ELNS1_3gpuE9ELNS1_3repE0EEENS1_30default_config_static_selectorELNS0_4arch9wavefront6targetE1EEEvSN_
    .private_segment_fixed_size: 0
    .sgpr_count:     4
    .sgpr_spill_count: 0
    .symbol:         _ZN7rocprim17ROCPRIM_400000_NS6detail17trampoline_kernelINS0_14default_configENS1_29binary_search_config_selectorIiiEEZNS1_14transform_implILb0ES3_S5_N6thrust23THRUST_200600_302600_NS6detail15normal_iteratorINS8_10device_ptrIiEEEESD_ZNS1_13binary_searchIS3_S5_SD_SD_SD_NS1_16binary_search_opENS9_16wrapped_functionINS0_4lessIvEEbEEEE10hipError_tPvRmT1_T2_T3_mmT4_T5_P12ihipStream_tbEUlRKiE_EESK_SO_SP_mSQ_ST_bEUlT_E_NS1_11comp_targetILNS1_3genE5ELNS1_11target_archE942ELNS1_3gpuE9ELNS1_3repE0EEENS1_30default_config_static_selectorELNS0_4arch9wavefront6targetE1EEEvSN_.kd
    .uniform_work_group_size: 1
    .uses_dynamic_stack: false
    .vgpr_count:     0
    .vgpr_spill_count: 0
    .wavefront_size: 64
  - .agpr_count:     0
    .args:
      - .offset:         0
        .size:           56
        .value_kind:     by_value
      - .offset:         56
        .size:           4
        .value_kind:     hidden_block_count_x
      - .offset:         60
        .size:           4
        .value_kind:     hidden_block_count_y
      - .offset:         64
        .size:           4
        .value_kind:     hidden_block_count_z
      - .offset:         68
        .size:           2
        .value_kind:     hidden_group_size_x
      - .offset:         70
        .size:           2
        .value_kind:     hidden_group_size_y
      - .offset:         72
        .size:           2
        .value_kind:     hidden_group_size_z
      - .offset:         74
        .size:           2
        .value_kind:     hidden_remainder_x
      - .offset:         76
        .size:           2
        .value_kind:     hidden_remainder_y
      - .offset:         78
        .size:           2
        .value_kind:     hidden_remainder_z
      - .offset:         96
        .size:           8
        .value_kind:     hidden_global_offset_x
      - .offset:         104
        .size:           8
        .value_kind:     hidden_global_offset_y
      - .offset:         112
        .size:           8
        .value_kind:     hidden_global_offset_z
      - .offset:         120
        .size:           2
        .value_kind:     hidden_grid_dims
    .group_segment_fixed_size: 0
    .kernarg_segment_align: 8
    .kernarg_segment_size: 312
    .language:       OpenCL C
    .language_version:
      - 2
      - 0
    .max_flat_workgroup_size: 256
    .name:           _ZN7rocprim17ROCPRIM_400000_NS6detail17trampoline_kernelINS0_14default_configENS1_29binary_search_config_selectorIiiEEZNS1_14transform_implILb0ES3_S5_N6thrust23THRUST_200600_302600_NS6detail15normal_iteratorINS8_10device_ptrIiEEEESD_ZNS1_13binary_searchIS3_S5_SD_SD_SD_NS1_16binary_search_opENS9_16wrapped_functionINS0_4lessIvEEbEEEE10hipError_tPvRmT1_T2_T3_mmT4_T5_P12ihipStream_tbEUlRKiE_EESK_SO_SP_mSQ_ST_bEUlT_E_NS1_11comp_targetILNS1_3genE4ELNS1_11target_archE910ELNS1_3gpuE8ELNS1_3repE0EEENS1_30default_config_static_selectorELNS0_4arch9wavefront6targetE1EEEvSN_
    .private_segment_fixed_size: 0
    .sgpr_count:     20
    .sgpr_spill_count: 0
    .symbol:         _ZN7rocprim17ROCPRIM_400000_NS6detail17trampoline_kernelINS0_14default_configENS1_29binary_search_config_selectorIiiEEZNS1_14transform_implILb0ES3_S5_N6thrust23THRUST_200600_302600_NS6detail15normal_iteratorINS8_10device_ptrIiEEEESD_ZNS1_13binary_searchIS3_S5_SD_SD_SD_NS1_16binary_search_opENS9_16wrapped_functionINS0_4lessIvEEbEEEE10hipError_tPvRmT1_T2_T3_mmT4_T5_P12ihipStream_tbEUlRKiE_EESK_SO_SP_mSQ_ST_bEUlT_E_NS1_11comp_targetILNS1_3genE4ELNS1_11target_archE910ELNS1_3gpuE8ELNS1_3repE0EEENS1_30default_config_static_selectorELNS0_4arch9wavefront6targetE1EEEvSN_.kd
    .uniform_work_group_size: 1
    .uses_dynamic_stack: false
    .vgpr_count:     13
    .vgpr_spill_count: 0
    .wavefront_size: 64
  - .agpr_count:     0
    .args:
      - .offset:         0
        .size:           56
        .value_kind:     by_value
    .group_segment_fixed_size: 0
    .kernarg_segment_align: 8
    .kernarg_segment_size: 56
    .language:       OpenCL C
    .language_version:
      - 2
      - 0
    .max_flat_workgroup_size: 256
    .name:           _ZN7rocprim17ROCPRIM_400000_NS6detail17trampoline_kernelINS0_14default_configENS1_29binary_search_config_selectorIiiEEZNS1_14transform_implILb0ES3_S5_N6thrust23THRUST_200600_302600_NS6detail15normal_iteratorINS8_10device_ptrIiEEEESD_ZNS1_13binary_searchIS3_S5_SD_SD_SD_NS1_16binary_search_opENS9_16wrapped_functionINS0_4lessIvEEbEEEE10hipError_tPvRmT1_T2_T3_mmT4_T5_P12ihipStream_tbEUlRKiE_EESK_SO_SP_mSQ_ST_bEUlT_E_NS1_11comp_targetILNS1_3genE3ELNS1_11target_archE908ELNS1_3gpuE7ELNS1_3repE0EEENS1_30default_config_static_selectorELNS0_4arch9wavefront6targetE1EEEvSN_
    .private_segment_fixed_size: 0
    .sgpr_count:     4
    .sgpr_spill_count: 0
    .symbol:         _ZN7rocprim17ROCPRIM_400000_NS6detail17trampoline_kernelINS0_14default_configENS1_29binary_search_config_selectorIiiEEZNS1_14transform_implILb0ES3_S5_N6thrust23THRUST_200600_302600_NS6detail15normal_iteratorINS8_10device_ptrIiEEEESD_ZNS1_13binary_searchIS3_S5_SD_SD_SD_NS1_16binary_search_opENS9_16wrapped_functionINS0_4lessIvEEbEEEE10hipError_tPvRmT1_T2_T3_mmT4_T5_P12ihipStream_tbEUlRKiE_EESK_SO_SP_mSQ_ST_bEUlT_E_NS1_11comp_targetILNS1_3genE3ELNS1_11target_archE908ELNS1_3gpuE7ELNS1_3repE0EEENS1_30default_config_static_selectorELNS0_4arch9wavefront6targetE1EEEvSN_.kd
    .uniform_work_group_size: 1
    .uses_dynamic_stack: false
    .vgpr_count:     0
    .vgpr_spill_count: 0
    .wavefront_size: 64
  - .agpr_count:     0
    .args:
      - .offset:         0
        .size:           56
        .value_kind:     by_value
    .group_segment_fixed_size: 0
    .kernarg_segment_align: 8
    .kernarg_segment_size: 56
    .language:       OpenCL C
    .language_version:
      - 2
      - 0
    .max_flat_workgroup_size: 256
    .name:           _ZN7rocprim17ROCPRIM_400000_NS6detail17trampoline_kernelINS0_14default_configENS1_29binary_search_config_selectorIiiEEZNS1_14transform_implILb0ES3_S5_N6thrust23THRUST_200600_302600_NS6detail15normal_iteratorINS8_10device_ptrIiEEEESD_ZNS1_13binary_searchIS3_S5_SD_SD_SD_NS1_16binary_search_opENS9_16wrapped_functionINS0_4lessIvEEbEEEE10hipError_tPvRmT1_T2_T3_mmT4_T5_P12ihipStream_tbEUlRKiE_EESK_SO_SP_mSQ_ST_bEUlT_E_NS1_11comp_targetILNS1_3genE2ELNS1_11target_archE906ELNS1_3gpuE6ELNS1_3repE0EEENS1_30default_config_static_selectorELNS0_4arch9wavefront6targetE1EEEvSN_
    .private_segment_fixed_size: 0
    .sgpr_count:     4
    .sgpr_spill_count: 0
    .symbol:         _ZN7rocprim17ROCPRIM_400000_NS6detail17trampoline_kernelINS0_14default_configENS1_29binary_search_config_selectorIiiEEZNS1_14transform_implILb0ES3_S5_N6thrust23THRUST_200600_302600_NS6detail15normal_iteratorINS8_10device_ptrIiEEEESD_ZNS1_13binary_searchIS3_S5_SD_SD_SD_NS1_16binary_search_opENS9_16wrapped_functionINS0_4lessIvEEbEEEE10hipError_tPvRmT1_T2_T3_mmT4_T5_P12ihipStream_tbEUlRKiE_EESK_SO_SP_mSQ_ST_bEUlT_E_NS1_11comp_targetILNS1_3genE2ELNS1_11target_archE906ELNS1_3gpuE6ELNS1_3repE0EEENS1_30default_config_static_selectorELNS0_4arch9wavefront6targetE1EEEvSN_.kd
    .uniform_work_group_size: 1
    .uses_dynamic_stack: false
    .vgpr_count:     0
    .vgpr_spill_count: 0
    .wavefront_size: 64
  - .agpr_count:     0
    .args:
      - .offset:         0
        .size:           56
        .value_kind:     by_value
    .group_segment_fixed_size: 0
    .kernarg_segment_align: 8
    .kernarg_segment_size: 56
    .language:       OpenCL C
    .language_version:
      - 2
      - 0
    .max_flat_workgroup_size: 128
    .name:           _ZN7rocprim17ROCPRIM_400000_NS6detail17trampoline_kernelINS0_14default_configENS1_29binary_search_config_selectorIiiEEZNS1_14transform_implILb0ES3_S5_N6thrust23THRUST_200600_302600_NS6detail15normal_iteratorINS8_10device_ptrIiEEEESD_ZNS1_13binary_searchIS3_S5_SD_SD_SD_NS1_16binary_search_opENS9_16wrapped_functionINS0_4lessIvEEbEEEE10hipError_tPvRmT1_T2_T3_mmT4_T5_P12ihipStream_tbEUlRKiE_EESK_SO_SP_mSQ_ST_bEUlT_E_NS1_11comp_targetILNS1_3genE10ELNS1_11target_archE1201ELNS1_3gpuE5ELNS1_3repE0EEENS1_30default_config_static_selectorELNS0_4arch9wavefront6targetE1EEEvSN_
    .private_segment_fixed_size: 0
    .sgpr_count:     4
    .sgpr_spill_count: 0
    .symbol:         _ZN7rocprim17ROCPRIM_400000_NS6detail17trampoline_kernelINS0_14default_configENS1_29binary_search_config_selectorIiiEEZNS1_14transform_implILb0ES3_S5_N6thrust23THRUST_200600_302600_NS6detail15normal_iteratorINS8_10device_ptrIiEEEESD_ZNS1_13binary_searchIS3_S5_SD_SD_SD_NS1_16binary_search_opENS9_16wrapped_functionINS0_4lessIvEEbEEEE10hipError_tPvRmT1_T2_T3_mmT4_T5_P12ihipStream_tbEUlRKiE_EESK_SO_SP_mSQ_ST_bEUlT_E_NS1_11comp_targetILNS1_3genE10ELNS1_11target_archE1201ELNS1_3gpuE5ELNS1_3repE0EEENS1_30default_config_static_selectorELNS0_4arch9wavefront6targetE1EEEvSN_.kd
    .uniform_work_group_size: 1
    .uses_dynamic_stack: false
    .vgpr_count:     0
    .vgpr_spill_count: 0
    .wavefront_size: 64
  - .agpr_count:     0
    .args:
      - .offset:         0
        .size:           56
        .value_kind:     by_value
    .group_segment_fixed_size: 0
    .kernarg_segment_align: 8
    .kernarg_segment_size: 56
    .language:       OpenCL C
    .language_version:
      - 2
      - 0
    .max_flat_workgroup_size: 128
    .name:           _ZN7rocprim17ROCPRIM_400000_NS6detail17trampoline_kernelINS0_14default_configENS1_29binary_search_config_selectorIiiEEZNS1_14transform_implILb0ES3_S5_N6thrust23THRUST_200600_302600_NS6detail15normal_iteratorINS8_10device_ptrIiEEEESD_ZNS1_13binary_searchIS3_S5_SD_SD_SD_NS1_16binary_search_opENS9_16wrapped_functionINS0_4lessIvEEbEEEE10hipError_tPvRmT1_T2_T3_mmT4_T5_P12ihipStream_tbEUlRKiE_EESK_SO_SP_mSQ_ST_bEUlT_E_NS1_11comp_targetILNS1_3genE10ELNS1_11target_archE1200ELNS1_3gpuE4ELNS1_3repE0EEENS1_30default_config_static_selectorELNS0_4arch9wavefront6targetE1EEEvSN_
    .private_segment_fixed_size: 0
    .sgpr_count:     4
    .sgpr_spill_count: 0
    .symbol:         _ZN7rocprim17ROCPRIM_400000_NS6detail17trampoline_kernelINS0_14default_configENS1_29binary_search_config_selectorIiiEEZNS1_14transform_implILb0ES3_S5_N6thrust23THRUST_200600_302600_NS6detail15normal_iteratorINS8_10device_ptrIiEEEESD_ZNS1_13binary_searchIS3_S5_SD_SD_SD_NS1_16binary_search_opENS9_16wrapped_functionINS0_4lessIvEEbEEEE10hipError_tPvRmT1_T2_T3_mmT4_T5_P12ihipStream_tbEUlRKiE_EESK_SO_SP_mSQ_ST_bEUlT_E_NS1_11comp_targetILNS1_3genE10ELNS1_11target_archE1200ELNS1_3gpuE4ELNS1_3repE0EEENS1_30default_config_static_selectorELNS0_4arch9wavefront6targetE1EEEvSN_.kd
    .uniform_work_group_size: 1
    .uses_dynamic_stack: false
    .vgpr_count:     0
    .vgpr_spill_count: 0
    .wavefront_size: 64
  - .agpr_count:     0
    .args:
      - .offset:         0
        .size:           56
        .value_kind:     by_value
    .group_segment_fixed_size: 0
    .kernarg_segment_align: 8
    .kernarg_segment_size: 56
    .language:       OpenCL C
    .language_version:
      - 2
      - 0
    .max_flat_workgroup_size: 256
    .name:           _ZN7rocprim17ROCPRIM_400000_NS6detail17trampoline_kernelINS0_14default_configENS1_29binary_search_config_selectorIiiEEZNS1_14transform_implILb0ES3_S5_N6thrust23THRUST_200600_302600_NS6detail15normal_iteratorINS8_10device_ptrIiEEEESD_ZNS1_13binary_searchIS3_S5_SD_SD_SD_NS1_16binary_search_opENS9_16wrapped_functionINS0_4lessIvEEbEEEE10hipError_tPvRmT1_T2_T3_mmT4_T5_P12ihipStream_tbEUlRKiE_EESK_SO_SP_mSQ_ST_bEUlT_E_NS1_11comp_targetILNS1_3genE9ELNS1_11target_archE1100ELNS1_3gpuE3ELNS1_3repE0EEENS1_30default_config_static_selectorELNS0_4arch9wavefront6targetE1EEEvSN_
    .private_segment_fixed_size: 0
    .sgpr_count:     4
    .sgpr_spill_count: 0
    .symbol:         _ZN7rocprim17ROCPRIM_400000_NS6detail17trampoline_kernelINS0_14default_configENS1_29binary_search_config_selectorIiiEEZNS1_14transform_implILb0ES3_S5_N6thrust23THRUST_200600_302600_NS6detail15normal_iteratorINS8_10device_ptrIiEEEESD_ZNS1_13binary_searchIS3_S5_SD_SD_SD_NS1_16binary_search_opENS9_16wrapped_functionINS0_4lessIvEEbEEEE10hipError_tPvRmT1_T2_T3_mmT4_T5_P12ihipStream_tbEUlRKiE_EESK_SO_SP_mSQ_ST_bEUlT_E_NS1_11comp_targetILNS1_3genE9ELNS1_11target_archE1100ELNS1_3gpuE3ELNS1_3repE0EEENS1_30default_config_static_selectorELNS0_4arch9wavefront6targetE1EEEvSN_.kd
    .uniform_work_group_size: 1
    .uses_dynamic_stack: false
    .vgpr_count:     0
    .vgpr_spill_count: 0
    .wavefront_size: 64
  - .agpr_count:     0
    .args:
      - .offset:         0
        .size:           56
        .value_kind:     by_value
    .group_segment_fixed_size: 0
    .kernarg_segment_align: 8
    .kernarg_segment_size: 56
    .language:       OpenCL C
    .language_version:
      - 2
      - 0
    .max_flat_workgroup_size: 256
    .name:           _ZN7rocprim17ROCPRIM_400000_NS6detail17trampoline_kernelINS0_14default_configENS1_29binary_search_config_selectorIiiEEZNS1_14transform_implILb0ES3_S5_N6thrust23THRUST_200600_302600_NS6detail15normal_iteratorINS8_10device_ptrIiEEEESD_ZNS1_13binary_searchIS3_S5_SD_SD_SD_NS1_16binary_search_opENS9_16wrapped_functionINS0_4lessIvEEbEEEE10hipError_tPvRmT1_T2_T3_mmT4_T5_P12ihipStream_tbEUlRKiE_EESK_SO_SP_mSQ_ST_bEUlT_E_NS1_11comp_targetILNS1_3genE8ELNS1_11target_archE1030ELNS1_3gpuE2ELNS1_3repE0EEENS1_30default_config_static_selectorELNS0_4arch9wavefront6targetE1EEEvSN_
    .private_segment_fixed_size: 0
    .sgpr_count:     4
    .sgpr_spill_count: 0
    .symbol:         _ZN7rocprim17ROCPRIM_400000_NS6detail17trampoline_kernelINS0_14default_configENS1_29binary_search_config_selectorIiiEEZNS1_14transform_implILb0ES3_S5_N6thrust23THRUST_200600_302600_NS6detail15normal_iteratorINS8_10device_ptrIiEEEESD_ZNS1_13binary_searchIS3_S5_SD_SD_SD_NS1_16binary_search_opENS9_16wrapped_functionINS0_4lessIvEEbEEEE10hipError_tPvRmT1_T2_T3_mmT4_T5_P12ihipStream_tbEUlRKiE_EESK_SO_SP_mSQ_ST_bEUlT_E_NS1_11comp_targetILNS1_3genE8ELNS1_11target_archE1030ELNS1_3gpuE2ELNS1_3repE0EEENS1_30default_config_static_selectorELNS0_4arch9wavefront6targetE1EEEvSN_.kd
    .uniform_work_group_size: 1
    .uses_dynamic_stack: false
    .vgpr_count:     0
    .vgpr_spill_count: 0
    .wavefront_size: 64
  - .agpr_count:     0
    .args:
      - .offset:         0
        .size:           56
        .value_kind:     by_value
    .group_segment_fixed_size: 0
    .kernarg_segment_align: 8
    .kernarg_segment_size: 56
    .language:       OpenCL C
    .language_version:
      - 2
      - 0
    .max_flat_workgroup_size: 128
    .name:           _ZN7rocprim17ROCPRIM_400000_NS6detail17trampoline_kernelINS0_14default_configENS1_29binary_search_config_selectorIsbEEZNS1_14transform_implILb0ES3_S5_N6thrust23THRUST_200600_302600_NS6detail15normal_iteratorINS8_10device_ptrIsEEEENSA_INSB_IbEEEEZNS1_13binary_searchIS3_S5_SD_SD_SF_NS1_16binary_search_opENS9_16wrapped_functionINS0_4lessIvEEbEEEE10hipError_tPvRmT1_T2_T3_mmT4_T5_P12ihipStream_tbEUlRKsE_EESM_SQ_SR_mSS_SV_bEUlT_E_NS1_11comp_targetILNS1_3genE0ELNS1_11target_archE4294967295ELNS1_3gpuE0ELNS1_3repE0EEENS1_30default_config_static_selectorELNS0_4arch9wavefront6targetE1EEEvSP_
    .private_segment_fixed_size: 0
    .sgpr_count:     4
    .sgpr_spill_count: 0
    .symbol:         _ZN7rocprim17ROCPRIM_400000_NS6detail17trampoline_kernelINS0_14default_configENS1_29binary_search_config_selectorIsbEEZNS1_14transform_implILb0ES3_S5_N6thrust23THRUST_200600_302600_NS6detail15normal_iteratorINS8_10device_ptrIsEEEENSA_INSB_IbEEEEZNS1_13binary_searchIS3_S5_SD_SD_SF_NS1_16binary_search_opENS9_16wrapped_functionINS0_4lessIvEEbEEEE10hipError_tPvRmT1_T2_T3_mmT4_T5_P12ihipStream_tbEUlRKsE_EESM_SQ_SR_mSS_SV_bEUlT_E_NS1_11comp_targetILNS1_3genE0ELNS1_11target_archE4294967295ELNS1_3gpuE0ELNS1_3repE0EEENS1_30default_config_static_selectorELNS0_4arch9wavefront6targetE1EEEvSP_.kd
    .uniform_work_group_size: 1
    .uses_dynamic_stack: false
    .vgpr_count:     0
    .vgpr_spill_count: 0
    .wavefront_size: 64
  - .agpr_count:     0
    .args:
      - .offset:         0
        .size:           56
        .value_kind:     by_value
    .group_segment_fixed_size: 0
    .kernarg_segment_align: 8
    .kernarg_segment_size: 56
    .language:       OpenCL C
    .language_version:
      - 2
      - 0
    .max_flat_workgroup_size: 256
    .name:           _ZN7rocprim17ROCPRIM_400000_NS6detail17trampoline_kernelINS0_14default_configENS1_29binary_search_config_selectorIsbEEZNS1_14transform_implILb0ES3_S5_N6thrust23THRUST_200600_302600_NS6detail15normal_iteratorINS8_10device_ptrIsEEEENSA_INSB_IbEEEEZNS1_13binary_searchIS3_S5_SD_SD_SF_NS1_16binary_search_opENS9_16wrapped_functionINS0_4lessIvEEbEEEE10hipError_tPvRmT1_T2_T3_mmT4_T5_P12ihipStream_tbEUlRKsE_EESM_SQ_SR_mSS_SV_bEUlT_E_NS1_11comp_targetILNS1_3genE5ELNS1_11target_archE942ELNS1_3gpuE9ELNS1_3repE0EEENS1_30default_config_static_selectorELNS0_4arch9wavefront6targetE1EEEvSP_
    .private_segment_fixed_size: 0
    .sgpr_count:     4
    .sgpr_spill_count: 0
    .symbol:         _ZN7rocprim17ROCPRIM_400000_NS6detail17trampoline_kernelINS0_14default_configENS1_29binary_search_config_selectorIsbEEZNS1_14transform_implILb0ES3_S5_N6thrust23THRUST_200600_302600_NS6detail15normal_iteratorINS8_10device_ptrIsEEEENSA_INSB_IbEEEEZNS1_13binary_searchIS3_S5_SD_SD_SF_NS1_16binary_search_opENS9_16wrapped_functionINS0_4lessIvEEbEEEE10hipError_tPvRmT1_T2_T3_mmT4_T5_P12ihipStream_tbEUlRKsE_EESM_SQ_SR_mSS_SV_bEUlT_E_NS1_11comp_targetILNS1_3genE5ELNS1_11target_archE942ELNS1_3gpuE9ELNS1_3repE0EEENS1_30default_config_static_selectorELNS0_4arch9wavefront6targetE1EEEvSP_.kd
    .uniform_work_group_size: 1
    .uses_dynamic_stack: false
    .vgpr_count:     0
    .vgpr_spill_count: 0
    .wavefront_size: 64
  - .agpr_count:     0
    .args:
      - .offset:         0
        .size:           56
        .value_kind:     by_value
      - .offset:         56
        .size:           4
        .value_kind:     hidden_block_count_x
      - .offset:         60
        .size:           4
        .value_kind:     hidden_block_count_y
      - .offset:         64
        .size:           4
        .value_kind:     hidden_block_count_z
      - .offset:         68
        .size:           2
        .value_kind:     hidden_group_size_x
      - .offset:         70
        .size:           2
        .value_kind:     hidden_group_size_y
      - .offset:         72
        .size:           2
        .value_kind:     hidden_group_size_z
      - .offset:         74
        .size:           2
        .value_kind:     hidden_remainder_x
      - .offset:         76
        .size:           2
        .value_kind:     hidden_remainder_y
      - .offset:         78
        .size:           2
        .value_kind:     hidden_remainder_z
      - .offset:         96
        .size:           8
        .value_kind:     hidden_global_offset_x
      - .offset:         104
        .size:           8
        .value_kind:     hidden_global_offset_y
      - .offset:         112
        .size:           8
        .value_kind:     hidden_global_offset_z
      - .offset:         120
        .size:           2
        .value_kind:     hidden_grid_dims
    .group_segment_fixed_size: 0
    .kernarg_segment_align: 8
    .kernarg_segment_size: 312
    .language:       OpenCL C
    .language_version:
      - 2
      - 0
    .max_flat_workgroup_size: 256
    .name:           _ZN7rocprim17ROCPRIM_400000_NS6detail17trampoline_kernelINS0_14default_configENS1_29binary_search_config_selectorIsbEEZNS1_14transform_implILb0ES3_S5_N6thrust23THRUST_200600_302600_NS6detail15normal_iteratorINS8_10device_ptrIsEEEENSA_INSB_IbEEEEZNS1_13binary_searchIS3_S5_SD_SD_SF_NS1_16binary_search_opENS9_16wrapped_functionINS0_4lessIvEEbEEEE10hipError_tPvRmT1_T2_T3_mmT4_T5_P12ihipStream_tbEUlRKsE_EESM_SQ_SR_mSS_SV_bEUlT_E_NS1_11comp_targetILNS1_3genE4ELNS1_11target_archE910ELNS1_3gpuE8ELNS1_3repE0EEENS1_30default_config_static_selectorELNS0_4arch9wavefront6targetE1EEEvSP_
    .private_segment_fixed_size: 0
    .sgpr_count:     22
    .sgpr_spill_count: 0
    .symbol:         _ZN7rocprim17ROCPRIM_400000_NS6detail17trampoline_kernelINS0_14default_configENS1_29binary_search_config_selectorIsbEEZNS1_14transform_implILb0ES3_S5_N6thrust23THRUST_200600_302600_NS6detail15normal_iteratorINS8_10device_ptrIsEEEENSA_INSB_IbEEEEZNS1_13binary_searchIS3_S5_SD_SD_SF_NS1_16binary_search_opENS9_16wrapped_functionINS0_4lessIvEEbEEEE10hipError_tPvRmT1_T2_T3_mmT4_T5_P12ihipStream_tbEUlRKsE_EESM_SQ_SR_mSS_SV_bEUlT_E_NS1_11comp_targetILNS1_3genE4ELNS1_11target_archE910ELNS1_3gpuE8ELNS1_3repE0EEENS1_30default_config_static_selectorELNS0_4arch9wavefront6targetE1EEEvSP_.kd
    .uniform_work_group_size: 1
    .uses_dynamic_stack: false
    .vgpr_count:     12
    .vgpr_spill_count: 0
    .wavefront_size: 64
  - .agpr_count:     0
    .args:
      - .offset:         0
        .size:           56
        .value_kind:     by_value
    .group_segment_fixed_size: 0
    .kernarg_segment_align: 8
    .kernarg_segment_size: 56
    .language:       OpenCL C
    .language_version:
      - 2
      - 0
    .max_flat_workgroup_size: 128
    .name:           _ZN7rocprim17ROCPRIM_400000_NS6detail17trampoline_kernelINS0_14default_configENS1_29binary_search_config_selectorIsbEEZNS1_14transform_implILb0ES3_S5_N6thrust23THRUST_200600_302600_NS6detail15normal_iteratorINS8_10device_ptrIsEEEENSA_INSB_IbEEEEZNS1_13binary_searchIS3_S5_SD_SD_SF_NS1_16binary_search_opENS9_16wrapped_functionINS0_4lessIvEEbEEEE10hipError_tPvRmT1_T2_T3_mmT4_T5_P12ihipStream_tbEUlRKsE_EESM_SQ_SR_mSS_SV_bEUlT_E_NS1_11comp_targetILNS1_3genE3ELNS1_11target_archE908ELNS1_3gpuE7ELNS1_3repE0EEENS1_30default_config_static_selectorELNS0_4arch9wavefront6targetE1EEEvSP_
    .private_segment_fixed_size: 0
    .sgpr_count:     4
    .sgpr_spill_count: 0
    .symbol:         _ZN7rocprim17ROCPRIM_400000_NS6detail17trampoline_kernelINS0_14default_configENS1_29binary_search_config_selectorIsbEEZNS1_14transform_implILb0ES3_S5_N6thrust23THRUST_200600_302600_NS6detail15normal_iteratorINS8_10device_ptrIsEEEENSA_INSB_IbEEEEZNS1_13binary_searchIS3_S5_SD_SD_SF_NS1_16binary_search_opENS9_16wrapped_functionINS0_4lessIvEEbEEEE10hipError_tPvRmT1_T2_T3_mmT4_T5_P12ihipStream_tbEUlRKsE_EESM_SQ_SR_mSS_SV_bEUlT_E_NS1_11comp_targetILNS1_3genE3ELNS1_11target_archE908ELNS1_3gpuE7ELNS1_3repE0EEENS1_30default_config_static_selectorELNS0_4arch9wavefront6targetE1EEEvSP_.kd
    .uniform_work_group_size: 1
    .uses_dynamic_stack: false
    .vgpr_count:     0
    .vgpr_spill_count: 0
    .wavefront_size: 64
  - .agpr_count:     0
    .args:
      - .offset:         0
        .size:           56
        .value_kind:     by_value
    .group_segment_fixed_size: 0
    .kernarg_segment_align: 8
    .kernarg_segment_size: 56
    .language:       OpenCL C
    .language_version:
      - 2
      - 0
    .max_flat_workgroup_size: 256
    .name:           _ZN7rocprim17ROCPRIM_400000_NS6detail17trampoline_kernelINS0_14default_configENS1_29binary_search_config_selectorIsbEEZNS1_14transform_implILb0ES3_S5_N6thrust23THRUST_200600_302600_NS6detail15normal_iteratorINS8_10device_ptrIsEEEENSA_INSB_IbEEEEZNS1_13binary_searchIS3_S5_SD_SD_SF_NS1_16binary_search_opENS9_16wrapped_functionINS0_4lessIvEEbEEEE10hipError_tPvRmT1_T2_T3_mmT4_T5_P12ihipStream_tbEUlRKsE_EESM_SQ_SR_mSS_SV_bEUlT_E_NS1_11comp_targetILNS1_3genE2ELNS1_11target_archE906ELNS1_3gpuE6ELNS1_3repE0EEENS1_30default_config_static_selectorELNS0_4arch9wavefront6targetE1EEEvSP_
    .private_segment_fixed_size: 0
    .sgpr_count:     4
    .sgpr_spill_count: 0
    .symbol:         _ZN7rocprim17ROCPRIM_400000_NS6detail17trampoline_kernelINS0_14default_configENS1_29binary_search_config_selectorIsbEEZNS1_14transform_implILb0ES3_S5_N6thrust23THRUST_200600_302600_NS6detail15normal_iteratorINS8_10device_ptrIsEEEENSA_INSB_IbEEEEZNS1_13binary_searchIS3_S5_SD_SD_SF_NS1_16binary_search_opENS9_16wrapped_functionINS0_4lessIvEEbEEEE10hipError_tPvRmT1_T2_T3_mmT4_T5_P12ihipStream_tbEUlRKsE_EESM_SQ_SR_mSS_SV_bEUlT_E_NS1_11comp_targetILNS1_3genE2ELNS1_11target_archE906ELNS1_3gpuE6ELNS1_3repE0EEENS1_30default_config_static_selectorELNS0_4arch9wavefront6targetE1EEEvSP_.kd
    .uniform_work_group_size: 1
    .uses_dynamic_stack: false
    .vgpr_count:     0
    .vgpr_spill_count: 0
    .wavefront_size: 64
  - .agpr_count:     0
    .args:
      - .offset:         0
        .size:           56
        .value_kind:     by_value
    .group_segment_fixed_size: 0
    .kernarg_segment_align: 8
    .kernarg_segment_size: 56
    .language:       OpenCL C
    .language_version:
      - 2
      - 0
    .max_flat_workgroup_size: 256
    .name:           _ZN7rocprim17ROCPRIM_400000_NS6detail17trampoline_kernelINS0_14default_configENS1_29binary_search_config_selectorIsbEEZNS1_14transform_implILb0ES3_S5_N6thrust23THRUST_200600_302600_NS6detail15normal_iteratorINS8_10device_ptrIsEEEENSA_INSB_IbEEEEZNS1_13binary_searchIS3_S5_SD_SD_SF_NS1_16binary_search_opENS9_16wrapped_functionINS0_4lessIvEEbEEEE10hipError_tPvRmT1_T2_T3_mmT4_T5_P12ihipStream_tbEUlRKsE_EESM_SQ_SR_mSS_SV_bEUlT_E_NS1_11comp_targetILNS1_3genE10ELNS1_11target_archE1201ELNS1_3gpuE5ELNS1_3repE0EEENS1_30default_config_static_selectorELNS0_4arch9wavefront6targetE1EEEvSP_
    .private_segment_fixed_size: 0
    .sgpr_count:     4
    .sgpr_spill_count: 0
    .symbol:         _ZN7rocprim17ROCPRIM_400000_NS6detail17trampoline_kernelINS0_14default_configENS1_29binary_search_config_selectorIsbEEZNS1_14transform_implILb0ES3_S5_N6thrust23THRUST_200600_302600_NS6detail15normal_iteratorINS8_10device_ptrIsEEEENSA_INSB_IbEEEEZNS1_13binary_searchIS3_S5_SD_SD_SF_NS1_16binary_search_opENS9_16wrapped_functionINS0_4lessIvEEbEEEE10hipError_tPvRmT1_T2_T3_mmT4_T5_P12ihipStream_tbEUlRKsE_EESM_SQ_SR_mSS_SV_bEUlT_E_NS1_11comp_targetILNS1_3genE10ELNS1_11target_archE1201ELNS1_3gpuE5ELNS1_3repE0EEENS1_30default_config_static_selectorELNS0_4arch9wavefront6targetE1EEEvSP_.kd
    .uniform_work_group_size: 1
    .uses_dynamic_stack: false
    .vgpr_count:     0
    .vgpr_spill_count: 0
    .wavefront_size: 64
  - .agpr_count:     0
    .args:
      - .offset:         0
        .size:           56
        .value_kind:     by_value
    .group_segment_fixed_size: 0
    .kernarg_segment_align: 8
    .kernarg_segment_size: 56
    .language:       OpenCL C
    .language_version:
      - 2
      - 0
    .max_flat_workgroup_size: 256
    .name:           _ZN7rocprim17ROCPRIM_400000_NS6detail17trampoline_kernelINS0_14default_configENS1_29binary_search_config_selectorIsbEEZNS1_14transform_implILb0ES3_S5_N6thrust23THRUST_200600_302600_NS6detail15normal_iteratorINS8_10device_ptrIsEEEENSA_INSB_IbEEEEZNS1_13binary_searchIS3_S5_SD_SD_SF_NS1_16binary_search_opENS9_16wrapped_functionINS0_4lessIvEEbEEEE10hipError_tPvRmT1_T2_T3_mmT4_T5_P12ihipStream_tbEUlRKsE_EESM_SQ_SR_mSS_SV_bEUlT_E_NS1_11comp_targetILNS1_3genE10ELNS1_11target_archE1200ELNS1_3gpuE4ELNS1_3repE0EEENS1_30default_config_static_selectorELNS0_4arch9wavefront6targetE1EEEvSP_
    .private_segment_fixed_size: 0
    .sgpr_count:     4
    .sgpr_spill_count: 0
    .symbol:         _ZN7rocprim17ROCPRIM_400000_NS6detail17trampoline_kernelINS0_14default_configENS1_29binary_search_config_selectorIsbEEZNS1_14transform_implILb0ES3_S5_N6thrust23THRUST_200600_302600_NS6detail15normal_iteratorINS8_10device_ptrIsEEEENSA_INSB_IbEEEEZNS1_13binary_searchIS3_S5_SD_SD_SF_NS1_16binary_search_opENS9_16wrapped_functionINS0_4lessIvEEbEEEE10hipError_tPvRmT1_T2_T3_mmT4_T5_P12ihipStream_tbEUlRKsE_EESM_SQ_SR_mSS_SV_bEUlT_E_NS1_11comp_targetILNS1_3genE10ELNS1_11target_archE1200ELNS1_3gpuE4ELNS1_3repE0EEENS1_30default_config_static_selectorELNS0_4arch9wavefront6targetE1EEEvSP_.kd
    .uniform_work_group_size: 1
    .uses_dynamic_stack: false
    .vgpr_count:     0
    .vgpr_spill_count: 0
    .wavefront_size: 64
  - .agpr_count:     0
    .args:
      - .offset:         0
        .size:           56
        .value_kind:     by_value
    .group_segment_fixed_size: 0
    .kernarg_segment_align: 8
    .kernarg_segment_size: 56
    .language:       OpenCL C
    .language_version:
      - 2
      - 0
    .max_flat_workgroup_size: 64
    .name:           _ZN7rocprim17ROCPRIM_400000_NS6detail17trampoline_kernelINS0_14default_configENS1_29binary_search_config_selectorIsbEEZNS1_14transform_implILb0ES3_S5_N6thrust23THRUST_200600_302600_NS6detail15normal_iteratorINS8_10device_ptrIsEEEENSA_INSB_IbEEEEZNS1_13binary_searchIS3_S5_SD_SD_SF_NS1_16binary_search_opENS9_16wrapped_functionINS0_4lessIvEEbEEEE10hipError_tPvRmT1_T2_T3_mmT4_T5_P12ihipStream_tbEUlRKsE_EESM_SQ_SR_mSS_SV_bEUlT_E_NS1_11comp_targetILNS1_3genE9ELNS1_11target_archE1100ELNS1_3gpuE3ELNS1_3repE0EEENS1_30default_config_static_selectorELNS0_4arch9wavefront6targetE1EEEvSP_
    .private_segment_fixed_size: 0
    .sgpr_count:     4
    .sgpr_spill_count: 0
    .symbol:         _ZN7rocprim17ROCPRIM_400000_NS6detail17trampoline_kernelINS0_14default_configENS1_29binary_search_config_selectorIsbEEZNS1_14transform_implILb0ES3_S5_N6thrust23THRUST_200600_302600_NS6detail15normal_iteratorINS8_10device_ptrIsEEEENSA_INSB_IbEEEEZNS1_13binary_searchIS3_S5_SD_SD_SF_NS1_16binary_search_opENS9_16wrapped_functionINS0_4lessIvEEbEEEE10hipError_tPvRmT1_T2_T3_mmT4_T5_P12ihipStream_tbEUlRKsE_EESM_SQ_SR_mSS_SV_bEUlT_E_NS1_11comp_targetILNS1_3genE9ELNS1_11target_archE1100ELNS1_3gpuE3ELNS1_3repE0EEENS1_30default_config_static_selectorELNS0_4arch9wavefront6targetE1EEEvSP_.kd
    .uniform_work_group_size: 1
    .uses_dynamic_stack: false
    .vgpr_count:     0
    .vgpr_spill_count: 0
    .wavefront_size: 64
  - .agpr_count:     0
    .args:
      - .offset:         0
        .size:           56
        .value_kind:     by_value
    .group_segment_fixed_size: 0
    .kernarg_segment_align: 8
    .kernarg_segment_size: 56
    .language:       OpenCL C
    .language_version:
      - 2
      - 0
    .max_flat_workgroup_size: 128
    .name:           _ZN7rocprim17ROCPRIM_400000_NS6detail17trampoline_kernelINS0_14default_configENS1_29binary_search_config_selectorIsbEEZNS1_14transform_implILb0ES3_S5_N6thrust23THRUST_200600_302600_NS6detail15normal_iteratorINS8_10device_ptrIsEEEENSA_INSB_IbEEEEZNS1_13binary_searchIS3_S5_SD_SD_SF_NS1_16binary_search_opENS9_16wrapped_functionINS0_4lessIvEEbEEEE10hipError_tPvRmT1_T2_T3_mmT4_T5_P12ihipStream_tbEUlRKsE_EESM_SQ_SR_mSS_SV_bEUlT_E_NS1_11comp_targetILNS1_3genE8ELNS1_11target_archE1030ELNS1_3gpuE2ELNS1_3repE0EEENS1_30default_config_static_selectorELNS0_4arch9wavefront6targetE1EEEvSP_
    .private_segment_fixed_size: 0
    .sgpr_count:     4
    .sgpr_spill_count: 0
    .symbol:         _ZN7rocprim17ROCPRIM_400000_NS6detail17trampoline_kernelINS0_14default_configENS1_29binary_search_config_selectorIsbEEZNS1_14transform_implILb0ES3_S5_N6thrust23THRUST_200600_302600_NS6detail15normal_iteratorINS8_10device_ptrIsEEEENSA_INSB_IbEEEEZNS1_13binary_searchIS3_S5_SD_SD_SF_NS1_16binary_search_opENS9_16wrapped_functionINS0_4lessIvEEbEEEE10hipError_tPvRmT1_T2_T3_mmT4_T5_P12ihipStream_tbEUlRKsE_EESM_SQ_SR_mSS_SV_bEUlT_E_NS1_11comp_targetILNS1_3genE8ELNS1_11target_archE1030ELNS1_3gpuE2ELNS1_3repE0EEENS1_30default_config_static_selectorELNS0_4arch9wavefront6targetE1EEEvSP_.kd
    .uniform_work_group_size: 1
    .uses_dynamic_stack: false
    .vgpr_count:     0
    .vgpr_spill_count: 0
    .wavefront_size: 64
  - .agpr_count:     0
    .args:
      - .offset:         0
        .size:           56
        .value_kind:     by_value
    .group_segment_fixed_size: 0
    .kernarg_segment_align: 8
    .kernarg_segment_size: 56
    .language:       OpenCL C
    .language_version:
      - 2
      - 0
    .max_flat_workgroup_size: 128
    .name:           _ZN7rocprim17ROCPRIM_400000_NS6detail17trampoline_kernelINS0_14default_configENS1_29binary_search_config_selectorIsiEEZNS1_14transform_implILb0ES3_S5_N6thrust23THRUST_200600_302600_NS6detail15normal_iteratorINS8_10device_ptrIsEEEENSA_INSB_IiEEEEZNS1_13binary_searchIS3_S5_SD_SD_SF_NS1_16binary_search_opENS9_16wrapped_functionINS0_4lessIvEEbEEEE10hipError_tPvRmT1_T2_T3_mmT4_T5_P12ihipStream_tbEUlRKsE_EESM_SQ_SR_mSS_SV_bEUlT_E_NS1_11comp_targetILNS1_3genE0ELNS1_11target_archE4294967295ELNS1_3gpuE0ELNS1_3repE0EEENS1_30default_config_static_selectorELNS0_4arch9wavefront6targetE1EEEvSP_
    .private_segment_fixed_size: 0
    .sgpr_count:     4
    .sgpr_spill_count: 0
    .symbol:         _ZN7rocprim17ROCPRIM_400000_NS6detail17trampoline_kernelINS0_14default_configENS1_29binary_search_config_selectorIsiEEZNS1_14transform_implILb0ES3_S5_N6thrust23THRUST_200600_302600_NS6detail15normal_iteratorINS8_10device_ptrIsEEEENSA_INSB_IiEEEEZNS1_13binary_searchIS3_S5_SD_SD_SF_NS1_16binary_search_opENS9_16wrapped_functionINS0_4lessIvEEbEEEE10hipError_tPvRmT1_T2_T3_mmT4_T5_P12ihipStream_tbEUlRKsE_EESM_SQ_SR_mSS_SV_bEUlT_E_NS1_11comp_targetILNS1_3genE0ELNS1_11target_archE4294967295ELNS1_3gpuE0ELNS1_3repE0EEENS1_30default_config_static_selectorELNS0_4arch9wavefront6targetE1EEEvSP_.kd
    .uniform_work_group_size: 1
    .uses_dynamic_stack: false
    .vgpr_count:     0
    .vgpr_spill_count: 0
    .wavefront_size: 64
  - .agpr_count:     0
    .args:
      - .offset:         0
        .size:           56
        .value_kind:     by_value
    .group_segment_fixed_size: 0
    .kernarg_segment_align: 8
    .kernarg_segment_size: 56
    .language:       OpenCL C
    .language_version:
      - 2
      - 0
    .max_flat_workgroup_size: 256
    .name:           _ZN7rocprim17ROCPRIM_400000_NS6detail17trampoline_kernelINS0_14default_configENS1_29binary_search_config_selectorIsiEEZNS1_14transform_implILb0ES3_S5_N6thrust23THRUST_200600_302600_NS6detail15normal_iteratorINS8_10device_ptrIsEEEENSA_INSB_IiEEEEZNS1_13binary_searchIS3_S5_SD_SD_SF_NS1_16binary_search_opENS9_16wrapped_functionINS0_4lessIvEEbEEEE10hipError_tPvRmT1_T2_T3_mmT4_T5_P12ihipStream_tbEUlRKsE_EESM_SQ_SR_mSS_SV_bEUlT_E_NS1_11comp_targetILNS1_3genE5ELNS1_11target_archE942ELNS1_3gpuE9ELNS1_3repE0EEENS1_30default_config_static_selectorELNS0_4arch9wavefront6targetE1EEEvSP_
    .private_segment_fixed_size: 0
    .sgpr_count:     4
    .sgpr_spill_count: 0
    .symbol:         _ZN7rocprim17ROCPRIM_400000_NS6detail17trampoline_kernelINS0_14default_configENS1_29binary_search_config_selectorIsiEEZNS1_14transform_implILb0ES3_S5_N6thrust23THRUST_200600_302600_NS6detail15normal_iteratorINS8_10device_ptrIsEEEENSA_INSB_IiEEEEZNS1_13binary_searchIS3_S5_SD_SD_SF_NS1_16binary_search_opENS9_16wrapped_functionINS0_4lessIvEEbEEEE10hipError_tPvRmT1_T2_T3_mmT4_T5_P12ihipStream_tbEUlRKsE_EESM_SQ_SR_mSS_SV_bEUlT_E_NS1_11comp_targetILNS1_3genE5ELNS1_11target_archE942ELNS1_3gpuE9ELNS1_3repE0EEENS1_30default_config_static_selectorELNS0_4arch9wavefront6targetE1EEEvSP_.kd
    .uniform_work_group_size: 1
    .uses_dynamic_stack: false
    .vgpr_count:     0
    .vgpr_spill_count: 0
    .wavefront_size: 64
  - .agpr_count:     0
    .args:
      - .offset:         0
        .size:           56
        .value_kind:     by_value
      - .offset:         56
        .size:           4
        .value_kind:     hidden_block_count_x
      - .offset:         60
        .size:           4
        .value_kind:     hidden_block_count_y
      - .offset:         64
        .size:           4
        .value_kind:     hidden_block_count_z
      - .offset:         68
        .size:           2
        .value_kind:     hidden_group_size_x
      - .offset:         70
        .size:           2
        .value_kind:     hidden_group_size_y
      - .offset:         72
        .size:           2
        .value_kind:     hidden_group_size_z
      - .offset:         74
        .size:           2
        .value_kind:     hidden_remainder_x
      - .offset:         76
        .size:           2
        .value_kind:     hidden_remainder_y
      - .offset:         78
        .size:           2
        .value_kind:     hidden_remainder_z
      - .offset:         96
        .size:           8
        .value_kind:     hidden_global_offset_x
      - .offset:         104
        .size:           8
        .value_kind:     hidden_global_offset_y
      - .offset:         112
        .size:           8
        .value_kind:     hidden_global_offset_z
      - .offset:         120
        .size:           2
        .value_kind:     hidden_grid_dims
    .group_segment_fixed_size: 0
    .kernarg_segment_align: 8
    .kernarg_segment_size: 312
    .language:       OpenCL C
    .language_version:
      - 2
      - 0
    .max_flat_workgroup_size: 256
    .name:           _ZN7rocprim17ROCPRIM_400000_NS6detail17trampoline_kernelINS0_14default_configENS1_29binary_search_config_selectorIsiEEZNS1_14transform_implILb0ES3_S5_N6thrust23THRUST_200600_302600_NS6detail15normal_iteratorINS8_10device_ptrIsEEEENSA_INSB_IiEEEEZNS1_13binary_searchIS3_S5_SD_SD_SF_NS1_16binary_search_opENS9_16wrapped_functionINS0_4lessIvEEbEEEE10hipError_tPvRmT1_T2_T3_mmT4_T5_P12ihipStream_tbEUlRKsE_EESM_SQ_SR_mSS_SV_bEUlT_E_NS1_11comp_targetILNS1_3genE4ELNS1_11target_archE910ELNS1_3gpuE8ELNS1_3repE0EEENS1_30default_config_static_selectorELNS0_4arch9wavefront6targetE1EEEvSP_
    .private_segment_fixed_size: 0
    .sgpr_count:     24
    .sgpr_spill_count: 0
    .symbol:         _ZN7rocprim17ROCPRIM_400000_NS6detail17trampoline_kernelINS0_14default_configENS1_29binary_search_config_selectorIsiEEZNS1_14transform_implILb0ES3_S5_N6thrust23THRUST_200600_302600_NS6detail15normal_iteratorINS8_10device_ptrIsEEEENSA_INSB_IiEEEEZNS1_13binary_searchIS3_S5_SD_SD_SF_NS1_16binary_search_opENS9_16wrapped_functionINS0_4lessIvEEbEEEE10hipError_tPvRmT1_T2_T3_mmT4_T5_P12ihipStream_tbEUlRKsE_EESM_SQ_SR_mSS_SV_bEUlT_E_NS1_11comp_targetILNS1_3genE4ELNS1_11target_archE910ELNS1_3gpuE8ELNS1_3repE0EEENS1_30default_config_static_selectorELNS0_4arch9wavefront6targetE1EEEvSP_.kd
    .uniform_work_group_size: 1
    .uses_dynamic_stack: false
    .vgpr_count:     12
    .vgpr_spill_count: 0
    .wavefront_size: 64
  - .agpr_count:     0
    .args:
      - .offset:         0
        .size:           56
        .value_kind:     by_value
    .group_segment_fixed_size: 0
    .kernarg_segment_align: 8
    .kernarg_segment_size: 56
    .language:       OpenCL C
    .language_version:
      - 2
      - 0
    .max_flat_workgroup_size: 128
    .name:           _ZN7rocprim17ROCPRIM_400000_NS6detail17trampoline_kernelINS0_14default_configENS1_29binary_search_config_selectorIsiEEZNS1_14transform_implILb0ES3_S5_N6thrust23THRUST_200600_302600_NS6detail15normal_iteratorINS8_10device_ptrIsEEEENSA_INSB_IiEEEEZNS1_13binary_searchIS3_S5_SD_SD_SF_NS1_16binary_search_opENS9_16wrapped_functionINS0_4lessIvEEbEEEE10hipError_tPvRmT1_T2_T3_mmT4_T5_P12ihipStream_tbEUlRKsE_EESM_SQ_SR_mSS_SV_bEUlT_E_NS1_11comp_targetILNS1_3genE3ELNS1_11target_archE908ELNS1_3gpuE7ELNS1_3repE0EEENS1_30default_config_static_selectorELNS0_4arch9wavefront6targetE1EEEvSP_
    .private_segment_fixed_size: 0
    .sgpr_count:     4
    .sgpr_spill_count: 0
    .symbol:         _ZN7rocprim17ROCPRIM_400000_NS6detail17trampoline_kernelINS0_14default_configENS1_29binary_search_config_selectorIsiEEZNS1_14transform_implILb0ES3_S5_N6thrust23THRUST_200600_302600_NS6detail15normal_iteratorINS8_10device_ptrIsEEEENSA_INSB_IiEEEEZNS1_13binary_searchIS3_S5_SD_SD_SF_NS1_16binary_search_opENS9_16wrapped_functionINS0_4lessIvEEbEEEE10hipError_tPvRmT1_T2_T3_mmT4_T5_P12ihipStream_tbEUlRKsE_EESM_SQ_SR_mSS_SV_bEUlT_E_NS1_11comp_targetILNS1_3genE3ELNS1_11target_archE908ELNS1_3gpuE7ELNS1_3repE0EEENS1_30default_config_static_selectorELNS0_4arch9wavefront6targetE1EEEvSP_.kd
    .uniform_work_group_size: 1
    .uses_dynamic_stack: false
    .vgpr_count:     0
    .vgpr_spill_count: 0
    .wavefront_size: 64
  - .agpr_count:     0
    .args:
      - .offset:         0
        .size:           56
        .value_kind:     by_value
    .group_segment_fixed_size: 0
    .kernarg_segment_align: 8
    .kernarg_segment_size: 56
    .language:       OpenCL C
    .language_version:
      - 2
      - 0
    .max_flat_workgroup_size: 256
    .name:           _ZN7rocprim17ROCPRIM_400000_NS6detail17trampoline_kernelINS0_14default_configENS1_29binary_search_config_selectorIsiEEZNS1_14transform_implILb0ES3_S5_N6thrust23THRUST_200600_302600_NS6detail15normal_iteratorINS8_10device_ptrIsEEEENSA_INSB_IiEEEEZNS1_13binary_searchIS3_S5_SD_SD_SF_NS1_16binary_search_opENS9_16wrapped_functionINS0_4lessIvEEbEEEE10hipError_tPvRmT1_T2_T3_mmT4_T5_P12ihipStream_tbEUlRKsE_EESM_SQ_SR_mSS_SV_bEUlT_E_NS1_11comp_targetILNS1_3genE2ELNS1_11target_archE906ELNS1_3gpuE6ELNS1_3repE0EEENS1_30default_config_static_selectorELNS0_4arch9wavefront6targetE1EEEvSP_
    .private_segment_fixed_size: 0
    .sgpr_count:     4
    .sgpr_spill_count: 0
    .symbol:         _ZN7rocprim17ROCPRIM_400000_NS6detail17trampoline_kernelINS0_14default_configENS1_29binary_search_config_selectorIsiEEZNS1_14transform_implILb0ES3_S5_N6thrust23THRUST_200600_302600_NS6detail15normal_iteratorINS8_10device_ptrIsEEEENSA_INSB_IiEEEEZNS1_13binary_searchIS3_S5_SD_SD_SF_NS1_16binary_search_opENS9_16wrapped_functionINS0_4lessIvEEbEEEE10hipError_tPvRmT1_T2_T3_mmT4_T5_P12ihipStream_tbEUlRKsE_EESM_SQ_SR_mSS_SV_bEUlT_E_NS1_11comp_targetILNS1_3genE2ELNS1_11target_archE906ELNS1_3gpuE6ELNS1_3repE0EEENS1_30default_config_static_selectorELNS0_4arch9wavefront6targetE1EEEvSP_.kd
    .uniform_work_group_size: 1
    .uses_dynamic_stack: false
    .vgpr_count:     0
    .vgpr_spill_count: 0
    .wavefront_size: 64
  - .agpr_count:     0
    .args:
      - .offset:         0
        .size:           56
        .value_kind:     by_value
    .group_segment_fixed_size: 0
    .kernarg_segment_align: 8
    .kernarg_segment_size: 56
    .language:       OpenCL C
    .language_version:
      - 2
      - 0
    .max_flat_workgroup_size: 256
    .name:           _ZN7rocprim17ROCPRIM_400000_NS6detail17trampoline_kernelINS0_14default_configENS1_29binary_search_config_selectorIsiEEZNS1_14transform_implILb0ES3_S5_N6thrust23THRUST_200600_302600_NS6detail15normal_iteratorINS8_10device_ptrIsEEEENSA_INSB_IiEEEEZNS1_13binary_searchIS3_S5_SD_SD_SF_NS1_16binary_search_opENS9_16wrapped_functionINS0_4lessIvEEbEEEE10hipError_tPvRmT1_T2_T3_mmT4_T5_P12ihipStream_tbEUlRKsE_EESM_SQ_SR_mSS_SV_bEUlT_E_NS1_11comp_targetILNS1_3genE10ELNS1_11target_archE1201ELNS1_3gpuE5ELNS1_3repE0EEENS1_30default_config_static_selectorELNS0_4arch9wavefront6targetE1EEEvSP_
    .private_segment_fixed_size: 0
    .sgpr_count:     4
    .sgpr_spill_count: 0
    .symbol:         _ZN7rocprim17ROCPRIM_400000_NS6detail17trampoline_kernelINS0_14default_configENS1_29binary_search_config_selectorIsiEEZNS1_14transform_implILb0ES3_S5_N6thrust23THRUST_200600_302600_NS6detail15normal_iteratorINS8_10device_ptrIsEEEENSA_INSB_IiEEEEZNS1_13binary_searchIS3_S5_SD_SD_SF_NS1_16binary_search_opENS9_16wrapped_functionINS0_4lessIvEEbEEEE10hipError_tPvRmT1_T2_T3_mmT4_T5_P12ihipStream_tbEUlRKsE_EESM_SQ_SR_mSS_SV_bEUlT_E_NS1_11comp_targetILNS1_3genE10ELNS1_11target_archE1201ELNS1_3gpuE5ELNS1_3repE0EEENS1_30default_config_static_selectorELNS0_4arch9wavefront6targetE1EEEvSP_.kd
    .uniform_work_group_size: 1
    .uses_dynamic_stack: false
    .vgpr_count:     0
    .vgpr_spill_count: 0
    .wavefront_size: 64
  - .agpr_count:     0
    .args:
      - .offset:         0
        .size:           56
        .value_kind:     by_value
    .group_segment_fixed_size: 0
    .kernarg_segment_align: 8
    .kernarg_segment_size: 56
    .language:       OpenCL C
    .language_version:
      - 2
      - 0
    .max_flat_workgroup_size: 256
    .name:           _ZN7rocprim17ROCPRIM_400000_NS6detail17trampoline_kernelINS0_14default_configENS1_29binary_search_config_selectorIsiEEZNS1_14transform_implILb0ES3_S5_N6thrust23THRUST_200600_302600_NS6detail15normal_iteratorINS8_10device_ptrIsEEEENSA_INSB_IiEEEEZNS1_13binary_searchIS3_S5_SD_SD_SF_NS1_16binary_search_opENS9_16wrapped_functionINS0_4lessIvEEbEEEE10hipError_tPvRmT1_T2_T3_mmT4_T5_P12ihipStream_tbEUlRKsE_EESM_SQ_SR_mSS_SV_bEUlT_E_NS1_11comp_targetILNS1_3genE10ELNS1_11target_archE1200ELNS1_3gpuE4ELNS1_3repE0EEENS1_30default_config_static_selectorELNS0_4arch9wavefront6targetE1EEEvSP_
    .private_segment_fixed_size: 0
    .sgpr_count:     4
    .sgpr_spill_count: 0
    .symbol:         _ZN7rocprim17ROCPRIM_400000_NS6detail17trampoline_kernelINS0_14default_configENS1_29binary_search_config_selectorIsiEEZNS1_14transform_implILb0ES3_S5_N6thrust23THRUST_200600_302600_NS6detail15normal_iteratorINS8_10device_ptrIsEEEENSA_INSB_IiEEEEZNS1_13binary_searchIS3_S5_SD_SD_SF_NS1_16binary_search_opENS9_16wrapped_functionINS0_4lessIvEEbEEEE10hipError_tPvRmT1_T2_T3_mmT4_T5_P12ihipStream_tbEUlRKsE_EESM_SQ_SR_mSS_SV_bEUlT_E_NS1_11comp_targetILNS1_3genE10ELNS1_11target_archE1200ELNS1_3gpuE4ELNS1_3repE0EEENS1_30default_config_static_selectorELNS0_4arch9wavefront6targetE1EEEvSP_.kd
    .uniform_work_group_size: 1
    .uses_dynamic_stack: false
    .vgpr_count:     0
    .vgpr_spill_count: 0
    .wavefront_size: 64
  - .agpr_count:     0
    .args:
      - .offset:         0
        .size:           56
        .value_kind:     by_value
    .group_segment_fixed_size: 0
    .kernarg_segment_align: 8
    .kernarg_segment_size: 56
    .language:       OpenCL C
    .language_version:
      - 2
      - 0
    .max_flat_workgroup_size: 64
    .name:           _ZN7rocprim17ROCPRIM_400000_NS6detail17trampoline_kernelINS0_14default_configENS1_29binary_search_config_selectorIsiEEZNS1_14transform_implILb0ES3_S5_N6thrust23THRUST_200600_302600_NS6detail15normal_iteratorINS8_10device_ptrIsEEEENSA_INSB_IiEEEEZNS1_13binary_searchIS3_S5_SD_SD_SF_NS1_16binary_search_opENS9_16wrapped_functionINS0_4lessIvEEbEEEE10hipError_tPvRmT1_T2_T3_mmT4_T5_P12ihipStream_tbEUlRKsE_EESM_SQ_SR_mSS_SV_bEUlT_E_NS1_11comp_targetILNS1_3genE9ELNS1_11target_archE1100ELNS1_3gpuE3ELNS1_3repE0EEENS1_30default_config_static_selectorELNS0_4arch9wavefront6targetE1EEEvSP_
    .private_segment_fixed_size: 0
    .sgpr_count:     4
    .sgpr_spill_count: 0
    .symbol:         _ZN7rocprim17ROCPRIM_400000_NS6detail17trampoline_kernelINS0_14default_configENS1_29binary_search_config_selectorIsiEEZNS1_14transform_implILb0ES3_S5_N6thrust23THRUST_200600_302600_NS6detail15normal_iteratorINS8_10device_ptrIsEEEENSA_INSB_IiEEEEZNS1_13binary_searchIS3_S5_SD_SD_SF_NS1_16binary_search_opENS9_16wrapped_functionINS0_4lessIvEEbEEEE10hipError_tPvRmT1_T2_T3_mmT4_T5_P12ihipStream_tbEUlRKsE_EESM_SQ_SR_mSS_SV_bEUlT_E_NS1_11comp_targetILNS1_3genE9ELNS1_11target_archE1100ELNS1_3gpuE3ELNS1_3repE0EEENS1_30default_config_static_selectorELNS0_4arch9wavefront6targetE1EEEvSP_.kd
    .uniform_work_group_size: 1
    .uses_dynamic_stack: false
    .vgpr_count:     0
    .vgpr_spill_count: 0
    .wavefront_size: 64
  - .agpr_count:     0
    .args:
      - .offset:         0
        .size:           56
        .value_kind:     by_value
    .group_segment_fixed_size: 0
    .kernarg_segment_align: 8
    .kernarg_segment_size: 56
    .language:       OpenCL C
    .language_version:
      - 2
      - 0
    .max_flat_workgroup_size: 128
    .name:           _ZN7rocprim17ROCPRIM_400000_NS6detail17trampoline_kernelINS0_14default_configENS1_29binary_search_config_selectorIsiEEZNS1_14transform_implILb0ES3_S5_N6thrust23THRUST_200600_302600_NS6detail15normal_iteratorINS8_10device_ptrIsEEEENSA_INSB_IiEEEEZNS1_13binary_searchIS3_S5_SD_SD_SF_NS1_16binary_search_opENS9_16wrapped_functionINS0_4lessIvEEbEEEE10hipError_tPvRmT1_T2_T3_mmT4_T5_P12ihipStream_tbEUlRKsE_EESM_SQ_SR_mSS_SV_bEUlT_E_NS1_11comp_targetILNS1_3genE8ELNS1_11target_archE1030ELNS1_3gpuE2ELNS1_3repE0EEENS1_30default_config_static_selectorELNS0_4arch9wavefront6targetE1EEEvSP_
    .private_segment_fixed_size: 0
    .sgpr_count:     4
    .sgpr_spill_count: 0
    .symbol:         _ZN7rocprim17ROCPRIM_400000_NS6detail17trampoline_kernelINS0_14default_configENS1_29binary_search_config_selectorIsiEEZNS1_14transform_implILb0ES3_S5_N6thrust23THRUST_200600_302600_NS6detail15normal_iteratorINS8_10device_ptrIsEEEENSA_INSB_IiEEEEZNS1_13binary_searchIS3_S5_SD_SD_SF_NS1_16binary_search_opENS9_16wrapped_functionINS0_4lessIvEEbEEEE10hipError_tPvRmT1_T2_T3_mmT4_T5_P12ihipStream_tbEUlRKsE_EESM_SQ_SR_mSS_SV_bEUlT_E_NS1_11comp_targetILNS1_3genE8ELNS1_11target_archE1030ELNS1_3gpuE2ELNS1_3repE0EEENS1_30default_config_static_selectorELNS0_4arch9wavefront6targetE1EEEvSP_.kd
    .uniform_work_group_size: 1
    .uses_dynamic_stack: false
    .vgpr_count:     0
    .vgpr_spill_count: 0
    .wavefront_size: 64
  - .agpr_count:     0
    .args:
      - .offset:         0
        .size:           64
        .value_kind:     by_value
    .group_segment_fixed_size: 0
    .kernarg_segment_align: 8
    .kernarg_segment_size: 64
    .language:       OpenCL C
    .language_version:
      - 2
      - 0
    .max_flat_workgroup_size: 256
    .name:           _ZN7rocprim17ROCPRIM_400000_NS6detail17trampoline_kernelINS0_14default_configENS1_27lower_bound_config_selectorIxN6thrust23THRUST_200600_302600_NS6detail10any_assignEEEZNS1_14transform_implILb0ES3_S9_NS7_15normal_iteratorINS6_10device_ptrIxEEEENS6_16discard_iteratorINS6_11use_defaultEEEZNS1_13binary_searchIS3_S9_SE_SE_SH_NS1_21lower_bound_search_opENS7_16wrapped_functionINS0_4lessIvEEbEEEE10hipError_tPvRmT1_T2_T3_mmT4_T5_P12ihipStream_tbEUlRKxE_EESO_SS_ST_mSU_SX_bEUlT_E_NS1_11comp_targetILNS1_3genE0ELNS1_11target_archE4294967295ELNS1_3gpuE0ELNS1_3repE0EEENS1_30default_config_static_selectorELNS0_4arch9wavefront6targetE1EEEvSR_
    .private_segment_fixed_size: 0
    .sgpr_count:     4
    .sgpr_spill_count: 0
    .symbol:         _ZN7rocprim17ROCPRIM_400000_NS6detail17trampoline_kernelINS0_14default_configENS1_27lower_bound_config_selectorIxN6thrust23THRUST_200600_302600_NS6detail10any_assignEEEZNS1_14transform_implILb0ES3_S9_NS7_15normal_iteratorINS6_10device_ptrIxEEEENS6_16discard_iteratorINS6_11use_defaultEEEZNS1_13binary_searchIS3_S9_SE_SE_SH_NS1_21lower_bound_search_opENS7_16wrapped_functionINS0_4lessIvEEbEEEE10hipError_tPvRmT1_T2_T3_mmT4_T5_P12ihipStream_tbEUlRKxE_EESO_SS_ST_mSU_SX_bEUlT_E_NS1_11comp_targetILNS1_3genE0ELNS1_11target_archE4294967295ELNS1_3gpuE0ELNS1_3repE0EEENS1_30default_config_static_selectorELNS0_4arch9wavefront6targetE1EEEvSR_.kd
    .uniform_work_group_size: 1
    .uses_dynamic_stack: false
    .vgpr_count:     0
    .vgpr_spill_count: 0
    .wavefront_size: 64
  - .agpr_count:     0
    .args:
      - .offset:         0
        .size:           64
        .value_kind:     by_value
    .group_segment_fixed_size: 0
    .kernarg_segment_align: 8
    .kernarg_segment_size: 64
    .language:       OpenCL C
    .language_version:
      - 2
      - 0
    .max_flat_workgroup_size: 64
    .name:           _ZN7rocprim17ROCPRIM_400000_NS6detail17trampoline_kernelINS0_14default_configENS1_27lower_bound_config_selectorIxN6thrust23THRUST_200600_302600_NS6detail10any_assignEEEZNS1_14transform_implILb0ES3_S9_NS7_15normal_iteratorINS6_10device_ptrIxEEEENS6_16discard_iteratorINS6_11use_defaultEEEZNS1_13binary_searchIS3_S9_SE_SE_SH_NS1_21lower_bound_search_opENS7_16wrapped_functionINS0_4lessIvEEbEEEE10hipError_tPvRmT1_T2_T3_mmT4_T5_P12ihipStream_tbEUlRKxE_EESO_SS_ST_mSU_SX_bEUlT_E_NS1_11comp_targetILNS1_3genE5ELNS1_11target_archE942ELNS1_3gpuE9ELNS1_3repE0EEENS1_30default_config_static_selectorELNS0_4arch9wavefront6targetE1EEEvSR_
    .private_segment_fixed_size: 0
    .sgpr_count:     4
    .sgpr_spill_count: 0
    .symbol:         _ZN7rocprim17ROCPRIM_400000_NS6detail17trampoline_kernelINS0_14default_configENS1_27lower_bound_config_selectorIxN6thrust23THRUST_200600_302600_NS6detail10any_assignEEEZNS1_14transform_implILb0ES3_S9_NS7_15normal_iteratorINS6_10device_ptrIxEEEENS6_16discard_iteratorINS6_11use_defaultEEEZNS1_13binary_searchIS3_S9_SE_SE_SH_NS1_21lower_bound_search_opENS7_16wrapped_functionINS0_4lessIvEEbEEEE10hipError_tPvRmT1_T2_T3_mmT4_T5_P12ihipStream_tbEUlRKxE_EESO_SS_ST_mSU_SX_bEUlT_E_NS1_11comp_targetILNS1_3genE5ELNS1_11target_archE942ELNS1_3gpuE9ELNS1_3repE0EEENS1_30default_config_static_selectorELNS0_4arch9wavefront6targetE1EEEvSR_.kd
    .uniform_work_group_size: 1
    .uses_dynamic_stack: false
    .vgpr_count:     0
    .vgpr_spill_count: 0
    .wavefront_size: 64
  - .agpr_count:     0
    .args:
      - .offset:         0
        .size:           64
        .value_kind:     by_value
    .group_segment_fixed_size: 0
    .kernarg_segment_align: 8
    .kernarg_segment_size: 64
    .language:       OpenCL C
    .language_version:
      - 2
      - 0
    .max_flat_workgroup_size: 64
    .name:           _ZN7rocprim17ROCPRIM_400000_NS6detail17trampoline_kernelINS0_14default_configENS1_27lower_bound_config_selectorIxN6thrust23THRUST_200600_302600_NS6detail10any_assignEEEZNS1_14transform_implILb0ES3_S9_NS7_15normal_iteratorINS6_10device_ptrIxEEEENS6_16discard_iteratorINS6_11use_defaultEEEZNS1_13binary_searchIS3_S9_SE_SE_SH_NS1_21lower_bound_search_opENS7_16wrapped_functionINS0_4lessIvEEbEEEE10hipError_tPvRmT1_T2_T3_mmT4_T5_P12ihipStream_tbEUlRKxE_EESO_SS_ST_mSU_SX_bEUlT_E_NS1_11comp_targetILNS1_3genE4ELNS1_11target_archE910ELNS1_3gpuE8ELNS1_3repE0EEENS1_30default_config_static_selectorELNS0_4arch9wavefront6targetE1EEEvSR_
    .private_segment_fixed_size: 0
    .sgpr_count:     4
    .sgpr_spill_count: 0
    .symbol:         _ZN7rocprim17ROCPRIM_400000_NS6detail17trampoline_kernelINS0_14default_configENS1_27lower_bound_config_selectorIxN6thrust23THRUST_200600_302600_NS6detail10any_assignEEEZNS1_14transform_implILb0ES3_S9_NS7_15normal_iteratorINS6_10device_ptrIxEEEENS6_16discard_iteratorINS6_11use_defaultEEEZNS1_13binary_searchIS3_S9_SE_SE_SH_NS1_21lower_bound_search_opENS7_16wrapped_functionINS0_4lessIvEEbEEEE10hipError_tPvRmT1_T2_T3_mmT4_T5_P12ihipStream_tbEUlRKxE_EESO_SS_ST_mSU_SX_bEUlT_E_NS1_11comp_targetILNS1_3genE4ELNS1_11target_archE910ELNS1_3gpuE8ELNS1_3repE0EEENS1_30default_config_static_selectorELNS0_4arch9wavefront6targetE1EEEvSR_.kd
    .uniform_work_group_size: 1
    .uses_dynamic_stack: false
    .vgpr_count:     0
    .vgpr_spill_count: 0
    .wavefront_size: 64
  - .agpr_count:     0
    .args:
      - .offset:         0
        .size:           64
        .value_kind:     by_value
    .group_segment_fixed_size: 0
    .kernarg_segment_align: 8
    .kernarg_segment_size: 64
    .language:       OpenCL C
    .language_version:
      - 2
      - 0
    .max_flat_workgroup_size: 256
    .name:           _ZN7rocprim17ROCPRIM_400000_NS6detail17trampoline_kernelINS0_14default_configENS1_27lower_bound_config_selectorIxN6thrust23THRUST_200600_302600_NS6detail10any_assignEEEZNS1_14transform_implILb0ES3_S9_NS7_15normal_iteratorINS6_10device_ptrIxEEEENS6_16discard_iteratorINS6_11use_defaultEEEZNS1_13binary_searchIS3_S9_SE_SE_SH_NS1_21lower_bound_search_opENS7_16wrapped_functionINS0_4lessIvEEbEEEE10hipError_tPvRmT1_T2_T3_mmT4_T5_P12ihipStream_tbEUlRKxE_EESO_SS_ST_mSU_SX_bEUlT_E_NS1_11comp_targetILNS1_3genE3ELNS1_11target_archE908ELNS1_3gpuE7ELNS1_3repE0EEENS1_30default_config_static_selectorELNS0_4arch9wavefront6targetE1EEEvSR_
    .private_segment_fixed_size: 0
    .sgpr_count:     4
    .sgpr_spill_count: 0
    .symbol:         _ZN7rocprim17ROCPRIM_400000_NS6detail17trampoline_kernelINS0_14default_configENS1_27lower_bound_config_selectorIxN6thrust23THRUST_200600_302600_NS6detail10any_assignEEEZNS1_14transform_implILb0ES3_S9_NS7_15normal_iteratorINS6_10device_ptrIxEEEENS6_16discard_iteratorINS6_11use_defaultEEEZNS1_13binary_searchIS3_S9_SE_SE_SH_NS1_21lower_bound_search_opENS7_16wrapped_functionINS0_4lessIvEEbEEEE10hipError_tPvRmT1_T2_T3_mmT4_T5_P12ihipStream_tbEUlRKxE_EESO_SS_ST_mSU_SX_bEUlT_E_NS1_11comp_targetILNS1_3genE3ELNS1_11target_archE908ELNS1_3gpuE7ELNS1_3repE0EEENS1_30default_config_static_selectorELNS0_4arch9wavefront6targetE1EEEvSR_.kd
    .uniform_work_group_size: 1
    .uses_dynamic_stack: false
    .vgpr_count:     0
    .vgpr_spill_count: 0
    .wavefront_size: 64
  - .agpr_count:     0
    .args:
      - .offset:         0
        .size:           64
        .value_kind:     by_value
    .group_segment_fixed_size: 0
    .kernarg_segment_align: 8
    .kernarg_segment_size: 64
    .language:       OpenCL C
    .language_version:
      - 2
      - 0
    .max_flat_workgroup_size: 256
    .name:           _ZN7rocprim17ROCPRIM_400000_NS6detail17trampoline_kernelINS0_14default_configENS1_27lower_bound_config_selectorIxN6thrust23THRUST_200600_302600_NS6detail10any_assignEEEZNS1_14transform_implILb0ES3_S9_NS7_15normal_iteratorINS6_10device_ptrIxEEEENS6_16discard_iteratorINS6_11use_defaultEEEZNS1_13binary_searchIS3_S9_SE_SE_SH_NS1_21lower_bound_search_opENS7_16wrapped_functionINS0_4lessIvEEbEEEE10hipError_tPvRmT1_T2_T3_mmT4_T5_P12ihipStream_tbEUlRKxE_EESO_SS_ST_mSU_SX_bEUlT_E_NS1_11comp_targetILNS1_3genE2ELNS1_11target_archE906ELNS1_3gpuE6ELNS1_3repE0EEENS1_30default_config_static_selectorELNS0_4arch9wavefront6targetE1EEEvSR_
    .private_segment_fixed_size: 0
    .sgpr_count:     4
    .sgpr_spill_count: 0
    .symbol:         _ZN7rocprim17ROCPRIM_400000_NS6detail17trampoline_kernelINS0_14default_configENS1_27lower_bound_config_selectorIxN6thrust23THRUST_200600_302600_NS6detail10any_assignEEEZNS1_14transform_implILb0ES3_S9_NS7_15normal_iteratorINS6_10device_ptrIxEEEENS6_16discard_iteratorINS6_11use_defaultEEEZNS1_13binary_searchIS3_S9_SE_SE_SH_NS1_21lower_bound_search_opENS7_16wrapped_functionINS0_4lessIvEEbEEEE10hipError_tPvRmT1_T2_T3_mmT4_T5_P12ihipStream_tbEUlRKxE_EESO_SS_ST_mSU_SX_bEUlT_E_NS1_11comp_targetILNS1_3genE2ELNS1_11target_archE906ELNS1_3gpuE6ELNS1_3repE0EEENS1_30default_config_static_selectorELNS0_4arch9wavefront6targetE1EEEvSR_.kd
    .uniform_work_group_size: 1
    .uses_dynamic_stack: false
    .vgpr_count:     0
    .vgpr_spill_count: 0
    .wavefront_size: 64
  - .agpr_count:     0
    .args:
      - .offset:         0
        .size:           64
        .value_kind:     by_value
    .group_segment_fixed_size: 0
    .kernarg_segment_align: 8
    .kernarg_segment_size: 64
    .language:       OpenCL C
    .language_version:
      - 2
      - 0
    .max_flat_workgroup_size: 256
    .name:           _ZN7rocprim17ROCPRIM_400000_NS6detail17trampoline_kernelINS0_14default_configENS1_27lower_bound_config_selectorIxN6thrust23THRUST_200600_302600_NS6detail10any_assignEEEZNS1_14transform_implILb0ES3_S9_NS7_15normal_iteratorINS6_10device_ptrIxEEEENS6_16discard_iteratorINS6_11use_defaultEEEZNS1_13binary_searchIS3_S9_SE_SE_SH_NS1_21lower_bound_search_opENS7_16wrapped_functionINS0_4lessIvEEbEEEE10hipError_tPvRmT1_T2_T3_mmT4_T5_P12ihipStream_tbEUlRKxE_EESO_SS_ST_mSU_SX_bEUlT_E_NS1_11comp_targetILNS1_3genE10ELNS1_11target_archE1201ELNS1_3gpuE5ELNS1_3repE0EEENS1_30default_config_static_selectorELNS0_4arch9wavefront6targetE1EEEvSR_
    .private_segment_fixed_size: 0
    .sgpr_count:     4
    .sgpr_spill_count: 0
    .symbol:         _ZN7rocprim17ROCPRIM_400000_NS6detail17trampoline_kernelINS0_14default_configENS1_27lower_bound_config_selectorIxN6thrust23THRUST_200600_302600_NS6detail10any_assignEEEZNS1_14transform_implILb0ES3_S9_NS7_15normal_iteratorINS6_10device_ptrIxEEEENS6_16discard_iteratorINS6_11use_defaultEEEZNS1_13binary_searchIS3_S9_SE_SE_SH_NS1_21lower_bound_search_opENS7_16wrapped_functionINS0_4lessIvEEbEEEE10hipError_tPvRmT1_T2_T3_mmT4_T5_P12ihipStream_tbEUlRKxE_EESO_SS_ST_mSU_SX_bEUlT_E_NS1_11comp_targetILNS1_3genE10ELNS1_11target_archE1201ELNS1_3gpuE5ELNS1_3repE0EEENS1_30default_config_static_selectorELNS0_4arch9wavefront6targetE1EEEvSR_.kd
    .uniform_work_group_size: 1
    .uses_dynamic_stack: false
    .vgpr_count:     0
    .vgpr_spill_count: 0
    .wavefront_size: 64
  - .agpr_count:     0
    .args:
      - .offset:         0
        .size:           64
        .value_kind:     by_value
    .group_segment_fixed_size: 0
    .kernarg_segment_align: 8
    .kernarg_segment_size: 64
    .language:       OpenCL C
    .language_version:
      - 2
      - 0
    .max_flat_workgroup_size: 128
    .name:           _ZN7rocprim17ROCPRIM_400000_NS6detail17trampoline_kernelINS0_14default_configENS1_27lower_bound_config_selectorIxN6thrust23THRUST_200600_302600_NS6detail10any_assignEEEZNS1_14transform_implILb0ES3_S9_NS7_15normal_iteratorINS6_10device_ptrIxEEEENS6_16discard_iteratorINS6_11use_defaultEEEZNS1_13binary_searchIS3_S9_SE_SE_SH_NS1_21lower_bound_search_opENS7_16wrapped_functionINS0_4lessIvEEbEEEE10hipError_tPvRmT1_T2_T3_mmT4_T5_P12ihipStream_tbEUlRKxE_EESO_SS_ST_mSU_SX_bEUlT_E_NS1_11comp_targetILNS1_3genE10ELNS1_11target_archE1200ELNS1_3gpuE4ELNS1_3repE0EEENS1_30default_config_static_selectorELNS0_4arch9wavefront6targetE1EEEvSR_
    .private_segment_fixed_size: 0
    .sgpr_count:     4
    .sgpr_spill_count: 0
    .symbol:         _ZN7rocprim17ROCPRIM_400000_NS6detail17trampoline_kernelINS0_14default_configENS1_27lower_bound_config_selectorIxN6thrust23THRUST_200600_302600_NS6detail10any_assignEEEZNS1_14transform_implILb0ES3_S9_NS7_15normal_iteratorINS6_10device_ptrIxEEEENS6_16discard_iteratorINS6_11use_defaultEEEZNS1_13binary_searchIS3_S9_SE_SE_SH_NS1_21lower_bound_search_opENS7_16wrapped_functionINS0_4lessIvEEbEEEE10hipError_tPvRmT1_T2_T3_mmT4_T5_P12ihipStream_tbEUlRKxE_EESO_SS_ST_mSU_SX_bEUlT_E_NS1_11comp_targetILNS1_3genE10ELNS1_11target_archE1200ELNS1_3gpuE4ELNS1_3repE0EEENS1_30default_config_static_selectorELNS0_4arch9wavefront6targetE1EEEvSR_.kd
    .uniform_work_group_size: 1
    .uses_dynamic_stack: false
    .vgpr_count:     0
    .vgpr_spill_count: 0
    .wavefront_size: 64
  - .agpr_count:     0
    .args:
      - .offset:         0
        .size:           64
        .value_kind:     by_value
    .group_segment_fixed_size: 0
    .kernarg_segment_align: 8
    .kernarg_segment_size: 64
    .language:       OpenCL C
    .language_version:
      - 2
      - 0
    .max_flat_workgroup_size: 64
    .name:           _ZN7rocprim17ROCPRIM_400000_NS6detail17trampoline_kernelINS0_14default_configENS1_27lower_bound_config_selectorIxN6thrust23THRUST_200600_302600_NS6detail10any_assignEEEZNS1_14transform_implILb0ES3_S9_NS7_15normal_iteratorINS6_10device_ptrIxEEEENS6_16discard_iteratorINS6_11use_defaultEEEZNS1_13binary_searchIS3_S9_SE_SE_SH_NS1_21lower_bound_search_opENS7_16wrapped_functionINS0_4lessIvEEbEEEE10hipError_tPvRmT1_T2_T3_mmT4_T5_P12ihipStream_tbEUlRKxE_EESO_SS_ST_mSU_SX_bEUlT_E_NS1_11comp_targetILNS1_3genE9ELNS1_11target_archE1100ELNS1_3gpuE3ELNS1_3repE0EEENS1_30default_config_static_selectorELNS0_4arch9wavefront6targetE1EEEvSR_
    .private_segment_fixed_size: 0
    .sgpr_count:     4
    .sgpr_spill_count: 0
    .symbol:         _ZN7rocprim17ROCPRIM_400000_NS6detail17trampoline_kernelINS0_14default_configENS1_27lower_bound_config_selectorIxN6thrust23THRUST_200600_302600_NS6detail10any_assignEEEZNS1_14transform_implILb0ES3_S9_NS7_15normal_iteratorINS6_10device_ptrIxEEEENS6_16discard_iteratorINS6_11use_defaultEEEZNS1_13binary_searchIS3_S9_SE_SE_SH_NS1_21lower_bound_search_opENS7_16wrapped_functionINS0_4lessIvEEbEEEE10hipError_tPvRmT1_T2_T3_mmT4_T5_P12ihipStream_tbEUlRKxE_EESO_SS_ST_mSU_SX_bEUlT_E_NS1_11comp_targetILNS1_3genE9ELNS1_11target_archE1100ELNS1_3gpuE3ELNS1_3repE0EEENS1_30default_config_static_selectorELNS0_4arch9wavefront6targetE1EEEvSR_.kd
    .uniform_work_group_size: 1
    .uses_dynamic_stack: false
    .vgpr_count:     0
    .vgpr_spill_count: 0
    .wavefront_size: 64
  - .agpr_count:     0
    .args:
      - .offset:         0
        .size:           64
        .value_kind:     by_value
    .group_segment_fixed_size: 0
    .kernarg_segment_align: 8
    .kernarg_segment_size: 64
    .language:       OpenCL C
    .language_version:
      - 2
      - 0
    .max_flat_workgroup_size: 256
    .name:           _ZN7rocprim17ROCPRIM_400000_NS6detail17trampoline_kernelINS0_14default_configENS1_27lower_bound_config_selectorIxN6thrust23THRUST_200600_302600_NS6detail10any_assignEEEZNS1_14transform_implILb0ES3_S9_NS7_15normal_iteratorINS6_10device_ptrIxEEEENS6_16discard_iteratorINS6_11use_defaultEEEZNS1_13binary_searchIS3_S9_SE_SE_SH_NS1_21lower_bound_search_opENS7_16wrapped_functionINS0_4lessIvEEbEEEE10hipError_tPvRmT1_T2_T3_mmT4_T5_P12ihipStream_tbEUlRKxE_EESO_SS_ST_mSU_SX_bEUlT_E_NS1_11comp_targetILNS1_3genE8ELNS1_11target_archE1030ELNS1_3gpuE2ELNS1_3repE0EEENS1_30default_config_static_selectorELNS0_4arch9wavefront6targetE1EEEvSR_
    .private_segment_fixed_size: 0
    .sgpr_count:     4
    .sgpr_spill_count: 0
    .symbol:         _ZN7rocprim17ROCPRIM_400000_NS6detail17trampoline_kernelINS0_14default_configENS1_27lower_bound_config_selectorIxN6thrust23THRUST_200600_302600_NS6detail10any_assignEEEZNS1_14transform_implILb0ES3_S9_NS7_15normal_iteratorINS6_10device_ptrIxEEEENS6_16discard_iteratorINS6_11use_defaultEEEZNS1_13binary_searchIS3_S9_SE_SE_SH_NS1_21lower_bound_search_opENS7_16wrapped_functionINS0_4lessIvEEbEEEE10hipError_tPvRmT1_T2_T3_mmT4_T5_P12ihipStream_tbEUlRKxE_EESO_SS_ST_mSU_SX_bEUlT_E_NS1_11comp_targetILNS1_3genE8ELNS1_11target_archE1030ELNS1_3gpuE2ELNS1_3repE0EEENS1_30default_config_static_selectorELNS0_4arch9wavefront6targetE1EEEvSR_.kd
    .uniform_work_group_size: 1
    .uses_dynamic_stack: false
    .vgpr_count:     0
    .vgpr_spill_count: 0
    .wavefront_size: 64
  - .agpr_count:     0
    .args:
      - .offset:         0
        .size:           64
        .value_kind:     by_value
    .group_segment_fixed_size: 0
    .kernarg_segment_align: 8
    .kernarg_segment_size: 64
    .language:       OpenCL C
    .language_version:
      - 2
      - 0
    .max_flat_workgroup_size: 256
    .name:           _ZN7rocprim17ROCPRIM_400000_NS6detail17trampoline_kernelINS0_14default_configENS1_27lower_bound_config_selectorIiN6thrust23THRUST_200600_302600_NS6detail10any_assignEEEZNS1_14transform_implILb0ES3_S9_NS7_15normal_iteratorINS6_10device_ptrIiEEEENS6_16discard_iteratorINS6_11use_defaultEEEZNS1_13binary_searchIS3_S9_SE_SE_SH_NS1_21lower_bound_search_opENS7_16wrapped_functionINS0_4lessIvEEbEEEE10hipError_tPvRmT1_T2_T3_mmT4_T5_P12ihipStream_tbEUlRKiE_EESO_SS_ST_mSU_SX_bEUlT_E_NS1_11comp_targetILNS1_3genE0ELNS1_11target_archE4294967295ELNS1_3gpuE0ELNS1_3repE0EEENS1_30default_config_static_selectorELNS0_4arch9wavefront6targetE1EEEvSR_
    .private_segment_fixed_size: 0
    .sgpr_count:     4
    .sgpr_spill_count: 0
    .symbol:         _ZN7rocprim17ROCPRIM_400000_NS6detail17trampoline_kernelINS0_14default_configENS1_27lower_bound_config_selectorIiN6thrust23THRUST_200600_302600_NS6detail10any_assignEEEZNS1_14transform_implILb0ES3_S9_NS7_15normal_iteratorINS6_10device_ptrIiEEEENS6_16discard_iteratorINS6_11use_defaultEEEZNS1_13binary_searchIS3_S9_SE_SE_SH_NS1_21lower_bound_search_opENS7_16wrapped_functionINS0_4lessIvEEbEEEE10hipError_tPvRmT1_T2_T3_mmT4_T5_P12ihipStream_tbEUlRKiE_EESO_SS_ST_mSU_SX_bEUlT_E_NS1_11comp_targetILNS1_3genE0ELNS1_11target_archE4294967295ELNS1_3gpuE0ELNS1_3repE0EEENS1_30default_config_static_selectorELNS0_4arch9wavefront6targetE1EEEvSR_.kd
    .uniform_work_group_size: 1
    .uses_dynamic_stack: false
    .vgpr_count:     0
    .vgpr_spill_count: 0
    .wavefront_size: 64
  - .agpr_count:     0
    .args:
      - .offset:         0
        .size:           64
        .value_kind:     by_value
    .group_segment_fixed_size: 0
    .kernarg_segment_align: 8
    .kernarg_segment_size: 64
    .language:       OpenCL C
    .language_version:
      - 2
      - 0
    .max_flat_workgroup_size: 128
    .name:           _ZN7rocprim17ROCPRIM_400000_NS6detail17trampoline_kernelINS0_14default_configENS1_27lower_bound_config_selectorIiN6thrust23THRUST_200600_302600_NS6detail10any_assignEEEZNS1_14transform_implILb0ES3_S9_NS7_15normal_iteratorINS6_10device_ptrIiEEEENS6_16discard_iteratorINS6_11use_defaultEEEZNS1_13binary_searchIS3_S9_SE_SE_SH_NS1_21lower_bound_search_opENS7_16wrapped_functionINS0_4lessIvEEbEEEE10hipError_tPvRmT1_T2_T3_mmT4_T5_P12ihipStream_tbEUlRKiE_EESO_SS_ST_mSU_SX_bEUlT_E_NS1_11comp_targetILNS1_3genE5ELNS1_11target_archE942ELNS1_3gpuE9ELNS1_3repE0EEENS1_30default_config_static_selectorELNS0_4arch9wavefront6targetE1EEEvSR_
    .private_segment_fixed_size: 0
    .sgpr_count:     4
    .sgpr_spill_count: 0
    .symbol:         _ZN7rocprim17ROCPRIM_400000_NS6detail17trampoline_kernelINS0_14default_configENS1_27lower_bound_config_selectorIiN6thrust23THRUST_200600_302600_NS6detail10any_assignEEEZNS1_14transform_implILb0ES3_S9_NS7_15normal_iteratorINS6_10device_ptrIiEEEENS6_16discard_iteratorINS6_11use_defaultEEEZNS1_13binary_searchIS3_S9_SE_SE_SH_NS1_21lower_bound_search_opENS7_16wrapped_functionINS0_4lessIvEEbEEEE10hipError_tPvRmT1_T2_T3_mmT4_T5_P12ihipStream_tbEUlRKiE_EESO_SS_ST_mSU_SX_bEUlT_E_NS1_11comp_targetILNS1_3genE5ELNS1_11target_archE942ELNS1_3gpuE9ELNS1_3repE0EEENS1_30default_config_static_selectorELNS0_4arch9wavefront6targetE1EEEvSR_.kd
    .uniform_work_group_size: 1
    .uses_dynamic_stack: false
    .vgpr_count:     0
    .vgpr_spill_count: 0
    .wavefront_size: 64
  - .agpr_count:     0
    .args:
      - .offset:         0
        .size:           64
        .value_kind:     by_value
    .group_segment_fixed_size: 0
    .kernarg_segment_align: 8
    .kernarg_segment_size: 64
    .language:       OpenCL C
    .language_version:
      - 2
      - 0
    .max_flat_workgroup_size: 256
    .name:           _ZN7rocprim17ROCPRIM_400000_NS6detail17trampoline_kernelINS0_14default_configENS1_27lower_bound_config_selectorIiN6thrust23THRUST_200600_302600_NS6detail10any_assignEEEZNS1_14transform_implILb0ES3_S9_NS7_15normal_iteratorINS6_10device_ptrIiEEEENS6_16discard_iteratorINS6_11use_defaultEEEZNS1_13binary_searchIS3_S9_SE_SE_SH_NS1_21lower_bound_search_opENS7_16wrapped_functionINS0_4lessIvEEbEEEE10hipError_tPvRmT1_T2_T3_mmT4_T5_P12ihipStream_tbEUlRKiE_EESO_SS_ST_mSU_SX_bEUlT_E_NS1_11comp_targetILNS1_3genE4ELNS1_11target_archE910ELNS1_3gpuE8ELNS1_3repE0EEENS1_30default_config_static_selectorELNS0_4arch9wavefront6targetE1EEEvSR_
    .private_segment_fixed_size: 0
    .sgpr_count:     4
    .sgpr_spill_count: 0
    .symbol:         _ZN7rocprim17ROCPRIM_400000_NS6detail17trampoline_kernelINS0_14default_configENS1_27lower_bound_config_selectorIiN6thrust23THRUST_200600_302600_NS6detail10any_assignEEEZNS1_14transform_implILb0ES3_S9_NS7_15normal_iteratorINS6_10device_ptrIiEEEENS6_16discard_iteratorINS6_11use_defaultEEEZNS1_13binary_searchIS3_S9_SE_SE_SH_NS1_21lower_bound_search_opENS7_16wrapped_functionINS0_4lessIvEEbEEEE10hipError_tPvRmT1_T2_T3_mmT4_T5_P12ihipStream_tbEUlRKiE_EESO_SS_ST_mSU_SX_bEUlT_E_NS1_11comp_targetILNS1_3genE4ELNS1_11target_archE910ELNS1_3gpuE8ELNS1_3repE0EEENS1_30default_config_static_selectorELNS0_4arch9wavefront6targetE1EEEvSR_.kd
    .uniform_work_group_size: 1
    .uses_dynamic_stack: false
    .vgpr_count:     0
    .vgpr_spill_count: 0
    .wavefront_size: 64
  - .agpr_count:     0
    .args:
      - .offset:         0
        .size:           64
        .value_kind:     by_value
    .group_segment_fixed_size: 0
    .kernarg_segment_align: 8
    .kernarg_segment_size: 64
    .language:       OpenCL C
    .language_version:
      - 2
      - 0
    .max_flat_workgroup_size: 256
    .name:           _ZN7rocprim17ROCPRIM_400000_NS6detail17trampoline_kernelINS0_14default_configENS1_27lower_bound_config_selectorIiN6thrust23THRUST_200600_302600_NS6detail10any_assignEEEZNS1_14transform_implILb0ES3_S9_NS7_15normal_iteratorINS6_10device_ptrIiEEEENS6_16discard_iteratorINS6_11use_defaultEEEZNS1_13binary_searchIS3_S9_SE_SE_SH_NS1_21lower_bound_search_opENS7_16wrapped_functionINS0_4lessIvEEbEEEE10hipError_tPvRmT1_T2_T3_mmT4_T5_P12ihipStream_tbEUlRKiE_EESO_SS_ST_mSU_SX_bEUlT_E_NS1_11comp_targetILNS1_3genE3ELNS1_11target_archE908ELNS1_3gpuE7ELNS1_3repE0EEENS1_30default_config_static_selectorELNS0_4arch9wavefront6targetE1EEEvSR_
    .private_segment_fixed_size: 0
    .sgpr_count:     4
    .sgpr_spill_count: 0
    .symbol:         _ZN7rocprim17ROCPRIM_400000_NS6detail17trampoline_kernelINS0_14default_configENS1_27lower_bound_config_selectorIiN6thrust23THRUST_200600_302600_NS6detail10any_assignEEEZNS1_14transform_implILb0ES3_S9_NS7_15normal_iteratorINS6_10device_ptrIiEEEENS6_16discard_iteratorINS6_11use_defaultEEEZNS1_13binary_searchIS3_S9_SE_SE_SH_NS1_21lower_bound_search_opENS7_16wrapped_functionINS0_4lessIvEEbEEEE10hipError_tPvRmT1_T2_T3_mmT4_T5_P12ihipStream_tbEUlRKiE_EESO_SS_ST_mSU_SX_bEUlT_E_NS1_11comp_targetILNS1_3genE3ELNS1_11target_archE908ELNS1_3gpuE7ELNS1_3repE0EEENS1_30default_config_static_selectorELNS0_4arch9wavefront6targetE1EEEvSR_.kd
    .uniform_work_group_size: 1
    .uses_dynamic_stack: false
    .vgpr_count:     0
    .vgpr_spill_count: 0
    .wavefront_size: 64
  - .agpr_count:     0
    .args:
      - .offset:         0
        .size:           64
        .value_kind:     by_value
    .group_segment_fixed_size: 0
    .kernarg_segment_align: 8
    .kernarg_segment_size: 64
    .language:       OpenCL C
    .language_version:
      - 2
      - 0
    .max_flat_workgroup_size: 256
    .name:           _ZN7rocprim17ROCPRIM_400000_NS6detail17trampoline_kernelINS0_14default_configENS1_27lower_bound_config_selectorIiN6thrust23THRUST_200600_302600_NS6detail10any_assignEEEZNS1_14transform_implILb0ES3_S9_NS7_15normal_iteratorINS6_10device_ptrIiEEEENS6_16discard_iteratorINS6_11use_defaultEEEZNS1_13binary_searchIS3_S9_SE_SE_SH_NS1_21lower_bound_search_opENS7_16wrapped_functionINS0_4lessIvEEbEEEE10hipError_tPvRmT1_T2_T3_mmT4_T5_P12ihipStream_tbEUlRKiE_EESO_SS_ST_mSU_SX_bEUlT_E_NS1_11comp_targetILNS1_3genE2ELNS1_11target_archE906ELNS1_3gpuE6ELNS1_3repE0EEENS1_30default_config_static_selectorELNS0_4arch9wavefront6targetE1EEEvSR_
    .private_segment_fixed_size: 0
    .sgpr_count:     4
    .sgpr_spill_count: 0
    .symbol:         _ZN7rocprim17ROCPRIM_400000_NS6detail17trampoline_kernelINS0_14default_configENS1_27lower_bound_config_selectorIiN6thrust23THRUST_200600_302600_NS6detail10any_assignEEEZNS1_14transform_implILb0ES3_S9_NS7_15normal_iteratorINS6_10device_ptrIiEEEENS6_16discard_iteratorINS6_11use_defaultEEEZNS1_13binary_searchIS3_S9_SE_SE_SH_NS1_21lower_bound_search_opENS7_16wrapped_functionINS0_4lessIvEEbEEEE10hipError_tPvRmT1_T2_T3_mmT4_T5_P12ihipStream_tbEUlRKiE_EESO_SS_ST_mSU_SX_bEUlT_E_NS1_11comp_targetILNS1_3genE2ELNS1_11target_archE906ELNS1_3gpuE6ELNS1_3repE0EEENS1_30default_config_static_selectorELNS0_4arch9wavefront6targetE1EEEvSR_.kd
    .uniform_work_group_size: 1
    .uses_dynamic_stack: false
    .vgpr_count:     0
    .vgpr_spill_count: 0
    .wavefront_size: 64
  - .agpr_count:     0
    .args:
      - .offset:         0
        .size:           64
        .value_kind:     by_value
    .group_segment_fixed_size: 0
    .kernarg_segment_align: 8
    .kernarg_segment_size: 64
    .language:       OpenCL C
    .language_version:
      - 2
      - 0
    .max_flat_workgroup_size: 128
    .name:           _ZN7rocprim17ROCPRIM_400000_NS6detail17trampoline_kernelINS0_14default_configENS1_27lower_bound_config_selectorIiN6thrust23THRUST_200600_302600_NS6detail10any_assignEEEZNS1_14transform_implILb0ES3_S9_NS7_15normal_iteratorINS6_10device_ptrIiEEEENS6_16discard_iteratorINS6_11use_defaultEEEZNS1_13binary_searchIS3_S9_SE_SE_SH_NS1_21lower_bound_search_opENS7_16wrapped_functionINS0_4lessIvEEbEEEE10hipError_tPvRmT1_T2_T3_mmT4_T5_P12ihipStream_tbEUlRKiE_EESO_SS_ST_mSU_SX_bEUlT_E_NS1_11comp_targetILNS1_3genE10ELNS1_11target_archE1201ELNS1_3gpuE5ELNS1_3repE0EEENS1_30default_config_static_selectorELNS0_4arch9wavefront6targetE1EEEvSR_
    .private_segment_fixed_size: 0
    .sgpr_count:     4
    .sgpr_spill_count: 0
    .symbol:         _ZN7rocprim17ROCPRIM_400000_NS6detail17trampoline_kernelINS0_14default_configENS1_27lower_bound_config_selectorIiN6thrust23THRUST_200600_302600_NS6detail10any_assignEEEZNS1_14transform_implILb0ES3_S9_NS7_15normal_iteratorINS6_10device_ptrIiEEEENS6_16discard_iteratorINS6_11use_defaultEEEZNS1_13binary_searchIS3_S9_SE_SE_SH_NS1_21lower_bound_search_opENS7_16wrapped_functionINS0_4lessIvEEbEEEE10hipError_tPvRmT1_T2_T3_mmT4_T5_P12ihipStream_tbEUlRKiE_EESO_SS_ST_mSU_SX_bEUlT_E_NS1_11comp_targetILNS1_3genE10ELNS1_11target_archE1201ELNS1_3gpuE5ELNS1_3repE0EEENS1_30default_config_static_selectorELNS0_4arch9wavefront6targetE1EEEvSR_.kd
    .uniform_work_group_size: 1
    .uses_dynamic_stack: false
    .vgpr_count:     0
    .vgpr_spill_count: 0
    .wavefront_size: 64
  - .agpr_count:     0
    .args:
      - .offset:         0
        .size:           64
        .value_kind:     by_value
    .group_segment_fixed_size: 0
    .kernarg_segment_align: 8
    .kernarg_segment_size: 64
    .language:       OpenCL C
    .language_version:
      - 2
      - 0
    .max_flat_workgroup_size: 128
    .name:           _ZN7rocprim17ROCPRIM_400000_NS6detail17trampoline_kernelINS0_14default_configENS1_27lower_bound_config_selectorIiN6thrust23THRUST_200600_302600_NS6detail10any_assignEEEZNS1_14transform_implILb0ES3_S9_NS7_15normal_iteratorINS6_10device_ptrIiEEEENS6_16discard_iteratorINS6_11use_defaultEEEZNS1_13binary_searchIS3_S9_SE_SE_SH_NS1_21lower_bound_search_opENS7_16wrapped_functionINS0_4lessIvEEbEEEE10hipError_tPvRmT1_T2_T3_mmT4_T5_P12ihipStream_tbEUlRKiE_EESO_SS_ST_mSU_SX_bEUlT_E_NS1_11comp_targetILNS1_3genE10ELNS1_11target_archE1200ELNS1_3gpuE4ELNS1_3repE0EEENS1_30default_config_static_selectorELNS0_4arch9wavefront6targetE1EEEvSR_
    .private_segment_fixed_size: 0
    .sgpr_count:     4
    .sgpr_spill_count: 0
    .symbol:         _ZN7rocprim17ROCPRIM_400000_NS6detail17trampoline_kernelINS0_14default_configENS1_27lower_bound_config_selectorIiN6thrust23THRUST_200600_302600_NS6detail10any_assignEEEZNS1_14transform_implILb0ES3_S9_NS7_15normal_iteratorINS6_10device_ptrIiEEEENS6_16discard_iteratorINS6_11use_defaultEEEZNS1_13binary_searchIS3_S9_SE_SE_SH_NS1_21lower_bound_search_opENS7_16wrapped_functionINS0_4lessIvEEbEEEE10hipError_tPvRmT1_T2_T3_mmT4_T5_P12ihipStream_tbEUlRKiE_EESO_SS_ST_mSU_SX_bEUlT_E_NS1_11comp_targetILNS1_3genE10ELNS1_11target_archE1200ELNS1_3gpuE4ELNS1_3repE0EEENS1_30default_config_static_selectorELNS0_4arch9wavefront6targetE1EEEvSR_.kd
    .uniform_work_group_size: 1
    .uses_dynamic_stack: false
    .vgpr_count:     0
    .vgpr_spill_count: 0
    .wavefront_size: 64
  - .agpr_count:     0
    .args:
      - .offset:         0
        .size:           64
        .value_kind:     by_value
    .group_segment_fixed_size: 0
    .kernarg_segment_align: 8
    .kernarg_segment_size: 64
    .language:       OpenCL C
    .language_version:
      - 2
      - 0
    .max_flat_workgroup_size: 128
    .name:           _ZN7rocprim17ROCPRIM_400000_NS6detail17trampoline_kernelINS0_14default_configENS1_27lower_bound_config_selectorIiN6thrust23THRUST_200600_302600_NS6detail10any_assignEEEZNS1_14transform_implILb0ES3_S9_NS7_15normal_iteratorINS6_10device_ptrIiEEEENS6_16discard_iteratorINS6_11use_defaultEEEZNS1_13binary_searchIS3_S9_SE_SE_SH_NS1_21lower_bound_search_opENS7_16wrapped_functionINS0_4lessIvEEbEEEE10hipError_tPvRmT1_T2_T3_mmT4_T5_P12ihipStream_tbEUlRKiE_EESO_SS_ST_mSU_SX_bEUlT_E_NS1_11comp_targetILNS1_3genE9ELNS1_11target_archE1100ELNS1_3gpuE3ELNS1_3repE0EEENS1_30default_config_static_selectorELNS0_4arch9wavefront6targetE1EEEvSR_
    .private_segment_fixed_size: 0
    .sgpr_count:     4
    .sgpr_spill_count: 0
    .symbol:         _ZN7rocprim17ROCPRIM_400000_NS6detail17trampoline_kernelINS0_14default_configENS1_27lower_bound_config_selectorIiN6thrust23THRUST_200600_302600_NS6detail10any_assignEEEZNS1_14transform_implILb0ES3_S9_NS7_15normal_iteratorINS6_10device_ptrIiEEEENS6_16discard_iteratorINS6_11use_defaultEEEZNS1_13binary_searchIS3_S9_SE_SE_SH_NS1_21lower_bound_search_opENS7_16wrapped_functionINS0_4lessIvEEbEEEE10hipError_tPvRmT1_T2_T3_mmT4_T5_P12ihipStream_tbEUlRKiE_EESO_SS_ST_mSU_SX_bEUlT_E_NS1_11comp_targetILNS1_3genE9ELNS1_11target_archE1100ELNS1_3gpuE3ELNS1_3repE0EEENS1_30default_config_static_selectorELNS0_4arch9wavefront6targetE1EEEvSR_.kd
    .uniform_work_group_size: 1
    .uses_dynamic_stack: false
    .vgpr_count:     0
    .vgpr_spill_count: 0
    .wavefront_size: 64
  - .agpr_count:     0
    .args:
      - .offset:         0
        .size:           64
        .value_kind:     by_value
    .group_segment_fixed_size: 0
    .kernarg_segment_align: 8
    .kernarg_segment_size: 64
    .language:       OpenCL C
    .language_version:
      - 2
      - 0
    .max_flat_workgroup_size: 256
    .name:           _ZN7rocprim17ROCPRIM_400000_NS6detail17trampoline_kernelINS0_14default_configENS1_27lower_bound_config_selectorIiN6thrust23THRUST_200600_302600_NS6detail10any_assignEEEZNS1_14transform_implILb0ES3_S9_NS7_15normal_iteratorINS6_10device_ptrIiEEEENS6_16discard_iteratorINS6_11use_defaultEEEZNS1_13binary_searchIS3_S9_SE_SE_SH_NS1_21lower_bound_search_opENS7_16wrapped_functionINS0_4lessIvEEbEEEE10hipError_tPvRmT1_T2_T3_mmT4_T5_P12ihipStream_tbEUlRKiE_EESO_SS_ST_mSU_SX_bEUlT_E_NS1_11comp_targetILNS1_3genE8ELNS1_11target_archE1030ELNS1_3gpuE2ELNS1_3repE0EEENS1_30default_config_static_selectorELNS0_4arch9wavefront6targetE1EEEvSR_
    .private_segment_fixed_size: 0
    .sgpr_count:     4
    .sgpr_spill_count: 0
    .symbol:         _ZN7rocprim17ROCPRIM_400000_NS6detail17trampoline_kernelINS0_14default_configENS1_27lower_bound_config_selectorIiN6thrust23THRUST_200600_302600_NS6detail10any_assignEEEZNS1_14transform_implILb0ES3_S9_NS7_15normal_iteratorINS6_10device_ptrIiEEEENS6_16discard_iteratorINS6_11use_defaultEEEZNS1_13binary_searchIS3_S9_SE_SE_SH_NS1_21lower_bound_search_opENS7_16wrapped_functionINS0_4lessIvEEbEEEE10hipError_tPvRmT1_T2_T3_mmT4_T5_P12ihipStream_tbEUlRKiE_EESO_SS_ST_mSU_SX_bEUlT_E_NS1_11comp_targetILNS1_3genE8ELNS1_11target_archE1030ELNS1_3gpuE2ELNS1_3repE0EEENS1_30default_config_static_selectorELNS0_4arch9wavefront6targetE1EEEvSR_.kd
    .uniform_work_group_size: 1
    .uses_dynamic_stack: false
    .vgpr_count:     0
    .vgpr_spill_count: 0
    .wavefront_size: 64
  - .agpr_count:     0
    .args:
      - .offset:         0
        .size:           64
        .value_kind:     by_value
    .group_segment_fixed_size: 0
    .kernarg_segment_align: 8
    .kernarg_segment_size: 64
    .language:       OpenCL C
    .language_version:
      - 2
      - 0
    .max_flat_workgroup_size: 256
    .name:           _ZN7rocprim17ROCPRIM_400000_NS6detail17trampoline_kernelINS0_14default_configENS1_27lower_bound_config_selectorIsN6thrust23THRUST_200600_302600_NS6detail10any_assignEEEZNS1_14transform_implILb0ES3_S9_NS7_15normal_iteratorINS6_10device_ptrIsEEEENS6_16discard_iteratorINS6_11use_defaultEEEZNS1_13binary_searchIS3_S9_SE_SE_SH_NS1_21lower_bound_search_opENS7_16wrapped_functionINS0_4lessIvEEbEEEE10hipError_tPvRmT1_T2_T3_mmT4_T5_P12ihipStream_tbEUlRKsE_EESO_SS_ST_mSU_SX_bEUlT_E_NS1_11comp_targetILNS1_3genE0ELNS1_11target_archE4294967295ELNS1_3gpuE0ELNS1_3repE0EEENS1_30default_config_static_selectorELNS0_4arch9wavefront6targetE1EEEvSR_
    .private_segment_fixed_size: 0
    .sgpr_count:     4
    .sgpr_spill_count: 0
    .symbol:         _ZN7rocprim17ROCPRIM_400000_NS6detail17trampoline_kernelINS0_14default_configENS1_27lower_bound_config_selectorIsN6thrust23THRUST_200600_302600_NS6detail10any_assignEEEZNS1_14transform_implILb0ES3_S9_NS7_15normal_iteratorINS6_10device_ptrIsEEEENS6_16discard_iteratorINS6_11use_defaultEEEZNS1_13binary_searchIS3_S9_SE_SE_SH_NS1_21lower_bound_search_opENS7_16wrapped_functionINS0_4lessIvEEbEEEE10hipError_tPvRmT1_T2_T3_mmT4_T5_P12ihipStream_tbEUlRKsE_EESO_SS_ST_mSU_SX_bEUlT_E_NS1_11comp_targetILNS1_3genE0ELNS1_11target_archE4294967295ELNS1_3gpuE0ELNS1_3repE0EEENS1_30default_config_static_selectorELNS0_4arch9wavefront6targetE1EEEvSR_.kd
    .uniform_work_group_size: 1
    .uses_dynamic_stack: false
    .vgpr_count:     0
    .vgpr_spill_count: 0
    .wavefront_size: 64
  - .agpr_count:     0
    .args:
      - .offset:         0
        .size:           64
        .value_kind:     by_value
    .group_segment_fixed_size: 0
    .kernarg_segment_align: 8
    .kernarg_segment_size: 64
    .language:       OpenCL C
    .language_version:
      - 2
      - 0
    .max_flat_workgroup_size: 256
    .name:           _ZN7rocprim17ROCPRIM_400000_NS6detail17trampoline_kernelINS0_14default_configENS1_27lower_bound_config_selectorIsN6thrust23THRUST_200600_302600_NS6detail10any_assignEEEZNS1_14transform_implILb0ES3_S9_NS7_15normal_iteratorINS6_10device_ptrIsEEEENS6_16discard_iteratorINS6_11use_defaultEEEZNS1_13binary_searchIS3_S9_SE_SE_SH_NS1_21lower_bound_search_opENS7_16wrapped_functionINS0_4lessIvEEbEEEE10hipError_tPvRmT1_T2_T3_mmT4_T5_P12ihipStream_tbEUlRKsE_EESO_SS_ST_mSU_SX_bEUlT_E_NS1_11comp_targetILNS1_3genE5ELNS1_11target_archE942ELNS1_3gpuE9ELNS1_3repE0EEENS1_30default_config_static_selectorELNS0_4arch9wavefront6targetE1EEEvSR_
    .private_segment_fixed_size: 0
    .sgpr_count:     4
    .sgpr_spill_count: 0
    .symbol:         _ZN7rocprim17ROCPRIM_400000_NS6detail17trampoline_kernelINS0_14default_configENS1_27lower_bound_config_selectorIsN6thrust23THRUST_200600_302600_NS6detail10any_assignEEEZNS1_14transform_implILb0ES3_S9_NS7_15normal_iteratorINS6_10device_ptrIsEEEENS6_16discard_iteratorINS6_11use_defaultEEEZNS1_13binary_searchIS3_S9_SE_SE_SH_NS1_21lower_bound_search_opENS7_16wrapped_functionINS0_4lessIvEEbEEEE10hipError_tPvRmT1_T2_T3_mmT4_T5_P12ihipStream_tbEUlRKsE_EESO_SS_ST_mSU_SX_bEUlT_E_NS1_11comp_targetILNS1_3genE5ELNS1_11target_archE942ELNS1_3gpuE9ELNS1_3repE0EEENS1_30default_config_static_selectorELNS0_4arch9wavefront6targetE1EEEvSR_.kd
    .uniform_work_group_size: 1
    .uses_dynamic_stack: false
    .vgpr_count:     0
    .vgpr_spill_count: 0
    .wavefront_size: 64
  - .agpr_count:     0
    .args:
      - .offset:         0
        .size:           64
        .value_kind:     by_value
    .group_segment_fixed_size: 0
    .kernarg_segment_align: 8
    .kernarg_segment_size: 64
    .language:       OpenCL C
    .language_version:
      - 2
      - 0
    .max_flat_workgroup_size: 256
    .name:           _ZN7rocprim17ROCPRIM_400000_NS6detail17trampoline_kernelINS0_14default_configENS1_27lower_bound_config_selectorIsN6thrust23THRUST_200600_302600_NS6detail10any_assignEEEZNS1_14transform_implILb0ES3_S9_NS7_15normal_iteratorINS6_10device_ptrIsEEEENS6_16discard_iteratorINS6_11use_defaultEEEZNS1_13binary_searchIS3_S9_SE_SE_SH_NS1_21lower_bound_search_opENS7_16wrapped_functionINS0_4lessIvEEbEEEE10hipError_tPvRmT1_T2_T3_mmT4_T5_P12ihipStream_tbEUlRKsE_EESO_SS_ST_mSU_SX_bEUlT_E_NS1_11comp_targetILNS1_3genE4ELNS1_11target_archE910ELNS1_3gpuE8ELNS1_3repE0EEENS1_30default_config_static_selectorELNS0_4arch9wavefront6targetE1EEEvSR_
    .private_segment_fixed_size: 0
    .sgpr_count:     4
    .sgpr_spill_count: 0
    .symbol:         _ZN7rocprim17ROCPRIM_400000_NS6detail17trampoline_kernelINS0_14default_configENS1_27lower_bound_config_selectorIsN6thrust23THRUST_200600_302600_NS6detail10any_assignEEEZNS1_14transform_implILb0ES3_S9_NS7_15normal_iteratorINS6_10device_ptrIsEEEENS6_16discard_iteratorINS6_11use_defaultEEEZNS1_13binary_searchIS3_S9_SE_SE_SH_NS1_21lower_bound_search_opENS7_16wrapped_functionINS0_4lessIvEEbEEEE10hipError_tPvRmT1_T2_T3_mmT4_T5_P12ihipStream_tbEUlRKsE_EESO_SS_ST_mSU_SX_bEUlT_E_NS1_11comp_targetILNS1_3genE4ELNS1_11target_archE910ELNS1_3gpuE8ELNS1_3repE0EEENS1_30default_config_static_selectorELNS0_4arch9wavefront6targetE1EEEvSR_.kd
    .uniform_work_group_size: 1
    .uses_dynamic_stack: false
    .vgpr_count:     0
    .vgpr_spill_count: 0
    .wavefront_size: 64
  - .agpr_count:     0
    .args:
      - .offset:         0
        .size:           64
        .value_kind:     by_value
    .group_segment_fixed_size: 0
    .kernarg_segment_align: 8
    .kernarg_segment_size: 64
    .language:       OpenCL C
    .language_version:
      - 2
      - 0
    .max_flat_workgroup_size: 256
    .name:           _ZN7rocprim17ROCPRIM_400000_NS6detail17trampoline_kernelINS0_14default_configENS1_27lower_bound_config_selectorIsN6thrust23THRUST_200600_302600_NS6detail10any_assignEEEZNS1_14transform_implILb0ES3_S9_NS7_15normal_iteratorINS6_10device_ptrIsEEEENS6_16discard_iteratorINS6_11use_defaultEEEZNS1_13binary_searchIS3_S9_SE_SE_SH_NS1_21lower_bound_search_opENS7_16wrapped_functionINS0_4lessIvEEbEEEE10hipError_tPvRmT1_T2_T3_mmT4_T5_P12ihipStream_tbEUlRKsE_EESO_SS_ST_mSU_SX_bEUlT_E_NS1_11comp_targetILNS1_3genE3ELNS1_11target_archE908ELNS1_3gpuE7ELNS1_3repE0EEENS1_30default_config_static_selectorELNS0_4arch9wavefront6targetE1EEEvSR_
    .private_segment_fixed_size: 0
    .sgpr_count:     4
    .sgpr_spill_count: 0
    .symbol:         _ZN7rocprim17ROCPRIM_400000_NS6detail17trampoline_kernelINS0_14default_configENS1_27lower_bound_config_selectorIsN6thrust23THRUST_200600_302600_NS6detail10any_assignEEEZNS1_14transform_implILb0ES3_S9_NS7_15normal_iteratorINS6_10device_ptrIsEEEENS6_16discard_iteratorINS6_11use_defaultEEEZNS1_13binary_searchIS3_S9_SE_SE_SH_NS1_21lower_bound_search_opENS7_16wrapped_functionINS0_4lessIvEEbEEEE10hipError_tPvRmT1_T2_T3_mmT4_T5_P12ihipStream_tbEUlRKsE_EESO_SS_ST_mSU_SX_bEUlT_E_NS1_11comp_targetILNS1_3genE3ELNS1_11target_archE908ELNS1_3gpuE7ELNS1_3repE0EEENS1_30default_config_static_selectorELNS0_4arch9wavefront6targetE1EEEvSR_.kd
    .uniform_work_group_size: 1
    .uses_dynamic_stack: false
    .vgpr_count:     0
    .vgpr_spill_count: 0
    .wavefront_size: 64
  - .agpr_count:     0
    .args:
      - .offset:         0
        .size:           64
        .value_kind:     by_value
    .group_segment_fixed_size: 0
    .kernarg_segment_align: 8
    .kernarg_segment_size: 64
    .language:       OpenCL C
    .language_version:
      - 2
      - 0
    .max_flat_workgroup_size: 256
    .name:           _ZN7rocprim17ROCPRIM_400000_NS6detail17trampoline_kernelINS0_14default_configENS1_27lower_bound_config_selectorIsN6thrust23THRUST_200600_302600_NS6detail10any_assignEEEZNS1_14transform_implILb0ES3_S9_NS7_15normal_iteratorINS6_10device_ptrIsEEEENS6_16discard_iteratorINS6_11use_defaultEEEZNS1_13binary_searchIS3_S9_SE_SE_SH_NS1_21lower_bound_search_opENS7_16wrapped_functionINS0_4lessIvEEbEEEE10hipError_tPvRmT1_T2_T3_mmT4_T5_P12ihipStream_tbEUlRKsE_EESO_SS_ST_mSU_SX_bEUlT_E_NS1_11comp_targetILNS1_3genE2ELNS1_11target_archE906ELNS1_3gpuE6ELNS1_3repE0EEENS1_30default_config_static_selectorELNS0_4arch9wavefront6targetE1EEEvSR_
    .private_segment_fixed_size: 0
    .sgpr_count:     4
    .sgpr_spill_count: 0
    .symbol:         _ZN7rocprim17ROCPRIM_400000_NS6detail17trampoline_kernelINS0_14default_configENS1_27lower_bound_config_selectorIsN6thrust23THRUST_200600_302600_NS6detail10any_assignEEEZNS1_14transform_implILb0ES3_S9_NS7_15normal_iteratorINS6_10device_ptrIsEEEENS6_16discard_iteratorINS6_11use_defaultEEEZNS1_13binary_searchIS3_S9_SE_SE_SH_NS1_21lower_bound_search_opENS7_16wrapped_functionINS0_4lessIvEEbEEEE10hipError_tPvRmT1_T2_T3_mmT4_T5_P12ihipStream_tbEUlRKsE_EESO_SS_ST_mSU_SX_bEUlT_E_NS1_11comp_targetILNS1_3genE2ELNS1_11target_archE906ELNS1_3gpuE6ELNS1_3repE0EEENS1_30default_config_static_selectorELNS0_4arch9wavefront6targetE1EEEvSR_.kd
    .uniform_work_group_size: 1
    .uses_dynamic_stack: false
    .vgpr_count:     0
    .vgpr_spill_count: 0
    .wavefront_size: 64
  - .agpr_count:     0
    .args:
      - .offset:         0
        .size:           64
        .value_kind:     by_value
    .group_segment_fixed_size: 0
    .kernarg_segment_align: 8
    .kernarg_segment_size: 64
    .language:       OpenCL C
    .language_version:
      - 2
      - 0
    .max_flat_workgroup_size: 256
    .name:           _ZN7rocprim17ROCPRIM_400000_NS6detail17trampoline_kernelINS0_14default_configENS1_27lower_bound_config_selectorIsN6thrust23THRUST_200600_302600_NS6detail10any_assignEEEZNS1_14transform_implILb0ES3_S9_NS7_15normal_iteratorINS6_10device_ptrIsEEEENS6_16discard_iteratorINS6_11use_defaultEEEZNS1_13binary_searchIS3_S9_SE_SE_SH_NS1_21lower_bound_search_opENS7_16wrapped_functionINS0_4lessIvEEbEEEE10hipError_tPvRmT1_T2_T3_mmT4_T5_P12ihipStream_tbEUlRKsE_EESO_SS_ST_mSU_SX_bEUlT_E_NS1_11comp_targetILNS1_3genE10ELNS1_11target_archE1201ELNS1_3gpuE5ELNS1_3repE0EEENS1_30default_config_static_selectorELNS0_4arch9wavefront6targetE1EEEvSR_
    .private_segment_fixed_size: 0
    .sgpr_count:     4
    .sgpr_spill_count: 0
    .symbol:         _ZN7rocprim17ROCPRIM_400000_NS6detail17trampoline_kernelINS0_14default_configENS1_27lower_bound_config_selectorIsN6thrust23THRUST_200600_302600_NS6detail10any_assignEEEZNS1_14transform_implILb0ES3_S9_NS7_15normal_iteratorINS6_10device_ptrIsEEEENS6_16discard_iteratorINS6_11use_defaultEEEZNS1_13binary_searchIS3_S9_SE_SE_SH_NS1_21lower_bound_search_opENS7_16wrapped_functionINS0_4lessIvEEbEEEE10hipError_tPvRmT1_T2_T3_mmT4_T5_P12ihipStream_tbEUlRKsE_EESO_SS_ST_mSU_SX_bEUlT_E_NS1_11comp_targetILNS1_3genE10ELNS1_11target_archE1201ELNS1_3gpuE5ELNS1_3repE0EEENS1_30default_config_static_selectorELNS0_4arch9wavefront6targetE1EEEvSR_.kd
    .uniform_work_group_size: 1
    .uses_dynamic_stack: false
    .vgpr_count:     0
    .vgpr_spill_count: 0
    .wavefront_size: 64
  - .agpr_count:     0
    .args:
      - .offset:         0
        .size:           64
        .value_kind:     by_value
    .group_segment_fixed_size: 0
    .kernarg_segment_align: 8
    .kernarg_segment_size: 64
    .language:       OpenCL C
    .language_version:
      - 2
      - 0
    .max_flat_workgroup_size: 256
    .name:           _ZN7rocprim17ROCPRIM_400000_NS6detail17trampoline_kernelINS0_14default_configENS1_27lower_bound_config_selectorIsN6thrust23THRUST_200600_302600_NS6detail10any_assignEEEZNS1_14transform_implILb0ES3_S9_NS7_15normal_iteratorINS6_10device_ptrIsEEEENS6_16discard_iteratorINS6_11use_defaultEEEZNS1_13binary_searchIS3_S9_SE_SE_SH_NS1_21lower_bound_search_opENS7_16wrapped_functionINS0_4lessIvEEbEEEE10hipError_tPvRmT1_T2_T3_mmT4_T5_P12ihipStream_tbEUlRKsE_EESO_SS_ST_mSU_SX_bEUlT_E_NS1_11comp_targetILNS1_3genE10ELNS1_11target_archE1200ELNS1_3gpuE4ELNS1_3repE0EEENS1_30default_config_static_selectorELNS0_4arch9wavefront6targetE1EEEvSR_
    .private_segment_fixed_size: 0
    .sgpr_count:     4
    .sgpr_spill_count: 0
    .symbol:         _ZN7rocprim17ROCPRIM_400000_NS6detail17trampoline_kernelINS0_14default_configENS1_27lower_bound_config_selectorIsN6thrust23THRUST_200600_302600_NS6detail10any_assignEEEZNS1_14transform_implILb0ES3_S9_NS7_15normal_iteratorINS6_10device_ptrIsEEEENS6_16discard_iteratorINS6_11use_defaultEEEZNS1_13binary_searchIS3_S9_SE_SE_SH_NS1_21lower_bound_search_opENS7_16wrapped_functionINS0_4lessIvEEbEEEE10hipError_tPvRmT1_T2_T3_mmT4_T5_P12ihipStream_tbEUlRKsE_EESO_SS_ST_mSU_SX_bEUlT_E_NS1_11comp_targetILNS1_3genE10ELNS1_11target_archE1200ELNS1_3gpuE4ELNS1_3repE0EEENS1_30default_config_static_selectorELNS0_4arch9wavefront6targetE1EEEvSR_.kd
    .uniform_work_group_size: 1
    .uses_dynamic_stack: false
    .vgpr_count:     0
    .vgpr_spill_count: 0
    .wavefront_size: 64
  - .agpr_count:     0
    .args:
      - .offset:         0
        .size:           64
        .value_kind:     by_value
    .group_segment_fixed_size: 0
    .kernarg_segment_align: 8
    .kernarg_segment_size: 64
    .language:       OpenCL C
    .language_version:
      - 2
      - 0
    .max_flat_workgroup_size: 64
    .name:           _ZN7rocprim17ROCPRIM_400000_NS6detail17trampoline_kernelINS0_14default_configENS1_27lower_bound_config_selectorIsN6thrust23THRUST_200600_302600_NS6detail10any_assignEEEZNS1_14transform_implILb0ES3_S9_NS7_15normal_iteratorINS6_10device_ptrIsEEEENS6_16discard_iteratorINS6_11use_defaultEEEZNS1_13binary_searchIS3_S9_SE_SE_SH_NS1_21lower_bound_search_opENS7_16wrapped_functionINS0_4lessIvEEbEEEE10hipError_tPvRmT1_T2_T3_mmT4_T5_P12ihipStream_tbEUlRKsE_EESO_SS_ST_mSU_SX_bEUlT_E_NS1_11comp_targetILNS1_3genE9ELNS1_11target_archE1100ELNS1_3gpuE3ELNS1_3repE0EEENS1_30default_config_static_selectorELNS0_4arch9wavefront6targetE1EEEvSR_
    .private_segment_fixed_size: 0
    .sgpr_count:     4
    .sgpr_spill_count: 0
    .symbol:         _ZN7rocprim17ROCPRIM_400000_NS6detail17trampoline_kernelINS0_14default_configENS1_27lower_bound_config_selectorIsN6thrust23THRUST_200600_302600_NS6detail10any_assignEEEZNS1_14transform_implILb0ES3_S9_NS7_15normal_iteratorINS6_10device_ptrIsEEEENS6_16discard_iteratorINS6_11use_defaultEEEZNS1_13binary_searchIS3_S9_SE_SE_SH_NS1_21lower_bound_search_opENS7_16wrapped_functionINS0_4lessIvEEbEEEE10hipError_tPvRmT1_T2_T3_mmT4_T5_P12ihipStream_tbEUlRKsE_EESO_SS_ST_mSU_SX_bEUlT_E_NS1_11comp_targetILNS1_3genE9ELNS1_11target_archE1100ELNS1_3gpuE3ELNS1_3repE0EEENS1_30default_config_static_selectorELNS0_4arch9wavefront6targetE1EEEvSR_.kd
    .uniform_work_group_size: 1
    .uses_dynamic_stack: false
    .vgpr_count:     0
    .vgpr_spill_count: 0
    .wavefront_size: 64
  - .agpr_count:     0
    .args:
      - .offset:         0
        .size:           64
        .value_kind:     by_value
    .group_segment_fixed_size: 0
    .kernarg_segment_align: 8
    .kernarg_segment_size: 64
    .language:       OpenCL C
    .language_version:
      - 2
      - 0
    .max_flat_workgroup_size: 128
    .name:           _ZN7rocprim17ROCPRIM_400000_NS6detail17trampoline_kernelINS0_14default_configENS1_27lower_bound_config_selectorIsN6thrust23THRUST_200600_302600_NS6detail10any_assignEEEZNS1_14transform_implILb0ES3_S9_NS7_15normal_iteratorINS6_10device_ptrIsEEEENS6_16discard_iteratorINS6_11use_defaultEEEZNS1_13binary_searchIS3_S9_SE_SE_SH_NS1_21lower_bound_search_opENS7_16wrapped_functionINS0_4lessIvEEbEEEE10hipError_tPvRmT1_T2_T3_mmT4_T5_P12ihipStream_tbEUlRKsE_EESO_SS_ST_mSU_SX_bEUlT_E_NS1_11comp_targetILNS1_3genE8ELNS1_11target_archE1030ELNS1_3gpuE2ELNS1_3repE0EEENS1_30default_config_static_selectorELNS0_4arch9wavefront6targetE1EEEvSR_
    .private_segment_fixed_size: 0
    .sgpr_count:     4
    .sgpr_spill_count: 0
    .symbol:         _ZN7rocprim17ROCPRIM_400000_NS6detail17trampoline_kernelINS0_14default_configENS1_27lower_bound_config_selectorIsN6thrust23THRUST_200600_302600_NS6detail10any_assignEEEZNS1_14transform_implILb0ES3_S9_NS7_15normal_iteratorINS6_10device_ptrIsEEEENS6_16discard_iteratorINS6_11use_defaultEEEZNS1_13binary_searchIS3_S9_SE_SE_SH_NS1_21lower_bound_search_opENS7_16wrapped_functionINS0_4lessIvEEbEEEE10hipError_tPvRmT1_T2_T3_mmT4_T5_P12ihipStream_tbEUlRKsE_EESO_SS_ST_mSU_SX_bEUlT_E_NS1_11comp_targetILNS1_3genE8ELNS1_11target_archE1030ELNS1_3gpuE2ELNS1_3repE0EEENS1_30default_config_static_selectorELNS0_4arch9wavefront6targetE1EEEvSR_.kd
    .uniform_work_group_size: 1
    .uses_dynamic_stack: false
    .vgpr_count:     0
    .vgpr_spill_count: 0
    .wavefront_size: 64
  - .agpr_count:     0
    .args:
      - .offset:         0
        .size:           64
        .value_kind:     by_value
    .group_segment_fixed_size: 0
    .kernarg_segment_align: 8
    .kernarg_segment_size: 64
    .language:       OpenCL C
    .language_version:
      - 2
      - 0
    .max_flat_workgroup_size: 256
    .name:           _ZN7rocprim17ROCPRIM_400000_NS6detail17trampoline_kernelINS0_14default_configENS1_27upper_bound_config_selectorIxN6thrust23THRUST_200600_302600_NS6detail10any_assignEEEZNS1_14transform_implILb0ES3_S9_NS7_15normal_iteratorINS6_10device_ptrIxEEEENS6_16discard_iteratorINS6_11use_defaultEEEZNS1_13binary_searchIS3_S9_SE_SE_SH_NS1_21upper_bound_search_opENS7_16wrapped_functionINS0_4lessIvEEbEEEE10hipError_tPvRmT1_T2_T3_mmT4_T5_P12ihipStream_tbEUlRKxE_EESO_SS_ST_mSU_SX_bEUlT_E_NS1_11comp_targetILNS1_3genE0ELNS1_11target_archE4294967295ELNS1_3gpuE0ELNS1_3repE0EEENS1_30default_config_static_selectorELNS0_4arch9wavefront6targetE1EEEvSR_
    .private_segment_fixed_size: 0
    .sgpr_count:     4
    .sgpr_spill_count: 0
    .symbol:         _ZN7rocprim17ROCPRIM_400000_NS6detail17trampoline_kernelINS0_14default_configENS1_27upper_bound_config_selectorIxN6thrust23THRUST_200600_302600_NS6detail10any_assignEEEZNS1_14transform_implILb0ES3_S9_NS7_15normal_iteratorINS6_10device_ptrIxEEEENS6_16discard_iteratorINS6_11use_defaultEEEZNS1_13binary_searchIS3_S9_SE_SE_SH_NS1_21upper_bound_search_opENS7_16wrapped_functionINS0_4lessIvEEbEEEE10hipError_tPvRmT1_T2_T3_mmT4_T5_P12ihipStream_tbEUlRKxE_EESO_SS_ST_mSU_SX_bEUlT_E_NS1_11comp_targetILNS1_3genE0ELNS1_11target_archE4294967295ELNS1_3gpuE0ELNS1_3repE0EEENS1_30default_config_static_selectorELNS0_4arch9wavefront6targetE1EEEvSR_.kd
    .uniform_work_group_size: 1
    .uses_dynamic_stack: false
    .vgpr_count:     0
    .vgpr_spill_count: 0
    .wavefront_size: 64
  - .agpr_count:     0
    .args:
      - .offset:         0
        .size:           64
        .value_kind:     by_value
    .group_segment_fixed_size: 0
    .kernarg_segment_align: 8
    .kernarg_segment_size: 64
    .language:       OpenCL C
    .language_version:
      - 2
      - 0
    .max_flat_workgroup_size: 64
    .name:           _ZN7rocprim17ROCPRIM_400000_NS6detail17trampoline_kernelINS0_14default_configENS1_27upper_bound_config_selectorIxN6thrust23THRUST_200600_302600_NS6detail10any_assignEEEZNS1_14transform_implILb0ES3_S9_NS7_15normal_iteratorINS6_10device_ptrIxEEEENS6_16discard_iteratorINS6_11use_defaultEEEZNS1_13binary_searchIS3_S9_SE_SE_SH_NS1_21upper_bound_search_opENS7_16wrapped_functionINS0_4lessIvEEbEEEE10hipError_tPvRmT1_T2_T3_mmT4_T5_P12ihipStream_tbEUlRKxE_EESO_SS_ST_mSU_SX_bEUlT_E_NS1_11comp_targetILNS1_3genE5ELNS1_11target_archE942ELNS1_3gpuE9ELNS1_3repE0EEENS1_30default_config_static_selectorELNS0_4arch9wavefront6targetE1EEEvSR_
    .private_segment_fixed_size: 0
    .sgpr_count:     4
    .sgpr_spill_count: 0
    .symbol:         _ZN7rocprim17ROCPRIM_400000_NS6detail17trampoline_kernelINS0_14default_configENS1_27upper_bound_config_selectorIxN6thrust23THRUST_200600_302600_NS6detail10any_assignEEEZNS1_14transform_implILb0ES3_S9_NS7_15normal_iteratorINS6_10device_ptrIxEEEENS6_16discard_iteratorINS6_11use_defaultEEEZNS1_13binary_searchIS3_S9_SE_SE_SH_NS1_21upper_bound_search_opENS7_16wrapped_functionINS0_4lessIvEEbEEEE10hipError_tPvRmT1_T2_T3_mmT4_T5_P12ihipStream_tbEUlRKxE_EESO_SS_ST_mSU_SX_bEUlT_E_NS1_11comp_targetILNS1_3genE5ELNS1_11target_archE942ELNS1_3gpuE9ELNS1_3repE0EEENS1_30default_config_static_selectorELNS0_4arch9wavefront6targetE1EEEvSR_.kd
    .uniform_work_group_size: 1
    .uses_dynamic_stack: false
    .vgpr_count:     0
    .vgpr_spill_count: 0
    .wavefront_size: 64
  - .agpr_count:     0
    .args:
      - .offset:         0
        .size:           64
        .value_kind:     by_value
    .group_segment_fixed_size: 0
    .kernarg_segment_align: 8
    .kernarg_segment_size: 64
    .language:       OpenCL C
    .language_version:
      - 2
      - 0
    .max_flat_workgroup_size: 64
    .name:           _ZN7rocprim17ROCPRIM_400000_NS6detail17trampoline_kernelINS0_14default_configENS1_27upper_bound_config_selectorIxN6thrust23THRUST_200600_302600_NS6detail10any_assignEEEZNS1_14transform_implILb0ES3_S9_NS7_15normal_iteratorINS6_10device_ptrIxEEEENS6_16discard_iteratorINS6_11use_defaultEEEZNS1_13binary_searchIS3_S9_SE_SE_SH_NS1_21upper_bound_search_opENS7_16wrapped_functionINS0_4lessIvEEbEEEE10hipError_tPvRmT1_T2_T3_mmT4_T5_P12ihipStream_tbEUlRKxE_EESO_SS_ST_mSU_SX_bEUlT_E_NS1_11comp_targetILNS1_3genE4ELNS1_11target_archE910ELNS1_3gpuE8ELNS1_3repE0EEENS1_30default_config_static_selectorELNS0_4arch9wavefront6targetE1EEEvSR_
    .private_segment_fixed_size: 0
    .sgpr_count:     4
    .sgpr_spill_count: 0
    .symbol:         _ZN7rocprim17ROCPRIM_400000_NS6detail17trampoline_kernelINS0_14default_configENS1_27upper_bound_config_selectorIxN6thrust23THRUST_200600_302600_NS6detail10any_assignEEEZNS1_14transform_implILb0ES3_S9_NS7_15normal_iteratorINS6_10device_ptrIxEEEENS6_16discard_iteratorINS6_11use_defaultEEEZNS1_13binary_searchIS3_S9_SE_SE_SH_NS1_21upper_bound_search_opENS7_16wrapped_functionINS0_4lessIvEEbEEEE10hipError_tPvRmT1_T2_T3_mmT4_T5_P12ihipStream_tbEUlRKxE_EESO_SS_ST_mSU_SX_bEUlT_E_NS1_11comp_targetILNS1_3genE4ELNS1_11target_archE910ELNS1_3gpuE8ELNS1_3repE0EEENS1_30default_config_static_selectorELNS0_4arch9wavefront6targetE1EEEvSR_.kd
    .uniform_work_group_size: 1
    .uses_dynamic_stack: false
    .vgpr_count:     0
    .vgpr_spill_count: 0
    .wavefront_size: 64
  - .agpr_count:     0
    .args:
      - .offset:         0
        .size:           64
        .value_kind:     by_value
    .group_segment_fixed_size: 0
    .kernarg_segment_align: 8
    .kernarg_segment_size: 64
    .language:       OpenCL C
    .language_version:
      - 2
      - 0
    .max_flat_workgroup_size: 256
    .name:           _ZN7rocprim17ROCPRIM_400000_NS6detail17trampoline_kernelINS0_14default_configENS1_27upper_bound_config_selectorIxN6thrust23THRUST_200600_302600_NS6detail10any_assignEEEZNS1_14transform_implILb0ES3_S9_NS7_15normal_iteratorINS6_10device_ptrIxEEEENS6_16discard_iteratorINS6_11use_defaultEEEZNS1_13binary_searchIS3_S9_SE_SE_SH_NS1_21upper_bound_search_opENS7_16wrapped_functionINS0_4lessIvEEbEEEE10hipError_tPvRmT1_T2_T3_mmT4_T5_P12ihipStream_tbEUlRKxE_EESO_SS_ST_mSU_SX_bEUlT_E_NS1_11comp_targetILNS1_3genE3ELNS1_11target_archE908ELNS1_3gpuE7ELNS1_3repE0EEENS1_30default_config_static_selectorELNS0_4arch9wavefront6targetE1EEEvSR_
    .private_segment_fixed_size: 0
    .sgpr_count:     4
    .sgpr_spill_count: 0
    .symbol:         _ZN7rocprim17ROCPRIM_400000_NS6detail17trampoline_kernelINS0_14default_configENS1_27upper_bound_config_selectorIxN6thrust23THRUST_200600_302600_NS6detail10any_assignEEEZNS1_14transform_implILb0ES3_S9_NS7_15normal_iteratorINS6_10device_ptrIxEEEENS6_16discard_iteratorINS6_11use_defaultEEEZNS1_13binary_searchIS3_S9_SE_SE_SH_NS1_21upper_bound_search_opENS7_16wrapped_functionINS0_4lessIvEEbEEEE10hipError_tPvRmT1_T2_T3_mmT4_T5_P12ihipStream_tbEUlRKxE_EESO_SS_ST_mSU_SX_bEUlT_E_NS1_11comp_targetILNS1_3genE3ELNS1_11target_archE908ELNS1_3gpuE7ELNS1_3repE0EEENS1_30default_config_static_selectorELNS0_4arch9wavefront6targetE1EEEvSR_.kd
    .uniform_work_group_size: 1
    .uses_dynamic_stack: false
    .vgpr_count:     0
    .vgpr_spill_count: 0
    .wavefront_size: 64
  - .agpr_count:     0
    .args:
      - .offset:         0
        .size:           64
        .value_kind:     by_value
    .group_segment_fixed_size: 0
    .kernarg_segment_align: 8
    .kernarg_segment_size: 64
    .language:       OpenCL C
    .language_version:
      - 2
      - 0
    .max_flat_workgroup_size: 256
    .name:           _ZN7rocprim17ROCPRIM_400000_NS6detail17trampoline_kernelINS0_14default_configENS1_27upper_bound_config_selectorIxN6thrust23THRUST_200600_302600_NS6detail10any_assignEEEZNS1_14transform_implILb0ES3_S9_NS7_15normal_iteratorINS6_10device_ptrIxEEEENS6_16discard_iteratorINS6_11use_defaultEEEZNS1_13binary_searchIS3_S9_SE_SE_SH_NS1_21upper_bound_search_opENS7_16wrapped_functionINS0_4lessIvEEbEEEE10hipError_tPvRmT1_T2_T3_mmT4_T5_P12ihipStream_tbEUlRKxE_EESO_SS_ST_mSU_SX_bEUlT_E_NS1_11comp_targetILNS1_3genE2ELNS1_11target_archE906ELNS1_3gpuE6ELNS1_3repE0EEENS1_30default_config_static_selectorELNS0_4arch9wavefront6targetE1EEEvSR_
    .private_segment_fixed_size: 0
    .sgpr_count:     4
    .sgpr_spill_count: 0
    .symbol:         _ZN7rocprim17ROCPRIM_400000_NS6detail17trampoline_kernelINS0_14default_configENS1_27upper_bound_config_selectorIxN6thrust23THRUST_200600_302600_NS6detail10any_assignEEEZNS1_14transform_implILb0ES3_S9_NS7_15normal_iteratorINS6_10device_ptrIxEEEENS6_16discard_iteratorINS6_11use_defaultEEEZNS1_13binary_searchIS3_S9_SE_SE_SH_NS1_21upper_bound_search_opENS7_16wrapped_functionINS0_4lessIvEEbEEEE10hipError_tPvRmT1_T2_T3_mmT4_T5_P12ihipStream_tbEUlRKxE_EESO_SS_ST_mSU_SX_bEUlT_E_NS1_11comp_targetILNS1_3genE2ELNS1_11target_archE906ELNS1_3gpuE6ELNS1_3repE0EEENS1_30default_config_static_selectorELNS0_4arch9wavefront6targetE1EEEvSR_.kd
    .uniform_work_group_size: 1
    .uses_dynamic_stack: false
    .vgpr_count:     0
    .vgpr_spill_count: 0
    .wavefront_size: 64
  - .agpr_count:     0
    .args:
      - .offset:         0
        .size:           64
        .value_kind:     by_value
    .group_segment_fixed_size: 0
    .kernarg_segment_align: 8
    .kernarg_segment_size: 64
    .language:       OpenCL C
    .language_version:
      - 2
      - 0
    .max_flat_workgroup_size: 128
    .name:           _ZN7rocprim17ROCPRIM_400000_NS6detail17trampoline_kernelINS0_14default_configENS1_27upper_bound_config_selectorIxN6thrust23THRUST_200600_302600_NS6detail10any_assignEEEZNS1_14transform_implILb0ES3_S9_NS7_15normal_iteratorINS6_10device_ptrIxEEEENS6_16discard_iteratorINS6_11use_defaultEEEZNS1_13binary_searchIS3_S9_SE_SE_SH_NS1_21upper_bound_search_opENS7_16wrapped_functionINS0_4lessIvEEbEEEE10hipError_tPvRmT1_T2_T3_mmT4_T5_P12ihipStream_tbEUlRKxE_EESO_SS_ST_mSU_SX_bEUlT_E_NS1_11comp_targetILNS1_3genE10ELNS1_11target_archE1201ELNS1_3gpuE5ELNS1_3repE0EEENS1_30default_config_static_selectorELNS0_4arch9wavefront6targetE1EEEvSR_
    .private_segment_fixed_size: 0
    .sgpr_count:     4
    .sgpr_spill_count: 0
    .symbol:         _ZN7rocprim17ROCPRIM_400000_NS6detail17trampoline_kernelINS0_14default_configENS1_27upper_bound_config_selectorIxN6thrust23THRUST_200600_302600_NS6detail10any_assignEEEZNS1_14transform_implILb0ES3_S9_NS7_15normal_iteratorINS6_10device_ptrIxEEEENS6_16discard_iteratorINS6_11use_defaultEEEZNS1_13binary_searchIS3_S9_SE_SE_SH_NS1_21upper_bound_search_opENS7_16wrapped_functionINS0_4lessIvEEbEEEE10hipError_tPvRmT1_T2_T3_mmT4_T5_P12ihipStream_tbEUlRKxE_EESO_SS_ST_mSU_SX_bEUlT_E_NS1_11comp_targetILNS1_3genE10ELNS1_11target_archE1201ELNS1_3gpuE5ELNS1_3repE0EEENS1_30default_config_static_selectorELNS0_4arch9wavefront6targetE1EEEvSR_.kd
    .uniform_work_group_size: 1
    .uses_dynamic_stack: false
    .vgpr_count:     0
    .vgpr_spill_count: 0
    .wavefront_size: 64
  - .agpr_count:     0
    .args:
      - .offset:         0
        .size:           64
        .value_kind:     by_value
    .group_segment_fixed_size: 0
    .kernarg_segment_align: 8
    .kernarg_segment_size: 64
    .language:       OpenCL C
    .language_version:
      - 2
      - 0
    .max_flat_workgroup_size: 128
    .name:           _ZN7rocprim17ROCPRIM_400000_NS6detail17trampoline_kernelINS0_14default_configENS1_27upper_bound_config_selectorIxN6thrust23THRUST_200600_302600_NS6detail10any_assignEEEZNS1_14transform_implILb0ES3_S9_NS7_15normal_iteratorINS6_10device_ptrIxEEEENS6_16discard_iteratorINS6_11use_defaultEEEZNS1_13binary_searchIS3_S9_SE_SE_SH_NS1_21upper_bound_search_opENS7_16wrapped_functionINS0_4lessIvEEbEEEE10hipError_tPvRmT1_T2_T3_mmT4_T5_P12ihipStream_tbEUlRKxE_EESO_SS_ST_mSU_SX_bEUlT_E_NS1_11comp_targetILNS1_3genE10ELNS1_11target_archE1200ELNS1_3gpuE4ELNS1_3repE0EEENS1_30default_config_static_selectorELNS0_4arch9wavefront6targetE1EEEvSR_
    .private_segment_fixed_size: 0
    .sgpr_count:     4
    .sgpr_spill_count: 0
    .symbol:         _ZN7rocprim17ROCPRIM_400000_NS6detail17trampoline_kernelINS0_14default_configENS1_27upper_bound_config_selectorIxN6thrust23THRUST_200600_302600_NS6detail10any_assignEEEZNS1_14transform_implILb0ES3_S9_NS7_15normal_iteratorINS6_10device_ptrIxEEEENS6_16discard_iteratorINS6_11use_defaultEEEZNS1_13binary_searchIS3_S9_SE_SE_SH_NS1_21upper_bound_search_opENS7_16wrapped_functionINS0_4lessIvEEbEEEE10hipError_tPvRmT1_T2_T3_mmT4_T5_P12ihipStream_tbEUlRKxE_EESO_SS_ST_mSU_SX_bEUlT_E_NS1_11comp_targetILNS1_3genE10ELNS1_11target_archE1200ELNS1_3gpuE4ELNS1_3repE0EEENS1_30default_config_static_selectorELNS0_4arch9wavefront6targetE1EEEvSR_.kd
    .uniform_work_group_size: 1
    .uses_dynamic_stack: false
    .vgpr_count:     0
    .vgpr_spill_count: 0
    .wavefront_size: 64
  - .agpr_count:     0
    .args:
      - .offset:         0
        .size:           64
        .value_kind:     by_value
    .group_segment_fixed_size: 0
    .kernarg_segment_align: 8
    .kernarg_segment_size: 64
    .language:       OpenCL C
    .language_version:
      - 2
      - 0
    .max_flat_workgroup_size: 64
    .name:           _ZN7rocprim17ROCPRIM_400000_NS6detail17trampoline_kernelINS0_14default_configENS1_27upper_bound_config_selectorIxN6thrust23THRUST_200600_302600_NS6detail10any_assignEEEZNS1_14transform_implILb0ES3_S9_NS7_15normal_iteratorINS6_10device_ptrIxEEEENS6_16discard_iteratorINS6_11use_defaultEEEZNS1_13binary_searchIS3_S9_SE_SE_SH_NS1_21upper_bound_search_opENS7_16wrapped_functionINS0_4lessIvEEbEEEE10hipError_tPvRmT1_T2_T3_mmT4_T5_P12ihipStream_tbEUlRKxE_EESO_SS_ST_mSU_SX_bEUlT_E_NS1_11comp_targetILNS1_3genE9ELNS1_11target_archE1100ELNS1_3gpuE3ELNS1_3repE0EEENS1_30default_config_static_selectorELNS0_4arch9wavefront6targetE1EEEvSR_
    .private_segment_fixed_size: 0
    .sgpr_count:     4
    .sgpr_spill_count: 0
    .symbol:         _ZN7rocprim17ROCPRIM_400000_NS6detail17trampoline_kernelINS0_14default_configENS1_27upper_bound_config_selectorIxN6thrust23THRUST_200600_302600_NS6detail10any_assignEEEZNS1_14transform_implILb0ES3_S9_NS7_15normal_iteratorINS6_10device_ptrIxEEEENS6_16discard_iteratorINS6_11use_defaultEEEZNS1_13binary_searchIS3_S9_SE_SE_SH_NS1_21upper_bound_search_opENS7_16wrapped_functionINS0_4lessIvEEbEEEE10hipError_tPvRmT1_T2_T3_mmT4_T5_P12ihipStream_tbEUlRKxE_EESO_SS_ST_mSU_SX_bEUlT_E_NS1_11comp_targetILNS1_3genE9ELNS1_11target_archE1100ELNS1_3gpuE3ELNS1_3repE0EEENS1_30default_config_static_selectorELNS0_4arch9wavefront6targetE1EEEvSR_.kd
    .uniform_work_group_size: 1
    .uses_dynamic_stack: false
    .vgpr_count:     0
    .vgpr_spill_count: 0
    .wavefront_size: 64
  - .agpr_count:     0
    .args:
      - .offset:         0
        .size:           64
        .value_kind:     by_value
    .group_segment_fixed_size: 0
    .kernarg_segment_align: 8
    .kernarg_segment_size: 64
    .language:       OpenCL C
    .language_version:
      - 2
      - 0
    .max_flat_workgroup_size: 256
    .name:           _ZN7rocprim17ROCPRIM_400000_NS6detail17trampoline_kernelINS0_14default_configENS1_27upper_bound_config_selectorIxN6thrust23THRUST_200600_302600_NS6detail10any_assignEEEZNS1_14transform_implILb0ES3_S9_NS7_15normal_iteratorINS6_10device_ptrIxEEEENS6_16discard_iteratorINS6_11use_defaultEEEZNS1_13binary_searchIS3_S9_SE_SE_SH_NS1_21upper_bound_search_opENS7_16wrapped_functionINS0_4lessIvEEbEEEE10hipError_tPvRmT1_T2_T3_mmT4_T5_P12ihipStream_tbEUlRKxE_EESO_SS_ST_mSU_SX_bEUlT_E_NS1_11comp_targetILNS1_3genE8ELNS1_11target_archE1030ELNS1_3gpuE2ELNS1_3repE0EEENS1_30default_config_static_selectorELNS0_4arch9wavefront6targetE1EEEvSR_
    .private_segment_fixed_size: 0
    .sgpr_count:     4
    .sgpr_spill_count: 0
    .symbol:         _ZN7rocprim17ROCPRIM_400000_NS6detail17trampoline_kernelINS0_14default_configENS1_27upper_bound_config_selectorIxN6thrust23THRUST_200600_302600_NS6detail10any_assignEEEZNS1_14transform_implILb0ES3_S9_NS7_15normal_iteratorINS6_10device_ptrIxEEEENS6_16discard_iteratorINS6_11use_defaultEEEZNS1_13binary_searchIS3_S9_SE_SE_SH_NS1_21upper_bound_search_opENS7_16wrapped_functionINS0_4lessIvEEbEEEE10hipError_tPvRmT1_T2_T3_mmT4_T5_P12ihipStream_tbEUlRKxE_EESO_SS_ST_mSU_SX_bEUlT_E_NS1_11comp_targetILNS1_3genE8ELNS1_11target_archE1030ELNS1_3gpuE2ELNS1_3repE0EEENS1_30default_config_static_selectorELNS0_4arch9wavefront6targetE1EEEvSR_.kd
    .uniform_work_group_size: 1
    .uses_dynamic_stack: false
    .vgpr_count:     0
    .vgpr_spill_count: 0
    .wavefront_size: 64
  - .agpr_count:     0
    .args:
      - .offset:         0
        .size:           64
        .value_kind:     by_value
    .group_segment_fixed_size: 0
    .kernarg_segment_align: 8
    .kernarg_segment_size: 64
    .language:       OpenCL C
    .language_version:
      - 2
      - 0
    .max_flat_workgroup_size: 128
    .name:           _ZN7rocprim17ROCPRIM_400000_NS6detail17trampoline_kernelINS0_14default_configENS1_27upper_bound_config_selectorIiN6thrust23THRUST_200600_302600_NS6detail10any_assignEEEZNS1_14transform_implILb0ES3_S9_NS7_15normal_iteratorINS6_10device_ptrIiEEEENS6_16discard_iteratorINS6_11use_defaultEEEZNS1_13binary_searchIS3_S9_SE_SE_SH_NS1_21upper_bound_search_opENS7_16wrapped_functionINS0_4lessIvEEbEEEE10hipError_tPvRmT1_T2_T3_mmT4_T5_P12ihipStream_tbEUlRKiE_EESO_SS_ST_mSU_SX_bEUlT_E_NS1_11comp_targetILNS1_3genE0ELNS1_11target_archE4294967295ELNS1_3gpuE0ELNS1_3repE0EEENS1_30default_config_static_selectorELNS0_4arch9wavefront6targetE1EEEvSR_
    .private_segment_fixed_size: 0
    .sgpr_count:     4
    .sgpr_spill_count: 0
    .symbol:         _ZN7rocprim17ROCPRIM_400000_NS6detail17trampoline_kernelINS0_14default_configENS1_27upper_bound_config_selectorIiN6thrust23THRUST_200600_302600_NS6detail10any_assignEEEZNS1_14transform_implILb0ES3_S9_NS7_15normal_iteratorINS6_10device_ptrIiEEEENS6_16discard_iteratorINS6_11use_defaultEEEZNS1_13binary_searchIS3_S9_SE_SE_SH_NS1_21upper_bound_search_opENS7_16wrapped_functionINS0_4lessIvEEbEEEE10hipError_tPvRmT1_T2_T3_mmT4_T5_P12ihipStream_tbEUlRKiE_EESO_SS_ST_mSU_SX_bEUlT_E_NS1_11comp_targetILNS1_3genE0ELNS1_11target_archE4294967295ELNS1_3gpuE0ELNS1_3repE0EEENS1_30default_config_static_selectorELNS0_4arch9wavefront6targetE1EEEvSR_.kd
    .uniform_work_group_size: 1
    .uses_dynamic_stack: false
    .vgpr_count:     0
    .vgpr_spill_count: 0
    .wavefront_size: 64
  - .agpr_count:     0
    .args:
      - .offset:         0
        .size:           64
        .value_kind:     by_value
    .group_segment_fixed_size: 0
    .kernarg_segment_align: 8
    .kernarg_segment_size: 64
    .language:       OpenCL C
    .language_version:
      - 2
      - 0
    .max_flat_workgroup_size: 256
    .name:           _ZN7rocprim17ROCPRIM_400000_NS6detail17trampoline_kernelINS0_14default_configENS1_27upper_bound_config_selectorIiN6thrust23THRUST_200600_302600_NS6detail10any_assignEEEZNS1_14transform_implILb0ES3_S9_NS7_15normal_iteratorINS6_10device_ptrIiEEEENS6_16discard_iteratorINS6_11use_defaultEEEZNS1_13binary_searchIS3_S9_SE_SE_SH_NS1_21upper_bound_search_opENS7_16wrapped_functionINS0_4lessIvEEbEEEE10hipError_tPvRmT1_T2_T3_mmT4_T5_P12ihipStream_tbEUlRKiE_EESO_SS_ST_mSU_SX_bEUlT_E_NS1_11comp_targetILNS1_3genE5ELNS1_11target_archE942ELNS1_3gpuE9ELNS1_3repE0EEENS1_30default_config_static_selectorELNS0_4arch9wavefront6targetE1EEEvSR_
    .private_segment_fixed_size: 0
    .sgpr_count:     4
    .sgpr_spill_count: 0
    .symbol:         _ZN7rocprim17ROCPRIM_400000_NS6detail17trampoline_kernelINS0_14default_configENS1_27upper_bound_config_selectorIiN6thrust23THRUST_200600_302600_NS6detail10any_assignEEEZNS1_14transform_implILb0ES3_S9_NS7_15normal_iteratorINS6_10device_ptrIiEEEENS6_16discard_iteratorINS6_11use_defaultEEEZNS1_13binary_searchIS3_S9_SE_SE_SH_NS1_21upper_bound_search_opENS7_16wrapped_functionINS0_4lessIvEEbEEEE10hipError_tPvRmT1_T2_T3_mmT4_T5_P12ihipStream_tbEUlRKiE_EESO_SS_ST_mSU_SX_bEUlT_E_NS1_11comp_targetILNS1_3genE5ELNS1_11target_archE942ELNS1_3gpuE9ELNS1_3repE0EEENS1_30default_config_static_selectorELNS0_4arch9wavefront6targetE1EEEvSR_.kd
    .uniform_work_group_size: 1
    .uses_dynamic_stack: false
    .vgpr_count:     0
    .vgpr_spill_count: 0
    .wavefront_size: 64
  - .agpr_count:     0
    .args:
      - .offset:         0
        .size:           64
        .value_kind:     by_value
    .group_segment_fixed_size: 0
    .kernarg_segment_align: 8
    .kernarg_segment_size: 64
    .language:       OpenCL C
    .language_version:
      - 2
      - 0
    .max_flat_workgroup_size: 256
    .name:           _ZN7rocprim17ROCPRIM_400000_NS6detail17trampoline_kernelINS0_14default_configENS1_27upper_bound_config_selectorIiN6thrust23THRUST_200600_302600_NS6detail10any_assignEEEZNS1_14transform_implILb0ES3_S9_NS7_15normal_iteratorINS6_10device_ptrIiEEEENS6_16discard_iteratorINS6_11use_defaultEEEZNS1_13binary_searchIS3_S9_SE_SE_SH_NS1_21upper_bound_search_opENS7_16wrapped_functionINS0_4lessIvEEbEEEE10hipError_tPvRmT1_T2_T3_mmT4_T5_P12ihipStream_tbEUlRKiE_EESO_SS_ST_mSU_SX_bEUlT_E_NS1_11comp_targetILNS1_3genE4ELNS1_11target_archE910ELNS1_3gpuE8ELNS1_3repE0EEENS1_30default_config_static_selectorELNS0_4arch9wavefront6targetE1EEEvSR_
    .private_segment_fixed_size: 0
    .sgpr_count:     4
    .sgpr_spill_count: 0
    .symbol:         _ZN7rocprim17ROCPRIM_400000_NS6detail17trampoline_kernelINS0_14default_configENS1_27upper_bound_config_selectorIiN6thrust23THRUST_200600_302600_NS6detail10any_assignEEEZNS1_14transform_implILb0ES3_S9_NS7_15normal_iteratorINS6_10device_ptrIiEEEENS6_16discard_iteratorINS6_11use_defaultEEEZNS1_13binary_searchIS3_S9_SE_SE_SH_NS1_21upper_bound_search_opENS7_16wrapped_functionINS0_4lessIvEEbEEEE10hipError_tPvRmT1_T2_T3_mmT4_T5_P12ihipStream_tbEUlRKiE_EESO_SS_ST_mSU_SX_bEUlT_E_NS1_11comp_targetILNS1_3genE4ELNS1_11target_archE910ELNS1_3gpuE8ELNS1_3repE0EEENS1_30default_config_static_selectorELNS0_4arch9wavefront6targetE1EEEvSR_.kd
    .uniform_work_group_size: 1
    .uses_dynamic_stack: false
    .vgpr_count:     0
    .vgpr_spill_count: 0
    .wavefront_size: 64
  - .agpr_count:     0
    .args:
      - .offset:         0
        .size:           64
        .value_kind:     by_value
    .group_segment_fixed_size: 0
    .kernarg_segment_align: 8
    .kernarg_segment_size: 64
    .language:       OpenCL C
    .language_version:
      - 2
      - 0
    .max_flat_workgroup_size: 128
    .name:           _ZN7rocprim17ROCPRIM_400000_NS6detail17trampoline_kernelINS0_14default_configENS1_27upper_bound_config_selectorIiN6thrust23THRUST_200600_302600_NS6detail10any_assignEEEZNS1_14transform_implILb0ES3_S9_NS7_15normal_iteratorINS6_10device_ptrIiEEEENS6_16discard_iteratorINS6_11use_defaultEEEZNS1_13binary_searchIS3_S9_SE_SE_SH_NS1_21upper_bound_search_opENS7_16wrapped_functionINS0_4lessIvEEbEEEE10hipError_tPvRmT1_T2_T3_mmT4_T5_P12ihipStream_tbEUlRKiE_EESO_SS_ST_mSU_SX_bEUlT_E_NS1_11comp_targetILNS1_3genE3ELNS1_11target_archE908ELNS1_3gpuE7ELNS1_3repE0EEENS1_30default_config_static_selectorELNS0_4arch9wavefront6targetE1EEEvSR_
    .private_segment_fixed_size: 0
    .sgpr_count:     4
    .sgpr_spill_count: 0
    .symbol:         _ZN7rocprim17ROCPRIM_400000_NS6detail17trampoline_kernelINS0_14default_configENS1_27upper_bound_config_selectorIiN6thrust23THRUST_200600_302600_NS6detail10any_assignEEEZNS1_14transform_implILb0ES3_S9_NS7_15normal_iteratorINS6_10device_ptrIiEEEENS6_16discard_iteratorINS6_11use_defaultEEEZNS1_13binary_searchIS3_S9_SE_SE_SH_NS1_21upper_bound_search_opENS7_16wrapped_functionINS0_4lessIvEEbEEEE10hipError_tPvRmT1_T2_T3_mmT4_T5_P12ihipStream_tbEUlRKiE_EESO_SS_ST_mSU_SX_bEUlT_E_NS1_11comp_targetILNS1_3genE3ELNS1_11target_archE908ELNS1_3gpuE7ELNS1_3repE0EEENS1_30default_config_static_selectorELNS0_4arch9wavefront6targetE1EEEvSR_.kd
    .uniform_work_group_size: 1
    .uses_dynamic_stack: false
    .vgpr_count:     0
    .vgpr_spill_count: 0
    .wavefront_size: 64
  - .agpr_count:     0
    .args:
      - .offset:         0
        .size:           64
        .value_kind:     by_value
    .group_segment_fixed_size: 0
    .kernarg_segment_align: 8
    .kernarg_segment_size: 64
    .language:       OpenCL C
    .language_version:
      - 2
      - 0
    .max_flat_workgroup_size: 256
    .name:           _ZN7rocprim17ROCPRIM_400000_NS6detail17trampoline_kernelINS0_14default_configENS1_27upper_bound_config_selectorIiN6thrust23THRUST_200600_302600_NS6detail10any_assignEEEZNS1_14transform_implILb0ES3_S9_NS7_15normal_iteratorINS6_10device_ptrIiEEEENS6_16discard_iteratorINS6_11use_defaultEEEZNS1_13binary_searchIS3_S9_SE_SE_SH_NS1_21upper_bound_search_opENS7_16wrapped_functionINS0_4lessIvEEbEEEE10hipError_tPvRmT1_T2_T3_mmT4_T5_P12ihipStream_tbEUlRKiE_EESO_SS_ST_mSU_SX_bEUlT_E_NS1_11comp_targetILNS1_3genE2ELNS1_11target_archE906ELNS1_3gpuE6ELNS1_3repE0EEENS1_30default_config_static_selectorELNS0_4arch9wavefront6targetE1EEEvSR_
    .private_segment_fixed_size: 0
    .sgpr_count:     4
    .sgpr_spill_count: 0
    .symbol:         _ZN7rocprim17ROCPRIM_400000_NS6detail17trampoline_kernelINS0_14default_configENS1_27upper_bound_config_selectorIiN6thrust23THRUST_200600_302600_NS6detail10any_assignEEEZNS1_14transform_implILb0ES3_S9_NS7_15normal_iteratorINS6_10device_ptrIiEEEENS6_16discard_iteratorINS6_11use_defaultEEEZNS1_13binary_searchIS3_S9_SE_SE_SH_NS1_21upper_bound_search_opENS7_16wrapped_functionINS0_4lessIvEEbEEEE10hipError_tPvRmT1_T2_T3_mmT4_T5_P12ihipStream_tbEUlRKiE_EESO_SS_ST_mSU_SX_bEUlT_E_NS1_11comp_targetILNS1_3genE2ELNS1_11target_archE906ELNS1_3gpuE6ELNS1_3repE0EEENS1_30default_config_static_selectorELNS0_4arch9wavefront6targetE1EEEvSR_.kd
    .uniform_work_group_size: 1
    .uses_dynamic_stack: false
    .vgpr_count:     0
    .vgpr_spill_count: 0
    .wavefront_size: 64
  - .agpr_count:     0
    .args:
      - .offset:         0
        .size:           64
        .value_kind:     by_value
    .group_segment_fixed_size: 0
    .kernarg_segment_align: 8
    .kernarg_segment_size: 64
    .language:       OpenCL C
    .language_version:
      - 2
      - 0
    .max_flat_workgroup_size: 128
    .name:           _ZN7rocprim17ROCPRIM_400000_NS6detail17trampoline_kernelINS0_14default_configENS1_27upper_bound_config_selectorIiN6thrust23THRUST_200600_302600_NS6detail10any_assignEEEZNS1_14transform_implILb0ES3_S9_NS7_15normal_iteratorINS6_10device_ptrIiEEEENS6_16discard_iteratorINS6_11use_defaultEEEZNS1_13binary_searchIS3_S9_SE_SE_SH_NS1_21upper_bound_search_opENS7_16wrapped_functionINS0_4lessIvEEbEEEE10hipError_tPvRmT1_T2_T3_mmT4_T5_P12ihipStream_tbEUlRKiE_EESO_SS_ST_mSU_SX_bEUlT_E_NS1_11comp_targetILNS1_3genE10ELNS1_11target_archE1201ELNS1_3gpuE5ELNS1_3repE0EEENS1_30default_config_static_selectorELNS0_4arch9wavefront6targetE1EEEvSR_
    .private_segment_fixed_size: 0
    .sgpr_count:     4
    .sgpr_spill_count: 0
    .symbol:         _ZN7rocprim17ROCPRIM_400000_NS6detail17trampoline_kernelINS0_14default_configENS1_27upper_bound_config_selectorIiN6thrust23THRUST_200600_302600_NS6detail10any_assignEEEZNS1_14transform_implILb0ES3_S9_NS7_15normal_iteratorINS6_10device_ptrIiEEEENS6_16discard_iteratorINS6_11use_defaultEEEZNS1_13binary_searchIS3_S9_SE_SE_SH_NS1_21upper_bound_search_opENS7_16wrapped_functionINS0_4lessIvEEbEEEE10hipError_tPvRmT1_T2_T3_mmT4_T5_P12ihipStream_tbEUlRKiE_EESO_SS_ST_mSU_SX_bEUlT_E_NS1_11comp_targetILNS1_3genE10ELNS1_11target_archE1201ELNS1_3gpuE5ELNS1_3repE0EEENS1_30default_config_static_selectorELNS0_4arch9wavefront6targetE1EEEvSR_.kd
    .uniform_work_group_size: 1
    .uses_dynamic_stack: false
    .vgpr_count:     0
    .vgpr_spill_count: 0
    .wavefront_size: 64
  - .agpr_count:     0
    .args:
      - .offset:         0
        .size:           64
        .value_kind:     by_value
    .group_segment_fixed_size: 0
    .kernarg_segment_align: 8
    .kernarg_segment_size: 64
    .language:       OpenCL C
    .language_version:
      - 2
      - 0
    .max_flat_workgroup_size: 128
    .name:           _ZN7rocprim17ROCPRIM_400000_NS6detail17trampoline_kernelINS0_14default_configENS1_27upper_bound_config_selectorIiN6thrust23THRUST_200600_302600_NS6detail10any_assignEEEZNS1_14transform_implILb0ES3_S9_NS7_15normal_iteratorINS6_10device_ptrIiEEEENS6_16discard_iteratorINS6_11use_defaultEEEZNS1_13binary_searchIS3_S9_SE_SE_SH_NS1_21upper_bound_search_opENS7_16wrapped_functionINS0_4lessIvEEbEEEE10hipError_tPvRmT1_T2_T3_mmT4_T5_P12ihipStream_tbEUlRKiE_EESO_SS_ST_mSU_SX_bEUlT_E_NS1_11comp_targetILNS1_3genE10ELNS1_11target_archE1200ELNS1_3gpuE4ELNS1_3repE0EEENS1_30default_config_static_selectorELNS0_4arch9wavefront6targetE1EEEvSR_
    .private_segment_fixed_size: 0
    .sgpr_count:     4
    .sgpr_spill_count: 0
    .symbol:         _ZN7rocprim17ROCPRIM_400000_NS6detail17trampoline_kernelINS0_14default_configENS1_27upper_bound_config_selectorIiN6thrust23THRUST_200600_302600_NS6detail10any_assignEEEZNS1_14transform_implILb0ES3_S9_NS7_15normal_iteratorINS6_10device_ptrIiEEEENS6_16discard_iteratorINS6_11use_defaultEEEZNS1_13binary_searchIS3_S9_SE_SE_SH_NS1_21upper_bound_search_opENS7_16wrapped_functionINS0_4lessIvEEbEEEE10hipError_tPvRmT1_T2_T3_mmT4_T5_P12ihipStream_tbEUlRKiE_EESO_SS_ST_mSU_SX_bEUlT_E_NS1_11comp_targetILNS1_3genE10ELNS1_11target_archE1200ELNS1_3gpuE4ELNS1_3repE0EEENS1_30default_config_static_selectorELNS0_4arch9wavefront6targetE1EEEvSR_.kd
    .uniform_work_group_size: 1
    .uses_dynamic_stack: false
    .vgpr_count:     0
    .vgpr_spill_count: 0
    .wavefront_size: 64
  - .agpr_count:     0
    .args:
      - .offset:         0
        .size:           64
        .value_kind:     by_value
    .group_segment_fixed_size: 0
    .kernarg_segment_align: 8
    .kernarg_segment_size: 64
    .language:       OpenCL C
    .language_version:
      - 2
      - 0
    .max_flat_workgroup_size: 256
    .name:           _ZN7rocprim17ROCPRIM_400000_NS6detail17trampoline_kernelINS0_14default_configENS1_27upper_bound_config_selectorIiN6thrust23THRUST_200600_302600_NS6detail10any_assignEEEZNS1_14transform_implILb0ES3_S9_NS7_15normal_iteratorINS6_10device_ptrIiEEEENS6_16discard_iteratorINS6_11use_defaultEEEZNS1_13binary_searchIS3_S9_SE_SE_SH_NS1_21upper_bound_search_opENS7_16wrapped_functionINS0_4lessIvEEbEEEE10hipError_tPvRmT1_T2_T3_mmT4_T5_P12ihipStream_tbEUlRKiE_EESO_SS_ST_mSU_SX_bEUlT_E_NS1_11comp_targetILNS1_3genE9ELNS1_11target_archE1100ELNS1_3gpuE3ELNS1_3repE0EEENS1_30default_config_static_selectorELNS0_4arch9wavefront6targetE1EEEvSR_
    .private_segment_fixed_size: 0
    .sgpr_count:     4
    .sgpr_spill_count: 0
    .symbol:         _ZN7rocprim17ROCPRIM_400000_NS6detail17trampoline_kernelINS0_14default_configENS1_27upper_bound_config_selectorIiN6thrust23THRUST_200600_302600_NS6detail10any_assignEEEZNS1_14transform_implILb0ES3_S9_NS7_15normal_iteratorINS6_10device_ptrIiEEEENS6_16discard_iteratorINS6_11use_defaultEEEZNS1_13binary_searchIS3_S9_SE_SE_SH_NS1_21upper_bound_search_opENS7_16wrapped_functionINS0_4lessIvEEbEEEE10hipError_tPvRmT1_T2_T3_mmT4_T5_P12ihipStream_tbEUlRKiE_EESO_SS_ST_mSU_SX_bEUlT_E_NS1_11comp_targetILNS1_3genE9ELNS1_11target_archE1100ELNS1_3gpuE3ELNS1_3repE0EEENS1_30default_config_static_selectorELNS0_4arch9wavefront6targetE1EEEvSR_.kd
    .uniform_work_group_size: 1
    .uses_dynamic_stack: false
    .vgpr_count:     0
    .vgpr_spill_count: 0
    .wavefront_size: 64
  - .agpr_count:     0
    .args:
      - .offset:         0
        .size:           64
        .value_kind:     by_value
    .group_segment_fixed_size: 0
    .kernarg_segment_align: 8
    .kernarg_segment_size: 64
    .language:       OpenCL C
    .language_version:
      - 2
      - 0
    .max_flat_workgroup_size: 256
    .name:           _ZN7rocprim17ROCPRIM_400000_NS6detail17trampoline_kernelINS0_14default_configENS1_27upper_bound_config_selectorIiN6thrust23THRUST_200600_302600_NS6detail10any_assignEEEZNS1_14transform_implILb0ES3_S9_NS7_15normal_iteratorINS6_10device_ptrIiEEEENS6_16discard_iteratorINS6_11use_defaultEEEZNS1_13binary_searchIS3_S9_SE_SE_SH_NS1_21upper_bound_search_opENS7_16wrapped_functionINS0_4lessIvEEbEEEE10hipError_tPvRmT1_T2_T3_mmT4_T5_P12ihipStream_tbEUlRKiE_EESO_SS_ST_mSU_SX_bEUlT_E_NS1_11comp_targetILNS1_3genE8ELNS1_11target_archE1030ELNS1_3gpuE2ELNS1_3repE0EEENS1_30default_config_static_selectorELNS0_4arch9wavefront6targetE1EEEvSR_
    .private_segment_fixed_size: 0
    .sgpr_count:     4
    .sgpr_spill_count: 0
    .symbol:         _ZN7rocprim17ROCPRIM_400000_NS6detail17trampoline_kernelINS0_14default_configENS1_27upper_bound_config_selectorIiN6thrust23THRUST_200600_302600_NS6detail10any_assignEEEZNS1_14transform_implILb0ES3_S9_NS7_15normal_iteratorINS6_10device_ptrIiEEEENS6_16discard_iteratorINS6_11use_defaultEEEZNS1_13binary_searchIS3_S9_SE_SE_SH_NS1_21upper_bound_search_opENS7_16wrapped_functionINS0_4lessIvEEbEEEE10hipError_tPvRmT1_T2_T3_mmT4_T5_P12ihipStream_tbEUlRKiE_EESO_SS_ST_mSU_SX_bEUlT_E_NS1_11comp_targetILNS1_3genE8ELNS1_11target_archE1030ELNS1_3gpuE2ELNS1_3repE0EEENS1_30default_config_static_selectorELNS0_4arch9wavefront6targetE1EEEvSR_.kd
    .uniform_work_group_size: 1
    .uses_dynamic_stack: false
    .vgpr_count:     0
    .vgpr_spill_count: 0
    .wavefront_size: 64
  - .agpr_count:     0
    .args:
      - .offset:         0
        .size:           64
        .value_kind:     by_value
    .group_segment_fixed_size: 0
    .kernarg_segment_align: 8
    .kernarg_segment_size: 64
    .language:       OpenCL C
    .language_version:
      - 2
      - 0
    .max_flat_workgroup_size: 64
    .name:           _ZN7rocprim17ROCPRIM_400000_NS6detail17trampoline_kernelINS0_14default_configENS1_27upper_bound_config_selectorIsN6thrust23THRUST_200600_302600_NS6detail10any_assignEEEZNS1_14transform_implILb0ES3_S9_NS7_15normal_iteratorINS6_10device_ptrIsEEEENS6_16discard_iteratorINS6_11use_defaultEEEZNS1_13binary_searchIS3_S9_SE_SE_SH_NS1_21upper_bound_search_opENS7_16wrapped_functionINS0_4lessIvEEbEEEE10hipError_tPvRmT1_T2_T3_mmT4_T5_P12ihipStream_tbEUlRKsE_EESO_SS_ST_mSU_SX_bEUlT_E_NS1_11comp_targetILNS1_3genE0ELNS1_11target_archE4294967295ELNS1_3gpuE0ELNS1_3repE0EEENS1_30default_config_static_selectorELNS0_4arch9wavefront6targetE1EEEvSR_
    .private_segment_fixed_size: 0
    .sgpr_count:     4
    .sgpr_spill_count: 0
    .symbol:         _ZN7rocprim17ROCPRIM_400000_NS6detail17trampoline_kernelINS0_14default_configENS1_27upper_bound_config_selectorIsN6thrust23THRUST_200600_302600_NS6detail10any_assignEEEZNS1_14transform_implILb0ES3_S9_NS7_15normal_iteratorINS6_10device_ptrIsEEEENS6_16discard_iteratorINS6_11use_defaultEEEZNS1_13binary_searchIS3_S9_SE_SE_SH_NS1_21upper_bound_search_opENS7_16wrapped_functionINS0_4lessIvEEbEEEE10hipError_tPvRmT1_T2_T3_mmT4_T5_P12ihipStream_tbEUlRKsE_EESO_SS_ST_mSU_SX_bEUlT_E_NS1_11comp_targetILNS1_3genE0ELNS1_11target_archE4294967295ELNS1_3gpuE0ELNS1_3repE0EEENS1_30default_config_static_selectorELNS0_4arch9wavefront6targetE1EEEvSR_.kd
    .uniform_work_group_size: 1
    .uses_dynamic_stack: false
    .vgpr_count:     0
    .vgpr_spill_count: 0
    .wavefront_size: 64
  - .agpr_count:     0
    .args:
      - .offset:         0
        .size:           64
        .value_kind:     by_value
    .group_segment_fixed_size: 0
    .kernarg_segment_align: 8
    .kernarg_segment_size: 64
    .language:       OpenCL C
    .language_version:
      - 2
      - 0
    .max_flat_workgroup_size: 256
    .name:           _ZN7rocprim17ROCPRIM_400000_NS6detail17trampoline_kernelINS0_14default_configENS1_27upper_bound_config_selectorIsN6thrust23THRUST_200600_302600_NS6detail10any_assignEEEZNS1_14transform_implILb0ES3_S9_NS7_15normal_iteratorINS6_10device_ptrIsEEEENS6_16discard_iteratorINS6_11use_defaultEEEZNS1_13binary_searchIS3_S9_SE_SE_SH_NS1_21upper_bound_search_opENS7_16wrapped_functionINS0_4lessIvEEbEEEE10hipError_tPvRmT1_T2_T3_mmT4_T5_P12ihipStream_tbEUlRKsE_EESO_SS_ST_mSU_SX_bEUlT_E_NS1_11comp_targetILNS1_3genE5ELNS1_11target_archE942ELNS1_3gpuE9ELNS1_3repE0EEENS1_30default_config_static_selectorELNS0_4arch9wavefront6targetE1EEEvSR_
    .private_segment_fixed_size: 0
    .sgpr_count:     4
    .sgpr_spill_count: 0
    .symbol:         _ZN7rocprim17ROCPRIM_400000_NS6detail17trampoline_kernelINS0_14default_configENS1_27upper_bound_config_selectorIsN6thrust23THRUST_200600_302600_NS6detail10any_assignEEEZNS1_14transform_implILb0ES3_S9_NS7_15normal_iteratorINS6_10device_ptrIsEEEENS6_16discard_iteratorINS6_11use_defaultEEEZNS1_13binary_searchIS3_S9_SE_SE_SH_NS1_21upper_bound_search_opENS7_16wrapped_functionINS0_4lessIvEEbEEEE10hipError_tPvRmT1_T2_T3_mmT4_T5_P12ihipStream_tbEUlRKsE_EESO_SS_ST_mSU_SX_bEUlT_E_NS1_11comp_targetILNS1_3genE5ELNS1_11target_archE942ELNS1_3gpuE9ELNS1_3repE0EEENS1_30default_config_static_selectorELNS0_4arch9wavefront6targetE1EEEvSR_.kd
    .uniform_work_group_size: 1
    .uses_dynamic_stack: false
    .vgpr_count:     0
    .vgpr_spill_count: 0
    .wavefront_size: 64
  - .agpr_count:     0
    .args:
      - .offset:         0
        .size:           64
        .value_kind:     by_value
    .group_segment_fixed_size: 0
    .kernarg_segment_align: 8
    .kernarg_segment_size: 64
    .language:       OpenCL C
    .language_version:
      - 2
      - 0
    .max_flat_workgroup_size: 256
    .name:           _ZN7rocprim17ROCPRIM_400000_NS6detail17trampoline_kernelINS0_14default_configENS1_27upper_bound_config_selectorIsN6thrust23THRUST_200600_302600_NS6detail10any_assignEEEZNS1_14transform_implILb0ES3_S9_NS7_15normal_iteratorINS6_10device_ptrIsEEEENS6_16discard_iteratorINS6_11use_defaultEEEZNS1_13binary_searchIS3_S9_SE_SE_SH_NS1_21upper_bound_search_opENS7_16wrapped_functionINS0_4lessIvEEbEEEE10hipError_tPvRmT1_T2_T3_mmT4_T5_P12ihipStream_tbEUlRKsE_EESO_SS_ST_mSU_SX_bEUlT_E_NS1_11comp_targetILNS1_3genE4ELNS1_11target_archE910ELNS1_3gpuE8ELNS1_3repE0EEENS1_30default_config_static_selectorELNS0_4arch9wavefront6targetE1EEEvSR_
    .private_segment_fixed_size: 0
    .sgpr_count:     4
    .sgpr_spill_count: 0
    .symbol:         _ZN7rocprim17ROCPRIM_400000_NS6detail17trampoline_kernelINS0_14default_configENS1_27upper_bound_config_selectorIsN6thrust23THRUST_200600_302600_NS6detail10any_assignEEEZNS1_14transform_implILb0ES3_S9_NS7_15normal_iteratorINS6_10device_ptrIsEEEENS6_16discard_iteratorINS6_11use_defaultEEEZNS1_13binary_searchIS3_S9_SE_SE_SH_NS1_21upper_bound_search_opENS7_16wrapped_functionINS0_4lessIvEEbEEEE10hipError_tPvRmT1_T2_T3_mmT4_T5_P12ihipStream_tbEUlRKsE_EESO_SS_ST_mSU_SX_bEUlT_E_NS1_11comp_targetILNS1_3genE4ELNS1_11target_archE910ELNS1_3gpuE8ELNS1_3repE0EEENS1_30default_config_static_selectorELNS0_4arch9wavefront6targetE1EEEvSR_.kd
    .uniform_work_group_size: 1
    .uses_dynamic_stack: false
    .vgpr_count:     0
    .vgpr_spill_count: 0
    .wavefront_size: 64
  - .agpr_count:     0
    .args:
      - .offset:         0
        .size:           64
        .value_kind:     by_value
    .group_segment_fixed_size: 0
    .kernarg_segment_align: 8
    .kernarg_segment_size: 64
    .language:       OpenCL C
    .language_version:
      - 2
      - 0
    .max_flat_workgroup_size: 64
    .name:           _ZN7rocprim17ROCPRIM_400000_NS6detail17trampoline_kernelINS0_14default_configENS1_27upper_bound_config_selectorIsN6thrust23THRUST_200600_302600_NS6detail10any_assignEEEZNS1_14transform_implILb0ES3_S9_NS7_15normal_iteratorINS6_10device_ptrIsEEEENS6_16discard_iteratorINS6_11use_defaultEEEZNS1_13binary_searchIS3_S9_SE_SE_SH_NS1_21upper_bound_search_opENS7_16wrapped_functionINS0_4lessIvEEbEEEE10hipError_tPvRmT1_T2_T3_mmT4_T5_P12ihipStream_tbEUlRKsE_EESO_SS_ST_mSU_SX_bEUlT_E_NS1_11comp_targetILNS1_3genE3ELNS1_11target_archE908ELNS1_3gpuE7ELNS1_3repE0EEENS1_30default_config_static_selectorELNS0_4arch9wavefront6targetE1EEEvSR_
    .private_segment_fixed_size: 0
    .sgpr_count:     4
    .sgpr_spill_count: 0
    .symbol:         _ZN7rocprim17ROCPRIM_400000_NS6detail17trampoline_kernelINS0_14default_configENS1_27upper_bound_config_selectorIsN6thrust23THRUST_200600_302600_NS6detail10any_assignEEEZNS1_14transform_implILb0ES3_S9_NS7_15normal_iteratorINS6_10device_ptrIsEEEENS6_16discard_iteratorINS6_11use_defaultEEEZNS1_13binary_searchIS3_S9_SE_SE_SH_NS1_21upper_bound_search_opENS7_16wrapped_functionINS0_4lessIvEEbEEEE10hipError_tPvRmT1_T2_T3_mmT4_T5_P12ihipStream_tbEUlRKsE_EESO_SS_ST_mSU_SX_bEUlT_E_NS1_11comp_targetILNS1_3genE3ELNS1_11target_archE908ELNS1_3gpuE7ELNS1_3repE0EEENS1_30default_config_static_selectorELNS0_4arch9wavefront6targetE1EEEvSR_.kd
    .uniform_work_group_size: 1
    .uses_dynamic_stack: false
    .vgpr_count:     0
    .vgpr_spill_count: 0
    .wavefront_size: 64
  - .agpr_count:     0
    .args:
      - .offset:         0
        .size:           64
        .value_kind:     by_value
    .group_segment_fixed_size: 0
    .kernarg_segment_align: 8
    .kernarg_segment_size: 64
    .language:       OpenCL C
    .language_version:
      - 2
      - 0
    .max_flat_workgroup_size: 256
    .name:           _ZN7rocprim17ROCPRIM_400000_NS6detail17trampoline_kernelINS0_14default_configENS1_27upper_bound_config_selectorIsN6thrust23THRUST_200600_302600_NS6detail10any_assignEEEZNS1_14transform_implILb0ES3_S9_NS7_15normal_iteratorINS6_10device_ptrIsEEEENS6_16discard_iteratorINS6_11use_defaultEEEZNS1_13binary_searchIS3_S9_SE_SE_SH_NS1_21upper_bound_search_opENS7_16wrapped_functionINS0_4lessIvEEbEEEE10hipError_tPvRmT1_T2_T3_mmT4_T5_P12ihipStream_tbEUlRKsE_EESO_SS_ST_mSU_SX_bEUlT_E_NS1_11comp_targetILNS1_3genE2ELNS1_11target_archE906ELNS1_3gpuE6ELNS1_3repE0EEENS1_30default_config_static_selectorELNS0_4arch9wavefront6targetE1EEEvSR_
    .private_segment_fixed_size: 0
    .sgpr_count:     4
    .sgpr_spill_count: 0
    .symbol:         _ZN7rocprim17ROCPRIM_400000_NS6detail17trampoline_kernelINS0_14default_configENS1_27upper_bound_config_selectorIsN6thrust23THRUST_200600_302600_NS6detail10any_assignEEEZNS1_14transform_implILb0ES3_S9_NS7_15normal_iteratorINS6_10device_ptrIsEEEENS6_16discard_iteratorINS6_11use_defaultEEEZNS1_13binary_searchIS3_S9_SE_SE_SH_NS1_21upper_bound_search_opENS7_16wrapped_functionINS0_4lessIvEEbEEEE10hipError_tPvRmT1_T2_T3_mmT4_T5_P12ihipStream_tbEUlRKsE_EESO_SS_ST_mSU_SX_bEUlT_E_NS1_11comp_targetILNS1_3genE2ELNS1_11target_archE906ELNS1_3gpuE6ELNS1_3repE0EEENS1_30default_config_static_selectorELNS0_4arch9wavefront6targetE1EEEvSR_.kd
    .uniform_work_group_size: 1
    .uses_dynamic_stack: false
    .vgpr_count:     0
    .vgpr_spill_count: 0
    .wavefront_size: 64
  - .agpr_count:     0
    .args:
      - .offset:         0
        .size:           64
        .value_kind:     by_value
    .group_segment_fixed_size: 0
    .kernarg_segment_align: 8
    .kernarg_segment_size: 64
    .language:       OpenCL C
    .language_version:
      - 2
      - 0
    .max_flat_workgroup_size: 256
    .name:           _ZN7rocprim17ROCPRIM_400000_NS6detail17trampoline_kernelINS0_14default_configENS1_27upper_bound_config_selectorIsN6thrust23THRUST_200600_302600_NS6detail10any_assignEEEZNS1_14transform_implILb0ES3_S9_NS7_15normal_iteratorINS6_10device_ptrIsEEEENS6_16discard_iteratorINS6_11use_defaultEEEZNS1_13binary_searchIS3_S9_SE_SE_SH_NS1_21upper_bound_search_opENS7_16wrapped_functionINS0_4lessIvEEbEEEE10hipError_tPvRmT1_T2_T3_mmT4_T5_P12ihipStream_tbEUlRKsE_EESO_SS_ST_mSU_SX_bEUlT_E_NS1_11comp_targetILNS1_3genE10ELNS1_11target_archE1201ELNS1_3gpuE5ELNS1_3repE0EEENS1_30default_config_static_selectorELNS0_4arch9wavefront6targetE1EEEvSR_
    .private_segment_fixed_size: 0
    .sgpr_count:     4
    .sgpr_spill_count: 0
    .symbol:         _ZN7rocprim17ROCPRIM_400000_NS6detail17trampoline_kernelINS0_14default_configENS1_27upper_bound_config_selectorIsN6thrust23THRUST_200600_302600_NS6detail10any_assignEEEZNS1_14transform_implILb0ES3_S9_NS7_15normal_iteratorINS6_10device_ptrIsEEEENS6_16discard_iteratorINS6_11use_defaultEEEZNS1_13binary_searchIS3_S9_SE_SE_SH_NS1_21upper_bound_search_opENS7_16wrapped_functionINS0_4lessIvEEbEEEE10hipError_tPvRmT1_T2_T3_mmT4_T5_P12ihipStream_tbEUlRKsE_EESO_SS_ST_mSU_SX_bEUlT_E_NS1_11comp_targetILNS1_3genE10ELNS1_11target_archE1201ELNS1_3gpuE5ELNS1_3repE0EEENS1_30default_config_static_selectorELNS0_4arch9wavefront6targetE1EEEvSR_.kd
    .uniform_work_group_size: 1
    .uses_dynamic_stack: false
    .vgpr_count:     0
    .vgpr_spill_count: 0
    .wavefront_size: 64
  - .agpr_count:     0
    .args:
      - .offset:         0
        .size:           64
        .value_kind:     by_value
    .group_segment_fixed_size: 0
    .kernarg_segment_align: 8
    .kernarg_segment_size: 64
    .language:       OpenCL C
    .language_version:
      - 2
      - 0
    .max_flat_workgroup_size: 256
    .name:           _ZN7rocprim17ROCPRIM_400000_NS6detail17trampoline_kernelINS0_14default_configENS1_27upper_bound_config_selectorIsN6thrust23THRUST_200600_302600_NS6detail10any_assignEEEZNS1_14transform_implILb0ES3_S9_NS7_15normal_iteratorINS6_10device_ptrIsEEEENS6_16discard_iteratorINS6_11use_defaultEEEZNS1_13binary_searchIS3_S9_SE_SE_SH_NS1_21upper_bound_search_opENS7_16wrapped_functionINS0_4lessIvEEbEEEE10hipError_tPvRmT1_T2_T3_mmT4_T5_P12ihipStream_tbEUlRKsE_EESO_SS_ST_mSU_SX_bEUlT_E_NS1_11comp_targetILNS1_3genE10ELNS1_11target_archE1200ELNS1_3gpuE4ELNS1_3repE0EEENS1_30default_config_static_selectorELNS0_4arch9wavefront6targetE1EEEvSR_
    .private_segment_fixed_size: 0
    .sgpr_count:     4
    .sgpr_spill_count: 0
    .symbol:         _ZN7rocprim17ROCPRIM_400000_NS6detail17trampoline_kernelINS0_14default_configENS1_27upper_bound_config_selectorIsN6thrust23THRUST_200600_302600_NS6detail10any_assignEEEZNS1_14transform_implILb0ES3_S9_NS7_15normal_iteratorINS6_10device_ptrIsEEEENS6_16discard_iteratorINS6_11use_defaultEEEZNS1_13binary_searchIS3_S9_SE_SE_SH_NS1_21upper_bound_search_opENS7_16wrapped_functionINS0_4lessIvEEbEEEE10hipError_tPvRmT1_T2_T3_mmT4_T5_P12ihipStream_tbEUlRKsE_EESO_SS_ST_mSU_SX_bEUlT_E_NS1_11comp_targetILNS1_3genE10ELNS1_11target_archE1200ELNS1_3gpuE4ELNS1_3repE0EEENS1_30default_config_static_selectorELNS0_4arch9wavefront6targetE1EEEvSR_.kd
    .uniform_work_group_size: 1
    .uses_dynamic_stack: false
    .vgpr_count:     0
    .vgpr_spill_count: 0
    .wavefront_size: 64
  - .agpr_count:     0
    .args:
      - .offset:         0
        .size:           64
        .value_kind:     by_value
    .group_segment_fixed_size: 0
    .kernarg_segment_align: 8
    .kernarg_segment_size: 64
    .language:       OpenCL C
    .language_version:
      - 2
      - 0
    .max_flat_workgroup_size: 64
    .name:           _ZN7rocprim17ROCPRIM_400000_NS6detail17trampoline_kernelINS0_14default_configENS1_27upper_bound_config_selectorIsN6thrust23THRUST_200600_302600_NS6detail10any_assignEEEZNS1_14transform_implILb0ES3_S9_NS7_15normal_iteratorINS6_10device_ptrIsEEEENS6_16discard_iteratorINS6_11use_defaultEEEZNS1_13binary_searchIS3_S9_SE_SE_SH_NS1_21upper_bound_search_opENS7_16wrapped_functionINS0_4lessIvEEbEEEE10hipError_tPvRmT1_T2_T3_mmT4_T5_P12ihipStream_tbEUlRKsE_EESO_SS_ST_mSU_SX_bEUlT_E_NS1_11comp_targetILNS1_3genE9ELNS1_11target_archE1100ELNS1_3gpuE3ELNS1_3repE0EEENS1_30default_config_static_selectorELNS0_4arch9wavefront6targetE1EEEvSR_
    .private_segment_fixed_size: 0
    .sgpr_count:     4
    .sgpr_spill_count: 0
    .symbol:         _ZN7rocprim17ROCPRIM_400000_NS6detail17trampoline_kernelINS0_14default_configENS1_27upper_bound_config_selectorIsN6thrust23THRUST_200600_302600_NS6detail10any_assignEEEZNS1_14transform_implILb0ES3_S9_NS7_15normal_iteratorINS6_10device_ptrIsEEEENS6_16discard_iteratorINS6_11use_defaultEEEZNS1_13binary_searchIS3_S9_SE_SE_SH_NS1_21upper_bound_search_opENS7_16wrapped_functionINS0_4lessIvEEbEEEE10hipError_tPvRmT1_T2_T3_mmT4_T5_P12ihipStream_tbEUlRKsE_EESO_SS_ST_mSU_SX_bEUlT_E_NS1_11comp_targetILNS1_3genE9ELNS1_11target_archE1100ELNS1_3gpuE3ELNS1_3repE0EEENS1_30default_config_static_selectorELNS0_4arch9wavefront6targetE1EEEvSR_.kd
    .uniform_work_group_size: 1
    .uses_dynamic_stack: false
    .vgpr_count:     0
    .vgpr_spill_count: 0
    .wavefront_size: 64
  - .agpr_count:     0
    .args:
      - .offset:         0
        .size:           64
        .value_kind:     by_value
    .group_segment_fixed_size: 0
    .kernarg_segment_align: 8
    .kernarg_segment_size: 64
    .language:       OpenCL C
    .language_version:
      - 2
      - 0
    .max_flat_workgroup_size: 128
    .name:           _ZN7rocprim17ROCPRIM_400000_NS6detail17trampoline_kernelINS0_14default_configENS1_27upper_bound_config_selectorIsN6thrust23THRUST_200600_302600_NS6detail10any_assignEEEZNS1_14transform_implILb0ES3_S9_NS7_15normal_iteratorINS6_10device_ptrIsEEEENS6_16discard_iteratorINS6_11use_defaultEEEZNS1_13binary_searchIS3_S9_SE_SE_SH_NS1_21upper_bound_search_opENS7_16wrapped_functionINS0_4lessIvEEbEEEE10hipError_tPvRmT1_T2_T3_mmT4_T5_P12ihipStream_tbEUlRKsE_EESO_SS_ST_mSU_SX_bEUlT_E_NS1_11comp_targetILNS1_3genE8ELNS1_11target_archE1030ELNS1_3gpuE2ELNS1_3repE0EEENS1_30default_config_static_selectorELNS0_4arch9wavefront6targetE1EEEvSR_
    .private_segment_fixed_size: 0
    .sgpr_count:     4
    .sgpr_spill_count: 0
    .symbol:         _ZN7rocprim17ROCPRIM_400000_NS6detail17trampoline_kernelINS0_14default_configENS1_27upper_bound_config_selectorIsN6thrust23THRUST_200600_302600_NS6detail10any_assignEEEZNS1_14transform_implILb0ES3_S9_NS7_15normal_iteratorINS6_10device_ptrIsEEEENS6_16discard_iteratorINS6_11use_defaultEEEZNS1_13binary_searchIS3_S9_SE_SE_SH_NS1_21upper_bound_search_opENS7_16wrapped_functionINS0_4lessIvEEbEEEE10hipError_tPvRmT1_T2_T3_mmT4_T5_P12ihipStream_tbEUlRKsE_EESO_SS_ST_mSU_SX_bEUlT_E_NS1_11comp_targetILNS1_3genE8ELNS1_11target_archE1030ELNS1_3gpuE2ELNS1_3repE0EEENS1_30default_config_static_selectorELNS0_4arch9wavefront6targetE1EEEvSR_.kd
    .uniform_work_group_size: 1
    .uses_dynamic_stack: false
    .vgpr_count:     0
    .vgpr_spill_count: 0
    .wavefront_size: 64
  - .agpr_count:     0
    .args:
      - .offset:         0
        .size:           64
        .value_kind:     by_value
    .group_segment_fixed_size: 0
    .kernarg_segment_align: 8
    .kernarg_segment_size: 64
    .language:       OpenCL C
    .language_version:
      - 2
      - 0
    .max_flat_workgroup_size: 256
    .name:           _ZN7rocprim17ROCPRIM_400000_NS6detail17trampoline_kernelINS0_14default_configENS1_29binary_search_config_selectorIxN6thrust23THRUST_200600_302600_NS6detail10any_assignEEEZNS1_14transform_implILb0ES3_S9_NS7_15normal_iteratorINS6_10device_ptrIxEEEENS6_16discard_iteratorINS6_11use_defaultEEEZNS1_13binary_searchIS3_S9_SE_SE_SH_NS1_16binary_search_opENS7_16wrapped_functionINS0_4lessIvEEbEEEE10hipError_tPvRmT1_T2_T3_mmT4_T5_P12ihipStream_tbEUlRKxE_EESO_SS_ST_mSU_SX_bEUlT_E_NS1_11comp_targetILNS1_3genE0ELNS1_11target_archE4294967295ELNS1_3gpuE0ELNS1_3repE0EEENS1_30default_config_static_selectorELNS0_4arch9wavefront6targetE1EEEvSR_
    .private_segment_fixed_size: 0
    .sgpr_count:     4
    .sgpr_spill_count: 0
    .symbol:         _ZN7rocprim17ROCPRIM_400000_NS6detail17trampoline_kernelINS0_14default_configENS1_29binary_search_config_selectorIxN6thrust23THRUST_200600_302600_NS6detail10any_assignEEEZNS1_14transform_implILb0ES3_S9_NS7_15normal_iteratorINS6_10device_ptrIxEEEENS6_16discard_iteratorINS6_11use_defaultEEEZNS1_13binary_searchIS3_S9_SE_SE_SH_NS1_16binary_search_opENS7_16wrapped_functionINS0_4lessIvEEbEEEE10hipError_tPvRmT1_T2_T3_mmT4_T5_P12ihipStream_tbEUlRKxE_EESO_SS_ST_mSU_SX_bEUlT_E_NS1_11comp_targetILNS1_3genE0ELNS1_11target_archE4294967295ELNS1_3gpuE0ELNS1_3repE0EEENS1_30default_config_static_selectorELNS0_4arch9wavefront6targetE1EEEvSR_.kd
    .uniform_work_group_size: 1
    .uses_dynamic_stack: false
    .vgpr_count:     0
    .vgpr_spill_count: 0
    .wavefront_size: 64
  - .agpr_count:     0
    .args:
      - .offset:         0
        .size:           64
        .value_kind:     by_value
    .group_segment_fixed_size: 0
    .kernarg_segment_align: 8
    .kernarg_segment_size: 64
    .language:       OpenCL C
    .language_version:
      - 2
      - 0
    .max_flat_workgroup_size: 64
    .name:           _ZN7rocprim17ROCPRIM_400000_NS6detail17trampoline_kernelINS0_14default_configENS1_29binary_search_config_selectorIxN6thrust23THRUST_200600_302600_NS6detail10any_assignEEEZNS1_14transform_implILb0ES3_S9_NS7_15normal_iteratorINS6_10device_ptrIxEEEENS6_16discard_iteratorINS6_11use_defaultEEEZNS1_13binary_searchIS3_S9_SE_SE_SH_NS1_16binary_search_opENS7_16wrapped_functionINS0_4lessIvEEbEEEE10hipError_tPvRmT1_T2_T3_mmT4_T5_P12ihipStream_tbEUlRKxE_EESO_SS_ST_mSU_SX_bEUlT_E_NS1_11comp_targetILNS1_3genE5ELNS1_11target_archE942ELNS1_3gpuE9ELNS1_3repE0EEENS1_30default_config_static_selectorELNS0_4arch9wavefront6targetE1EEEvSR_
    .private_segment_fixed_size: 0
    .sgpr_count:     4
    .sgpr_spill_count: 0
    .symbol:         _ZN7rocprim17ROCPRIM_400000_NS6detail17trampoline_kernelINS0_14default_configENS1_29binary_search_config_selectorIxN6thrust23THRUST_200600_302600_NS6detail10any_assignEEEZNS1_14transform_implILb0ES3_S9_NS7_15normal_iteratorINS6_10device_ptrIxEEEENS6_16discard_iteratorINS6_11use_defaultEEEZNS1_13binary_searchIS3_S9_SE_SE_SH_NS1_16binary_search_opENS7_16wrapped_functionINS0_4lessIvEEbEEEE10hipError_tPvRmT1_T2_T3_mmT4_T5_P12ihipStream_tbEUlRKxE_EESO_SS_ST_mSU_SX_bEUlT_E_NS1_11comp_targetILNS1_3genE5ELNS1_11target_archE942ELNS1_3gpuE9ELNS1_3repE0EEENS1_30default_config_static_selectorELNS0_4arch9wavefront6targetE1EEEvSR_.kd
    .uniform_work_group_size: 1
    .uses_dynamic_stack: false
    .vgpr_count:     0
    .vgpr_spill_count: 0
    .wavefront_size: 64
  - .agpr_count:     0
    .args:
      - .offset:         0
        .size:           64
        .value_kind:     by_value
    .group_segment_fixed_size: 0
    .kernarg_segment_align: 8
    .kernarg_segment_size: 64
    .language:       OpenCL C
    .language_version:
      - 2
      - 0
    .max_flat_workgroup_size: 64
    .name:           _ZN7rocprim17ROCPRIM_400000_NS6detail17trampoline_kernelINS0_14default_configENS1_29binary_search_config_selectorIxN6thrust23THRUST_200600_302600_NS6detail10any_assignEEEZNS1_14transform_implILb0ES3_S9_NS7_15normal_iteratorINS6_10device_ptrIxEEEENS6_16discard_iteratorINS6_11use_defaultEEEZNS1_13binary_searchIS3_S9_SE_SE_SH_NS1_16binary_search_opENS7_16wrapped_functionINS0_4lessIvEEbEEEE10hipError_tPvRmT1_T2_T3_mmT4_T5_P12ihipStream_tbEUlRKxE_EESO_SS_ST_mSU_SX_bEUlT_E_NS1_11comp_targetILNS1_3genE4ELNS1_11target_archE910ELNS1_3gpuE8ELNS1_3repE0EEENS1_30default_config_static_selectorELNS0_4arch9wavefront6targetE1EEEvSR_
    .private_segment_fixed_size: 0
    .sgpr_count:     4
    .sgpr_spill_count: 0
    .symbol:         _ZN7rocprim17ROCPRIM_400000_NS6detail17trampoline_kernelINS0_14default_configENS1_29binary_search_config_selectorIxN6thrust23THRUST_200600_302600_NS6detail10any_assignEEEZNS1_14transform_implILb0ES3_S9_NS7_15normal_iteratorINS6_10device_ptrIxEEEENS6_16discard_iteratorINS6_11use_defaultEEEZNS1_13binary_searchIS3_S9_SE_SE_SH_NS1_16binary_search_opENS7_16wrapped_functionINS0_4lessIvEEbEEEE10hipError_tPvRmT1_T2_T3_mmT4_T5_P12ihipStream_tbEUlRKxE_EESO_SS_ST_mSU_SX_bEUlT_E_NS1_11comp_targetILNS1_3genE4ELNS1_11target_archE910ELNS1_3gpuE8ELNS1_3repE0EEENS1_30default_config_static_selectorELNS0_4arch9wavefront6targetE1EEEvSR_.kd
    .uniform_work_group_size: 1
    .uses_dynamic_stack: false
    .vgpr_count:     0
    .vgpr_spill_count: 0
    .wavefront_size: 64
  - .agpr_count:     0
    .args:
      - .offset:         0
        .size:           64
        .value_kind:     by_value
    .group_segment_fixed_size: 0
    .kernarg_segment_align: 8
    .kernarg_segment_size: 64
    .language:       OpenCL C
    .language_version:
      - 2
      - 0
    .max_flat_workgroup_size: 256
    .name:           _ZN7rocprim17ROCPRIM_400000_NS6detail17trampoline_kernelINS0_14default_configENS1_29binary_search_config_selectorIxN6thrust23THRUST_200600_302600_NS6detail10any_assignEEEZNS1_14transform_implILb0ES3_S9_NS7_15normal_iteratorINS6_10device_ptrIxEEEENS6_16discard_iteratorINS6_11use_defaultEEEZNS1_13binary_searchIS3_S9_SE_SE_SH_NS1_16binary_search_opENS7_16wrapped_functionINS0_4lessIvEEbEEEE10hipError_tPvRmT1_T2_T3_mmT4_T5_P12ihipStream_tbEUlRKxE_EESO_SS_ST_mSU_SX_bEUlT_E_NS1_11comp_targetILNS1_3genE3ELNS1_11target_archE908ELNS1_3gpuE7ELNS1_3repE0EEENS1_30default_config_static_selectorELNS0_4arch9wavefront6targetE1EEEvSR_
    .private_segment_fixed_size: 0
    .sgpr_count:     4
    .sgpr_spill_count: 0
    .symbol:         _ZN7rocprim17ROCPRIM_400000_NS6detail17trampoline_kernelINS0_14default_configENS1_29binary_search_config_selectorIxN6thrust23THRUST_200600_302600_NS6detail10any_assignEEEZNS1_14transform_implILb0ES3_S9_NS7_15normal_iteratorINS6_10device_ptrIxEEEENS6_16discard_iteratorINS6_11use_defaultEEEZNS1_13binary_searchIS3_S9_SE_SE_SH_NS1_16binary_search_opENS7_16wrapped_functionINS0_4lessIvEEbEEEE10hipError_tPvRmT1_T2_T3_mmT4_T5_P12ihipStream_tbEUlRKxE_EESO_SS_ST_mSU_SX_bEUlT_E_NS1_11comp_targetILNS1_3genE3ELNS1_11target_archE908ELNS1_3gpuE7ELNS1_3repE0EEENS1_30default_config_static_selectorELNS0_4arch9wavefront6targetE1EEEvSR_.kd
    .uniform_work_group_size: 1
    .uses_dynamic_stack: false
    .vgpr_count:     0
    .vgpr_spill_count: 0
    .wavefront_size: 64
  - .agpr_count:     0
    .args:
      - .offset:         0
        .size:           64
        .value_kind:     by_value
    .group_segment_fixed_size: 0
    .kernarg_segment_align: 8
    .kernarg_segment_size: 64
    .language:       OpenCL C
    .language_version:
      - 2
      - 0
    .max_flat_workgroup_size: 256
    .name:           _ZN7rocprim17ROCPRIM_400000_NS6detail17trampoline_kernelINS0_14default_configENS1_29binary_search_config_selectorIxN6thrust23THRUST_200600_302600_NS6detail10any_assignEEEZNS1_14transform_implILb0ES3_S9_NS7_15normal_iteratorINS6_10device_ptrIxEEEENS6_16discard_iteratorINS6_11use_defaultEEEZNS1_13binary_searchIS3_S9_SE_SE_SH_NS1_16binary_search_opENS7_16wrapped_functionINS0_4lessIvEEbEEEE10hipError_tPvRmT1_T2_T3_mmT4_T5_P12ihipStream_tbEUlRKxE_EESO_SS_ST_mSU_SX_bEUlT_E_NS1_11comp_targetILNS1_3genE2ELNS1_11target_archE906ELNS1_3gpuE6ELNS1_3repE0EEENS1_30default_config_static_selectorELNS0_4arch9wavefront6targetE1EEEvSR_
    .private_segment_fixed_size: 0
    .sgpr_count:     4
    .sgpr_spill_count: 0
    .symbol:         _ZN7rocprim17ROCPRIM_400000_NS6detail17trampoline_kernelINS0_14default_configENS1_29binary_search_config_selectorIxN6thrust23THRUST_200600_302600_NS6detail10any_assignEEEZNS1_14transform_implILb0ES3_S9_NS7_15normal_iteratorINS6_10device_ptrIxEEEENS6_16discard_iteratorINS6_11use_defaultEEEZNS1_13binary_searchIS3_S9_SE_SE_SH_NS1_16binary_search_opENS7_16wrapped_functionINS0_4lessIvEEbEEEE10hipError_tPvRmT1_T2_T3_mmT4_T5_P12ihipStream_tbEUlRKxE_EESO_SS_ST_mSU_SX_bEUlT_E_NS1_11comp_targetILNS1_3genE2ELNS1_11target_archE906ELNS1_3gpuE6ELNS1_3repE0EEENS1_30default_config_static_selectorELNS0_4arch9wavefront6targetE1EEEvSR_.kd
    .uniform_work_group_size: 1
    .uses_dynamic_stack: false
    .vgpr_count:     0
    .vgpr_spill_count: 0
    .wavefront_size: 64
  - .agpr_count:     0
    .args:
      - .offset:         0
        .size:           64
        .value_kind:     by_value
    .group_segment_fixed_size: 0
    .kernarg_segment_align: 8
    .kernarg_segment_size: 64
    .language:       OpenCL C
    .language_version:
      - 2
      - 0
    .max_flat_workgroup_size: 256
    .name:           _ZN7rocprim17ROCPRIM_400000_NS6detail17trampoline_kernelINS0_14default_configENS1_29binary_search_config_selectorIxN6thrust23THRUST_200600_302600_NS6detail10any_assignEEEZNS1_14transform_implILb0ES3_S9_NS7_15normal_iteratorINS6_10device_ptrIxEEEENS6_16discard_iteratorINS6_11use_defaultEEEZNS1_13binary_searchIS3_S9_SE_SE_SH_NS1_16binary_search_opENS7_16wrapped_functionINS0_4lessIvEEbEEEE10hipError_tPvRmT1_T2_T3_mmT4_T5_P12ihipStream_tbEUlRKxE_EESO_SS_ST_mSU_SX_bEUlT_E_NS1_11comp_targetILNS1_3genE10ELNS1_11target_archE1201ELNS1_3gpuE5ELNS1_3repE0EEENS1_30default_config_static_selectorELNS0_4arch9wavefront6targetE1EEEvSR_
    .private_segment_fixed_size: 0
    .sgpr_count:     4
    .sgpr_spill_count: 0
    .symbol:         _ZN7rocprim17ROCPRIM_400000_NS6detail17trampoline_kernelINS0_14default_configENS1_29binary_search_config_selectorIxN6thrust23THRUST_200600_302600_NS6detail10any_assignEEEZNS1_14transform_implILb0ES3_S9_NS7_15normal_iteratorINS6_10device_ptrIxEEEENS6_16discard_iteratorINS6_11use_defaultEEEZNS1_13binary_searchIS3_S9_SE_SE_SH_NS1_16binary_search_opENS7_16wrapped_functionINS0_4lessIvEEbEEEE10hipError_tPvRmT1_T2_T3_mmT4_T5_P12ihipStream_tbEUlRKxE_EESO_SS_ST_mSU_SX_bEUlT_E_NS1_11comp_targetILNS1_3genE10ELNS1_11target_archE1201ELNS1_3gpuE5ELNS1_3repE0EEENS1_30default_config_static_selectorELNS0_4arch9wavefront6targetE1EEEvSR_.kd
    .uniform_work_group_size: 1
    .uses_dynamic_stack: false
    .vgpr_count:     0
    .vgpr_spill_count: 0
    .wavefront_size: 64
  - .agpr_count:     0
    .args:
      - .offset:         0
        .size:           64
        .value_kind:     by_value
    .group_segment_fixed_size: 0
    .kernarg_segment_align: 8
    .kernarg_segment_size: 64
    .language:       OpenCL C
    .language_version:
      - 2
      - 0
    .max_flat_workgroup_size: 128
    .name:           _ZN7rocprim17ROCPRIM_400000_NS6detail17trampoline_kernelINS0_14default_configENS1_29binary_search_config_selectorIxN6thrust23THRUST_200600_302600_NS6detail10any_assignEEEZNS1_14transform_implILb0ES3_S9_NS7_15normal_iteratorINS6_10device_ptrIxEEEENS6_16discard_iteratorINS6_11use_defaultEEEZNS1_13binary_searchIS3_S9_SE_SE_SH_NS1_16binary_search_opENS7_16wrapped_functionINS0_4lessIvEEbEEEE10hipError_tPvRmT1_T2_T3_mmT4_T5_P12ihipStream_tbEUlRKxE_EESO_SS_ST_mSU_SX_bEUlT_E_NS1_11comp_targetILNS1_3genE10ELNS1_11target_archE1200ELNS1_3gpuE4ELNS1_3repE0EEENS1_30default_config_static_selectorELNS0_4arch9wavefront6targetE1EEEvSR_
    .private_segment_fixed_size: 0
    .sgpr_count:     4
    .sgpr_spill_count: 0
    .symbol:         _ZN7rocprim17ROCPRIM_400000_NS6detail17trampoline_kernelINS0_14default_configENS1_29binary_search_config_selectorIxN6thrust23THRUST_200600_302600_NS6detail10any_assignEEEZNS1_14transform_implILb0ES3_S9_NS7_15normal_iteratorINS6_10device_ptrIxEEEENS6_16discard_iteratorINS6_11use_defaultEEEZNS1_13binary_searchIS3_S9_SE_SE_SH_NS1_16binary_search_opENS7_16wrapped_functionINS0_4lessIvEEbEEEE10hipError_tPvRmT1_T2_T3_mmT4_T5_P12ihipStream_tbEUlRKxE_EESO_SS_ST_mSU_SX_bEUlT_E_NS1_11comp_targetILNS1_3genE10ELNS1_11target_archE1200ELNS1_3gpuE4ELNS1_3repE0EEENS1_30default_config_static_selectorELNS0_4arch9wavefront6targetE1EEEvSR_.kd
    .uniform_work_group_size: 1
    .uses_dynamic_stack: false
    .vgpr_count:     0
    .vgpr_spill_count: 0
    .wavefront_size: 64
  - .agpr_count:     0
    .args:
      - .offset:         0
        .size:           64
        .value_kind:     by_value
    .group_segment_fixed_size: 0
    .kernarg_segment_align: 8
    .kernarg_segment_size: 64
    .language:       OpenCL C
    .language_version:
      - 2
      - 0
    .max_flat_workgroup_size: 64
    .name:           _ZN7rocprim17ROCPRIM_400000_NS6detail17trampoline_kernelINS0_14default_configENS1_29binary_search_config_selectorIxN6thrust23THRUST_200600_302600_NS6detail10any_assignEEEZNS1_14transform_implILb0ES3_S9_NS7_15normal_iteratorINS6_10device_ptrIxEEEENS6_16discard_iteratorINS6_11use_defaultEEEZNS1_13binary_searchIS3_S9_SE_SE_SH_NS1_16binary_search_opENS7_16wrapped_functionINS0_4lessIvEEbEEEE10hipError_tPvRmT1_T2_T3_mmT4_T5_P12ihipStream_tbEUlRKxE_EESO_SS_ST_mSU_SX_bEUlT_E_NS1_11comp_targetILNS1_3genE9ELNS1_11target_archE1100ELNS1_3gpuE3ELNS1_3repE0EEENS1_30default_config_static_selectorELNS0_4arch9wavefront6targetE1EEEvSR_
    .private_segment_fixed_size: 0
    .sgpr_count:     4
    .sgpr_spill_count: 0
    .symbol:         _ZN7rocprim17ROCPRIM_400000_NS6detail17trampoline_kernelINS0_14default_configENS1_29binary_search_config_selectorIxN6thrust23THRUST_200600_302600_NS6detail10any_assignEEEZNS1_14transform_implILb0ES3_S9_NS7_15normal_iteratorINS6_10device_ptrIxEEEENS6_16discard_iteratorINS6_11use_defaultEEEZNS1_13binary_searchIS3_S9_SE_SE_SH_NS1_16binary_search_opENS7_16wrapped_functionINS0_4lessIvEEbEEEE10hipError_tPvRmT1_T2_T3_mmT4_T5_P12ihipStream_tbEUlRKxE_EESO_SS_ST_mSU_SX_bEUlT_E_NS1_11comp_targetILNS1_3genE9ELNS1_11target_archE1100ELNS1_3gpuE3ELNS1_3repE0EEENS1_30default_config_static_selectorELNS0_4arch9wavefront6targetE1EEEvSR_.kd
    .uniform_work_group_size: 1
    .uses_dynamic_stack: false
    .vgpr_count:     0
    .vgpr_spill_count: 0
    .wavefront_size: 64
  - .agpr_count:     0
    .args:
      - .offset:         0
        .size:           64
        .value_kind:     by_value
    .group_segment_fixed_size: 0
    .kernarg_segment_align: 8
    .kernarg_segment_size: 64
    .language:       OpenCL C
    .language_version:
      - 2
      - 0
    .max_flat_workgroup_size: 256
    .name:           _ZN7rocprim17ROCPRIM_400000_NS6detail17trampoline_kernelINS0_14default_configENS1_29binary_search_config_selectorIxN6thrust23THRUST_200600_302600_NS6detail10any_assignEEEZNS1_14transform_implILb0ES3_S9_NS7_15normal_iteratorINS6_10device_ptrIxEEEENS6_16discard_iteratorINS6_11use_defaultEEEZNS1_13binary_searchIS3_S9_SE_SE_SH_NS1_16binary_search_opENS7_16wrapped_functionINS0_4lessIvEEbEEEE10hipError_tPvRmT1_T2_T3_mmT4_T5_P12ihipStream_tbEUlRKxE_EESO_SS_ST_mSU_SX_bEUlT_E_NS1_11comp_targetILNS1_3genE8ELNS1_11target_archE1030ELNS1_3gpuE2ELNS1_3repE0EEENS1_30default_config_static_selectorELNS0_4arch9wavefront6targetE1EEEvSR_
    .private_segment_fixed_size: 0
    .sgpr_count:     4
    .sgpr_spill_count: 0
    .symbol:         _ZN7rocprim17ROCPRIM_400000_NS6detail17trampoline_kernelINS0_14default_configENS1_29binary_search_config_selectorIxN6thrust23THRUST_200600_302600_NS6detail10any_assignEEEZNS1_14transform_implILb0ES3_S9_NS7_15normal_iteratorINS6_10device_ptrIxEEEENS6_16discard_iteratorINS6_11use_defaultEEEZNS1_13binary_searchIS3_S9_SE_SE_SH_NS1_16binary_search_opENS7_16wrapped_functionINS0_4lessIvEEbEEEE10hipError_tPvRmT1_T2_T3_mmT4_T5_P12ihipStream_tbEUlRKxE_EESO_SS_ST_mSU_SX_bEUlT_E_NS1_11comp_targetILNS1_3genE8ELNS1_11target_archE1030ELNS1_3gpuE2ELNS1_3repE0EEENS1_30default_config_static_selectorELNS0_4arch9wavefront6targetE1EEEvSR_.kd
    .uniform_work_group_size: 1
    .uses_dynamic_stack: false
    .vgpr_count:     0
    .vgpr_spill_count: 0
    .wavefront_size: 64
  - .agpr_count:     0
    .args:
      - .offset:         0
        .size:           64
        .value_kind:     by_value
    .group_segment_fixed_size: 0
    .kernarg_segment_align: 8
    .kernarg_segment_size: 64
    .language:       OpenCL C
    .language_version:
      - 2
      - 0
    .max_flat_workgroup_size: 256
    .name:           _ZN7rocprim17ROCPRIM_400000_NS6detail17trampoline_kernelINS0_14default_configENS1_29binary_search_config_selectorIiN6thrust23THRUST_200600_302600_NS6detail10any_assignEEEZNS1_14transform_implILb0ES3_S9_NS7_15normal_iteratorINS6_10device_ptrIiEEEENS6_16discard_iteratorINS6_11use_defaultEEEZNS1_13binary_searchIS3_S9_SE_SE_SH_NS1_16binary_search_opENS7_16wrapped_functionINS0_4lessIvEEbEEEE10hipError_tPvRmT1_T2_T3_mmT4_T5_P12ihipStream_tbEUlRKiE_EESO_SS_ST_mSU_SX_bEUlT_E_NS1_11comp_targetILNS1_3genE0ELNS1_11target_archE4294967295ELNS1_3gpuE0ELNS1_3repE0EEENS1_30default_config_static_selectorELNS0_4arch9wavefront6targetE1EEEvSR_
    .private_segment_fixed_size: 0
    .sgpr_count:     4
    .sgpr_spill_count: 0
    .symbol:         _ZN7rocprim17ROCPRIM_400000_NS6detail17trampoline_kernelINS0_14default_configENS1_29binary_search_config_selectorIiN6thrust23THRUST_200600_302600_NS6detail10any_assignEEEZNS1_14transform_implILb0ES3_S9_NS7_15normal_iteratorINS6_10device_ptrIiEEEENS6_16discard_iteratorINS6_11use_defaultEEEZNS1_13binary_searchIS3_S9_SE_SE_SH_NS1_16binary_search_opENS7_16wrapped_functionINS0_4lessIvEEbEEEE10hipError_tPvRmT1_T2_T3_mmT4_T5_P12ihipStream_tbEUlRKiE_EESO_SS_ST_mSU_SX_bEUlT_E_NS1_11comp_targetILNS1_3genE0ELNS1_11target_archE4294967295ELNS1_3gpuE0ELNS1_3repE0EEENS1_30default_config_static_selectorELNS0_4arch9wavefront6targetE1EEEvSR_.kd
    .uniform_work_group_size: 1
    .uses_dynamic_stack: false
    .vgpr_count:     0
    .vgpr_spill_count: 0
    .wavefront_size: 64
  - .agpr_count:     0
    .args:
      - .offset:         0
        .size:           64
        .value_kind:     by_value
    .group_segment_fixed_size: 0
    .kernarg_segment_align: 8
    .kernarg_segment_size: 64
    .language:       OpenCL C
    .language_version:
      - 2
      - 0
    .max_flat_workgroup_size: 256
    .name:           _ZN7rocprim17ROCPRIM_400000_NS6detail17trampoline_kernelINS0_14default_configENS1_29binary_search_config_selectorIiN6thrust23THRUST_200600_302600_NS6detail10any_assignEEEZNS1_14transform_implILb0ES3_S9_NS7_15normal_iteratorINS6_10device_ptrIiEEEENS6_16discard_iteratorINS6_11use_defaultEEEZNS1_13binary_searchIS3_S9_SE_SE_SH_NS1_16binary_search_opENS7_16wrapped_functionINS0_4lessIvEEbEEEE10hipError_tPvRmT1_T2_T3_mmT4_T5_P12ihipStream_tbEUlRKiE_EESO_SS_ST_mSU_SX_bEUlT_E_NS1_11comp_targetILNS1_3genE5ELNS1_11target_archE942ELNS1_3gpuE9ELNS1_3repE0EEENS1_30default_config_static_selectorELNS0_4arch9wavefront6targetE1EEEvSR_
    .private_segment_fixed_size: 0
    .sgpr_count:     4
    .sgpr_spill_count: 0
    .symbol:         _ZN7rocprim17ROCPRIM_400000_NS6detail17trampoline_kernelINS0_14default_configENS1_29binary_search_config_selectorIiN6thrust23THRUST_200600_302600_NS6detail10any_assignEEEZNS1_14transform_implILb0ES3_S9_NS7_15normal_iteratorINS6_10device_ptrIiEEEENS6_16discard_iteratorINS6_11use_defaultEEEZNS1_13binary_searchIS3_S9_SE_SE_SH_NS1_16binary_search_opENS7_16wrapped_functionINS0_4lessIvEEbEEEE10hipError_tPvRmT1_T2_T3_mmT4_T5_P12ihipStream_tbEUlRKiE_EESO_SS_ST_mSU_SX_bEUlT_E_NS1_11comp_targetILNS1_3genE5ELNS1_11target_archE942ELNS1_3gpuE9ELNS1_3repE0EEENS1_30default_config_static_selectorELNS0_4arch9wavefront6targetE1EEEvSR_.kd
    .uniform_work_group_size: 1
    .uses_dynamic_stack: false
    .vgpr_count:     0
    .vgpr_spill_count: 0
    .wavefront_size: 64
  - .agpr_count:     0
    .args:
      - .offset:         0
        .size:           64
        .value_kind:     by_value
    .group_segment_fixed_size: 0
    .kernarg_segment_align: 8
    .kernarg_segment_size: 64
    .language:       OpenCL C
    .language_version:
      - 2
      - 0
    .max_flat_workgroup_size: 256
    .name:           _ZN7rocprim17ROCPRIM_400000_NS6detail17trampoline_kernelINS0_14default_configENS1_29binary_search_config_selectorIiN6thrust23THRUST_200600_302600_NS6detail10any_assignEEEZNS1_14transform_implILb0ES3_S9_NS7_15normal_iteratorINS6_10device_ptrIiEEEENS6_16discard_iteratorINS6_11use_defaultEEEZNS1_13binary_searchIS3_S9_SE_SE_SH_NS1_16binary_search_opENS7_16wrapped_functionINS0_4lessIvEEbEEEE10hipError_tPvRmT1_T2_T3_mmT4_T5_P12ihipStream_tbEUlRKiE_EESO_SS_ST_mSU_SX_bEUlT_E_NS1_11comp_targetILNS1_3genE4ELNS1_11target_archE910ELNS1_3gpuE8ELNS1_3repE0EEENS1_30default_config_static_selectorELNS0_4arch9wavefront6targetE1EEEvSR_
    .private_segment_fixed_size: 0
    .sgpr_count:     4
    .sgpr_spill_count: 0
    .symbol:         _ZN7rocprim17ROCPRIM_400000_NS6detail17trampoline_kernelINS0_14default_configENS1_29binary_search_config_selectorIiN6thrust23THRUST_200600_302600_NS6detail10any_assignEEEZNS1_14transform_implILb0ES3_S9_NS7_15normal_iteratorINS6_10device_ptrIiEEEENS6_16discard_iteratorINS6_11use_defaultEEEZNS1_13binary_searchIS3_S9_SE_SE_SH_NS1_16binary_search_opENS7_16wrapped_functionINS0_4lessIvEEbEEEE10hipError_tPvRmT1_T2_T3_mmT4_T5_P12ihipStream_tbEUlRKiE_EESO_SS_ST_mSU_SX_bEUlT_E_NS1_11comp_targetILNS1_3genE4ELNS1_11target_archE910ELNS1_3gpuE8ELNS1_3repE0EEENS1_30default_config_static_selectorELNS0_4arch9wavefront6targetE1EEEvSR_.kd
    .uniform_work_group_size: 1
    .uses_dynamic_stack: false
    .vgpr_count:     0
    .vgpr_spill_count: 0
    .wavefront_size: 64
  - .agpr_count:     0
    .args:
      - .offset:         0
        .size:           64
        .value_kind:     by_value
    .group_segment_fixed_size: 0
    .kernarg_segment_align: 8
    .kernarg_segment_size: 64
    .language:       OpenCL C
    .language_version:
      - 2
      - 0
    .max_flat_workgroup_size: 256
    .name:           _ZN7rocprim17ROCPRIM_400000_NS6detail17trampoline_kernelINS0_14default_configENS1_29binary_search_config_selectorIiN6thrust23THRUST_200600_302600_NS6detail10any_assignEEEZNS1_14transform_implILb0ES3_S9_NS7_15normal_iteratorINS6_10device_ptrIiEEEENS6_16discard_iteratorINS6_11use_defaultEEEZNS1_13binary_searchIS3_S9_SE_SE_SH_NS1_16binary_search_opENS7_16wrapped_functionINS0_4lessIvEEbEEEE10hipError_tPvRmT1_T2_T3_mmT4_T5_P12ihipStream_tbEUlRKiE_EESO_SS_ST_mSU_SX_bEUlT_E_NS1_11comp_targetILNS1_3genE3ELNS1_11target_archE908ELNS1_3gpuE7ELNS1_3repE0EEENS1_30default_config_static_selectorELNS0_4arch9wavefront6targetE1EEEvSR_
    .private_segment_fixed_size: 0
    .sgpr_count:     4
    .sgpr_spill_count: 0
    .symbol:         _ZN7rocprim17ROCPRIM_400000_NS6detail17trampoline_kernelINS0_14default_configENS1_29binary_search_config_selectorIiN6thrust23THRUST_200600_302600_NS6detail10any_assignEEEZNS1_14transform_implILb0ES3_S9_NS7_15normal_iteratorINS6_10device_ptrIiEEEENS6_16discard_iteratorINS6_11use_defaultEEEZNS1_13binary_searchIS3_S9_SE_SE_SH_NS1_16binary_search_opENS7_16wrapped_functionINS0_4lessIvEEbEEEE10hipError_tPvRmT1_T2_T3_mmT4_T5_P12ihipStream_tbEUlRKiE_EESO_SS_ST_mSU_SX_bEUlT_E_NS1_11comp_targetILNS1_3genE3ELNS1_11target_archE908ELNS1_3gpuE7ELNS1_3repE0EEENS1_30default_config_static_selectorELNS0_4arch9wavefront6targetE1EEEvSR_.kd
    .uniform_work_group_size: 1
    .uses_dynamic_stack: false
    .vgpr_count:     0
    .vgpr_spill_count: 0
    .wavefront_size: 64
  - .agpr_count:     0
    .args:
      - .offset:         0
        .size:           64
        .value_kind:     by_value
    .group_segment_fixed_size: 0
    .kernarg_segment_align: 8
    .kernarg_segment_size: 64
    .language:       OpenCL C
    .language_version:
      - 2
      - 0
    .max_flat_workgroup_size: 256
    .name:           _ZN7rocprim17ROCPRIM_400000_NS6detail17trampoline_kernelINS0_14default_configENS1_29binary_search_config_selectorIiN6thrust23THRUST_200600_302600_NS6detail10any_assignEEEZNS1_14transform_implILb0ES3_S9_NS7_15normal_iteratorINS6_10device_ptrIiEEEENS6_16discard_iteratorINS6_11use_defaultEEEZNS1_13binary_searchIS3_S9_SE_SE_SH_NS1_16binary_search_opENS7_16wrapped_functionINS0_4lessIvEEbEEEE10hipError_tPvRmT1_T2_T3_mmT4_T5_P12ihipStream_tbEUlRKiE_EESO_SS_ST_mSU_SX_bEUlT_E_NS1_11comp_targetILNS1_3genE2ELNS1_11target_archE906ELNS1_3gpuE6ELNS1_3repE0EEENS1_30default_config_static_selectorELNS0_4arch9wavefront6targetE1EEEvSR_
    .private_segment_fixed_size: 0
    .sgpr_count:     4
    .sgpr_spill_count: 0
    .symbol:         _ZN7rocprim17ROCPRIM_400000_NS6detail17trampoline_kernelINS0_14default_configENS1_29binary_search_config_selectorIiN6thrust23THRUST_200600_302600_NS6detail10any_assignEEEZNS1_14transform_implILb0ES3_S9_NS7_15normal_iteratorINS6_10device_ptrIiEEEENS6_16discard_iteratorINS6_11use_defaultEEEZNS1_13binary_searchIS3_S9_SE_SE_SH_NS1_16binary_search_opENS7_16wrapped_functionINS0_4lessIvEEbEEEE10hipError_tPvRmT1_T2_T3_mmT4_T5_P12ihipStream_tbEUlRKiE_EESO_SS_ST_mSU_SX_bEUlT_E_NS1_11comp_targetILNS1_3genE2ELNS1_11target_archE906ELNS1_3gpuE6ELNS1_3repE0EEENS1_30default_config_static_selectorELNS0_4arch9wavefront6targetE1EEEvSR_.kd
    .uniform_work_group_size: 1
    .uses_dynamic_stack: false
    .vgpr_count:     0
    .vgpr_spill_count: 0
    .wavefront_size: 64
  - .agpr_count:     0
    .args:
      - .offset:         0
        .size:           64
        .value_kind:     by_value
    .group_segment_fixed_size: 0
    .kernarg_segment_align: 8
    .kernarg_segment_size: 64
    .language:       OpenCL C
    .language_version:
      - 2
      - 0
    .max_flat_workgroup_size: 128
    .name:           _ZN7rocprim17ROCPRIM_400000_NS6detail17trampoline_kernelINS0_14default_configENS1_29binary_search_config_selectorIiN6thrust23THRUST_200600_302600_NS6detail10any_assignEEEZNS1_14transform_implILb0ES3_S9_NS7_15normal_iteratorINS6_10device_ptrIiEEEENS6_16discard_iteratorINS6_11use_defaultEEEZNS1_13binary_searchIS3_S9_SE_SE_SH_NS1_16binary_search_opENS7_16wrapped_functionINS0_4lessIvEEbEEEE10hipError_tPvRmT1_T2_T3_mmT4_T5_P12ihipStream_tbEUlRKiE_EESO_SS_ST_mSU_SX_bEUlT_E_NS1_11comp_targetILNS1_3genE10ELNS1_11target_archE1201ELNS1_3gpuE5ELNS1_3repE0EEENS1_30default_config_static_selectorELNS0_4arch9wavefront6targetE1EEEvSR_
    .private_segment_fixed_size: 0
    .sgpr_count:     4
    .sgpr_spill_count: 0
    .symbol:         _ZN7rocprim17ROCPRIM_400000_NS6detail17trampoline_kernelINS0_14default_configENS1_29binary_search_config_selectorIiN6thrust23THRUST_200600_302600_NS6detail10any_assignEEEZNS1_14transform_implILb0ES3_S9_NS7_15normal_iteratorINS6_10device_ptrIiEEEENS6_16discard_iteratorINS6_11use_defaultEEEZNS1_13binary_searchIS3_S9_SE_SE_SH_NS1_16binary_search_opENS7_16wrapped_functionINS0_4lessIvEEbEEEE10hipError_tPvRmT1_T2_T3_mmT4_T5_P12ihipStream_tbEUlRKiE_EESO_SS_ST_mSU_SX_bEUlT_E_NS1_11comp_targetILNS1_3genE10ELNS1_11target_archE1201ELNS1_3gpuE5ELNS1_3repE0EEENS1_30default_config_static_selectorELNS0_4arch9wavefront6targetE1EEEvSR_.kd
    .uniform_work_group_size: 1
    .uses_dynamic_stack: false
    .vgpr_count:     0
    .vgpr_spill_count: 0
    .wavefront_size: 64
  - .agpr_count:     0
    .args:
      - .offset:         0
        .size:           64
        .value_kind:     by_value
    .group_segment_fixed_size: 0
    .kernarg_segment_align: 8
    .kernarg_segment_size: 64
    .language:       OpenCL C
    .language_version:
      - 2
      - 0
    .max_flat_workgroup_size: 128
    .name:           _ZN7rocprim17ROCPRIM_400000_NS6detail17trampoline_kernelINS0_14default_configENS1_29binary_search_config_selectorIiN6thrust23THRUST_200600_302600_NS6detail10any_assignEEEZNS1_14transform_implILb0ES3_S9_NS7_15normal_iteratorINS6_10device_ptrIiEEEENS6_16discard_iteratorINS6_11use_defaultEEEZNS1_13binary_searchIS3_S9_SE_SE_SH_NS1_16binary_search_opENS7_16wrapped_functionINS0_4lessIvEEbEEEE10hipError_tPvRmT1_T2_T3_mmT4_T5_P12ihipStream_tbEUlRKiE_EESO_SS_ST_mSU_SX_bEUlT_E_NS1_11comp_targetILNS1_3genE10ELNS1_11target_archE1200ELNS1_3gpuE4ELNS1_3repE0EEENS1_30default_config_static_selectorELNS0_4arch9wavefront6targetE1EEEvSR_
    .private_segment_fixed_size: 0
    .sgpr_count:     4
    .sgpr_spill_count: 0
    .symbol:         _ZN7rocprim17ROCPRIM_400000_NS6detail17trampoline_kernelINS0_14default_configENS1_29binary_search_config_selectorIiN6thrust23THRUST_200600_302600_NS6detail10any_assignEEEZNS1_14transform_implILb0ES3_S9_NS7_15normal_iteratorINS6_10device_ptrIiEEEENS6_16discard_iteratorINS6_11use_defaultEEEZNS1_13binary_searchIS3_S9_SE_SE_SH_NS1_16binary_search_opENS7_16wrapped_functionINS0_4lessIvEEbEEEE10hipError_tPvRmT1_T2_T3_mmT4_T5_P12ihipStream_tbEUlRKiE_EESO_SS_ST_mSU_SX_bEUlT_E_NS1_11comp_targetILNS1_3genE10ELNS1_11target_archE1200ELNS1_3gpuE4ELNS1_3repE0EEENS1_30default_config_static_selectorELNS0_4arch9wavefront6targetE1EEEvSR_.kd
    .uniform_work_group_size: 1
    .uses_dynamic_stack: false
    .vgpr_count:     0
    .vgpr_spill_count: 0
    .wavefront_size: 64
  - .agpr_count:     0
    .args:
      - .offset:         0
        .size:           64
        .value_kind:     by_value
    .group_segment_fixed_size: 0
    .kernarg_segment_align: 8
    .kernarg_segment_size: 64
    .language:       OpenCL C
    .language_version:
      - 2
      - 0
    .max_flat_workgroup_size: 256
    .name:           _ZN7rocprim17ROCPRIM_400000_NS6detail17trampoline_kernelINS0_14default_configENS1_29binary_search_config_selectorIiN6thrust23THRUST_200600_302600_NS6detail10any_assignEEEZNS1_14transform_implILb0ES3_S9_NS7_15normal_iteratorINS6_10device_ptrIiEEEENS6_16discard_iteratorINS6_11use_defaultEEEZNS1_13binary_searchIS3_S9_SE_SE_SH_NS1_16binary_search_opENS7_16wrapped_functionINS0_4lessIvEEbEEEE10hipError_tPvRmT1_T2_T3_mmT4_T5_P12ihipStream_tbEUlRKiE_EESO_SS_ST_mSU_SX_bEUlT_E_NS1_11comp_targetILNS1_3genE9ELNS1_11target_archE1100ELNS1_3gpuE3ELNS1_3repE0EEENS1_30default_config_static_selectorELNS0_4arch9wavefront6targetE1EEEvSR_
    .private_segment_fixed_size: 0
    .sgpr_count:     4
    .sgpr_spill_count: 0
    .symbol:         _ZN7rocprim17ROCPRIM_400000_NS6detail17trampoline_kernelINS0_14default_configENS1_29binary_search_config_selectorIiN6thrust23THRUST_200600_302600_NS6detail10any_assignEEEZNS1_14transform_implILb0ES3_S9_NS7_15normal_iteratorINS6_10device_ptrIiEEEENS6_16discard_iteratorINS6_11use_defaultEEEZNS1_13binary_searchIS3_S9_SE_SE_SH_NS1_16binary_search_opENS7_16wrapped_functionINS0_4lessIvEEbEEEE10hipError_tPvRmT1_T2_T3_mmT4_T5_P12ihipStream_tbEUlRKiE_EESO_SS_ST_mSU_SX_bEUlT_E_NS1_11comp_targetILNS1_3genE9ELNS1_11target_archE1100ELNS1_3gpuE3ELNS1_3repE0EEENS1_30default_config_static_selectorELNS0_4arch9wavefront6targetE1EEEvSR_.kd
    .uniform_work_group_size: 1
    .uses_dynamic_stack: false
    .vgpr_count:     0
    .vgpr_spill_count: 0
    .wavefront_size: 64
  - .agpr_count:     0
    .args:
      - .offset:         0
        .size:           64
        .value_kind:     by_value
    .group_segment_fixed_size: 0
    .kernarg_segment_align: 8
    .kernarg_segment_size: 64
    .language:       OpenCL C
    .language_version:
      - 2
      - 0
    .max_flat_workgroup_size: 256
    .name:           _ZN7rocprim17ROCPRIM_400000_NS6detail17trampoline_kernelINS0_14default_configENS1_29binary_search_config_selectorIiN6thrust23THRUST_200600_302600_NS6detail10any_assignEEEZNS1_14transform_implILb0ES3_S9_NS7_15normal_iteratorINS6_10device_ptrIiEEEENS6_16discard_iteratorINS6_11use_defaultEEEZNS1_13binary_searchIS3_S9_SE_SE_SH_NS1_16binary_search_opENS7_16wrapped_functionINS0_4lessIvEEbEEEE10hipError_tPvRmT1_T2_T3_mmT4_T5_P12ihipStream_tbEUlRKiE_EESO_SS_ST_mSU_SX_bEUlT_E_NS1_11comp_targetILNS1_3genE8ELNS1_11target_archE1030ELNS1_3gpuE2ELNS1_3repE0EEENS1_30default_config_static_selectorELNS0_4arch9wavefront6targetE1EEEvSR_
    .private_segment_fixed_size: 0
    .sgpr_count:     4
    .sgpr_spill_count: 0
    .symbol:         _ZN7rocprim17ROCPRIM_400000_NS6detail17trampoline_kernelINS0_14default_configENS1_29binary_search_config_selectorIiN6thrust23THRUST_200600_302600_NS6detail10any_assignEEEZNS1_14transform_implILb0ES3_S9_NS7_15normal_iteratorINS6_10device_ptrIiEEEENS6_16discard_iteratorINS6_11use_defaultEEEZNS1_13binary_searchIS3_S9_SE_SE_SH_NS1_16binary_search_opENS7_16wrapped_functionINS0_4lessIvEEbEEEE10hipError_tPvRmT1_T2_T3_mmT4_T5_P12ihipStream_tbEUlRKiE_EESO_SS_ST_mSU_SX_bEUlT_E_NS1_11comp_targetILNS1_3genE8ELNS1_11target_archE1030ELNS1_3gpuE2ELNS1_3repE0EEENS1_30default_config_static_selectorELNS0_4arch9wavefront6targetE1EEEvSR_.kd
    .uniform_work_group_size: 1
    .uses_dynamic_stack: false
    .vgpr_count:     0
    .vgpr_spill_count: 0
    .wavefront_size: 64
  - .agpr_count:     0
    .args:
      - .offset:         0
        .size:           64
        .value_kind:     by_value
    .group_segment_fixed_size: 0
    .kernarg_segment_align: 8
    .kernarg_segment_size: 64
    .language:       OpenCL C
    .language_version:
      - 2
      - 0
    .max_flat_workgroup_size: 128
    .name:           _ZN7rocprim17ROCPRIM_400000_NS6detail17trampoline_kernelINS0_14default_configENS1_29binary_search_config_selectorIsN6thrust23THRUST_200600_302600_NS6detail10any_assignEEEZNS1_14transform_implILb0ES3_S9_NS7_15normal_iteratorINS6_10device_ptrIsEEEENS6_16discard_iteratorINS6_11use_defaultEEEZNS1_13binary_searchIS3_S9_SE_SE_SH_NS1_16binary_search_opENS7_16wrapped_functionINS0_4lessIvEEbEEEE10hipError_tPvRmT1_T2_T3_mmT4_T5_P12ihipStream_tbEUlRKsE_EESO_SS_ST_mSU_SX_bEUlT_E_NS1_11comp_targetILNS1_3genE0ELNS1_11target_archE4294967295ELNS1_3gpuE0ELNS1_3repE0EEENS1_30default_config_static_selectorELNS0_4arch9wavefront6targetE1EEEvSR_
    .private_segment_fixed_size: 0
    .sgpr_count:     4
    .sgpr_spill_count: 0
    .symbol:         _ZN7rocprim17ROCPRIM_400000_NS6detail17trampoline_kernelINS0_14default_configENS1_29binary_search_config_selectorIsN6thrust23THRUST_200600_302600_NS6detail10any_assignEEEZNS1_14transform_implILb0ES3_S9_NS7_15normal_iteratorINS6_10device_ptrIsEEEENS6_16discard_iteratorINS6_11use_defaultEEEZNS1_13binary_searchIS3_S9_SE_SE_SH_NS1_16binary_search_opENS7_16wrapped_functionINS0_4lessIvEEbEEEE10hipError_tPvRmT1_T2_T3_mmT4_T5_P12ihipStream_tbEUlRKsE_EESO_SS_ST_mSU_SX_bEUlT_E_NS1_11comp_targetILNS1_3genE0ELNS1_11target_archE4294967295ELNS1_3gpuE0ELNS1_3repE0EEENS1_30default_config_static_selectorELNS0_4arch9wavefront6targetE1EEEvSR_.kd
    .uniform_work_group_size: 1
    .uses_dynamic_stack: false
    .vgpr_count:     0
    .vgpr_spill_count: 0
    .wavefront_size: 64
  - .agpr_count:     0
    .args:
      - .offset:         0
        .size:           64
        .value_kind:     by_value
    .group_segment_fixed_size: 0
    .kernarg_segment_align: 8
    .kernarg_segment_size: 64
    .language:       OpenCL C
    .language_version:
      - 2
      - 0
    .max_flat_workgroup_size: 256
    .name:           _ZN7rocprim17ROCPRIM_400000_NS6detail17trampoline_kernelINS0_14default_configENS1_29binary_search_config_selectorIsN6thrust23THRUST_200600_302600_NS6detail10any_assignEEEZNS1_14transform_implILb0ES3_S9_NS7_15normal_iteratorINS6_10device_ptrIsEEEENS6_16discard_iteratorINS6_11use_defaultEEEZNS1_13binary_searchIS3_S9_SE_SE_SH_NS1_16binary_search_opENS7_16wrapped_functionINS0_4lessIvEEbEEEE10hipError_tPvRmT1_T2_T3_mmT4_T5_P12ihipStream_tbEUlRKsE_EESO_SS_ST_mSU_SX_bEUlT_E_NS1_11comp_targetILNS1_3genE5ELNS1_11target_archE942ELNS1_3gpuE9ELNS1_3repE0EEENS1_30default_config_static_selectorELNS0_4arch9wavefront6targetE1EEEvSR_
    .private_segment_fixed_size: 0
    .sgpr_count:     4
    .sgpr_spill_count: 0
    .symbol:         _ZN7rocprim17ROCPRIM_400000_NS6detail17trampoline_kernelINS0_14default_configENS1_29binary_search_config_selectorIsN6thrust23THRUST_200600_302600_NS6detail10any_assignEEEZNS1_14transform_implILb0ES3_S9_NS7_15normal_iteratorINS6_10device_ptrIsEEEENS6_16discard_iteratorINS6_11use_defaultEEEZNS1_13binary_searchIS3_S9_SE_SE_SH_NS1_16binary_search_opENS7_16wrapped_functionINS0_4lessIvEEbEEEE10hipError_tPvRmT1_T2_T3_mmT4_T5_P12ihipStream_tbEUlRKsE_EESO_SS_ST_mSU_SX_bEUlT_E_NS1_11comp_targetILNS1_3genE5ELNS1_11target_archE942ELNS1_3gpuE9ELNS1_3repE0EEENS1_30default_config_static_selectorELNS0_4arch9wavefront6targetE1EEEvSR_.kd
    .uniform_work_group_size: 1
    .uses_dynamic_stack: false
    .vgpr_count:     0
    .vgpr_spill_count: 0
    .wavefront_size: 64
  - .agpr_count:     0
    .args:
      - .offset:         0
        .size:           64
        .value_kind:     by_value
    .group_segment_fixed_size: 0
    .kernarg_segment_align: 8
    .kernarg_segment_size: 64
    .language:       OpenCL C
    .language_version:
      - 2
      - 0
    .max_flat_workgroup_size: 256
    .name:           _ZN7rocprim17ROCPRIM_400000_NS6detail17trampoline_kernelINS0_14default_configENS1_29binary_search_config_selectorIsN6thrust23THRUST_200600_302600_NS6detail10any_assignEEEZNS1_14transform_implILb0ES3_S9_NS7_15normal_iteratorINS6_10device_ptrIsEEEENS6_16discard_iteratorINS6_11use_defaultEEEZNS1_13binary_searchIS3_S9_SE_SE_SH_NS1_16binary_search_opENS7_16wrapped_functionINS0_4lessIvEEbEEEE10hipError_tPvRmT1_T2_T3_mmT4_T5_P12ihipStream_tbEUlRKsE_EESO_SS_ST_mSU_SX_bEUlT_E_NS1_11comp_targetILNS1_3genE4ELNS1_11target_archE910ELNS1_3gpuE8ELNS1_3repE0EEENS1_30default_config_static_selectorELNS0_4arch9wavefront6targetE1EEEvSR_
    .private_segment_fixed_size: 0
    .sgpr_count:     4
    .sgpr_spill_count: 0
    .symbol:         _ZN7rocprim17ROCPRIM_400000_NS6detail17trampoline_kernelINS0_14default_configENS1_29binary_search_config_selectorIsN6thrust23THRUST_200600_302600_NS6detail10any_assignEEEZNS1_14transform_implILb0ES3_S9_NS7_15normal_iteratorINS6_10device_ptrIsEEEENS6_16discard_iteratorINS6_11use_defaultEEEZNS1_13binary_searchIS3_S9_SE_SE_SH_NS1_16binary_search_opENS7_16wrapped_functionINS0_4lessIvEEbEEEE10hipError_tPvRmT1_T2_T3_mmT4_T5_P12ihipStream_tbEUlRKsE_EESO_SS_ST_mSU_SX_bEUlT_E_NS1_11comp_targetILNS1_3genE4ELNS1_11target_archE910ELNS1_3gpuE8ELNS1_3repE0EEENS1_30default_config_static_selectorELNS0_4arch9wavefront6targetE1EEEvSR_.kd
    .uniform_work_group_size: 1
    .uses_dynamic_stack: false
    .vgpr_count:     0
    .vgpr_spill_count: 0
    .wavefront_size: 64
  - .agpr_count:     0
    .args:
      - .offset:         0
        .size:           64
        .value_kind:     by_value
    .group_segment_fixed_size: 0
    .kernarg_segment_align: 8
    .kernarg_segment_size: 64
    .language:       OpenCL C
    .language_version:
      - 2
      - 0
    .max_flat_workgroup_size: 128
    .name:           _ZN7rocprim17ROCPRIM_400000_NS6detail17trampoline_kernelINS0_14default_configENS1_29binary_search_config_selectorIsN6thrust23THRUST_200600_302600_NS6detail10any_assignEEEZNS1_14transform_implILb0ES3_S9_NS7_15normal_iteratorINS6_10device_ptrIsEEEENS6_16discard_iteratorINS6_11use_defaultEEEZNS1_13binary_searchIS3_S9_SE_SE_SH_NS1_16binary_search_opENS7_16wrapped_functionINS0_4lessIvEEbEEEE10hipError_tPvRmT1_T2_T3_mmT4_T5_P12ihipStream_tbEUlRKsE_EESO_SS_ST_mSU_SX_bEUlT_E_NS1_11comp_targetILNS1_3genE3ELNS1_11target_archE908ELNS1_3gpuE7ELNS1_3repE0EEENS1_30default_config_static_selectorELNS0_4arch9wavefront6targetE1EEEvSR_
    .private_segment_fixed_size: 0
    .sgpr_count:     4
    .sgpr_spill_count: 0
    .symbol:         _ZN7rocprim17ROCPRIM_400000_NS6detail17trampoline_kernelINS0_14default_configENS1_29binary_search_config_selectorIsN6thrust23THRUST_200600_302600_NS6detail10any_assignEEEZNS1_14transform_implILb0ES3_S9_NS7_15normal_iteratorINS6_10device_ptrIsEEEENS6_16discard_iteratorINS6_11use_defaultEEEZNS1_13binary_searchIS3_S9_SE_SE_SH_NS1_16binary_search_opENS7_16wrapped_functionINS0_4lessIvEEbEEEE10hipError_tPvRmT1_T2_T3_mmT4_T5_P12ihipStream_tbEUlRKsE_EESO_SS_ST_mSU_SX_bEUlT_E_NS1_11comp_targetILNS1_3genE3ELNS1_11target_archE908ELNS1_3gpuE7ELNS1_3repE0EEENS1_30default_config_static_selectorELNS0_4arch9wavefront6targetE1EEEvSR_.kd
    .uniform_work_group_size: 1
    .uses_dynamic_stack: false
    .vgpr_count:     0
    .vgpr_spill_count: 0
    .wavefront_size: 64
  - .agpr_count:     0
    .args:
      - .offset:         0
        .size:           64
        .value_kind:     by_value
    .group_segment_fixed_size: 0
    .kernarg_segment_align: 8
    .kernarg_segment_size: 64
    .language:       OpenCL C
    .language_version:
      - 2
      - 0
    .max_flat_workgroup_size: 256
    .name:           _ZN7rocprim17ROCPRIM_400000_NS6detail17trampoline_kernelINS0_14default_configENS1_29binary_search_config_selectorIsN6thrust23THRUST_200600_302600_NS6detail10any_assignEEEZNS1_14transform_implILb0ES3_S9_NS7_15normal_iteratorINS6_10device_ptrIsEEEENS6_16discard_iteratorINS6_11use_defaultEEEZNS1_13binary_searchIS3_S9_SE_SE_SH_NS1_16binary_search_opENS7_16wrapped_functionINS0_4lessIvEEbEEEE10hipError_tPvRmT1_T2_T3_mmT4_T5_P12ihipStream_tbEUlRKsE_EESO_SS_ST_mSU_SX_bEUlT_E_NS1_11comp_targetILNS1_3genE2ELNS1_11target_archE906ELNS1_3gpuE6ELNS1_3repE0EEENS1_30default_config_static_selectorELNS0_4arch9wavefront6targetE1EEEvSR_
    .private_segment_fixed_size: 0
    .sgpr_count:     4
    .sgpr_spill_count: 0
    .symbol:         _ZN7rocprim17ROCPRIM_400000_NS6detail17trampoline_kernelINS0_14default_configENS1_29binary_search_config_selectorIsN6thrust23THRUST_200600_302600_NS6detail10any_assignEEEZNS1_14transform_implILb0ES3_S9_NS7_15normal_iteratorINS6_10device_ptrIsEEEENS6_16discard_iteratorINS6_11use_defaultEEEZNS1_13binary_searchIS3_S9_SE_SE_SH_NS1_16binary_search_opENS7_16wrapped_functionINS0_4lessIvEEbEEEE10hipError_tPvRmT1_T2_T3_mmT4_T5_P12ihipStream_tbEUlRKsE_EESO_SS_ST_mSU_SX_bEUlT_E_NS1_11comp_targetILNS1_3genE2ELNS1_11target_archE906ELNS1_3gpuE6ELNS1_3repE0EEENS1_30default_config_static_selectorELNS0_4arch9wavefront6targetE1EEEvSR_.kd
    .uniform_work_group_size: 1
    .uses_dynamic_stack: false
    .vgpr_count:     0
    .vgpr_spill_count: 0
    .wavefront_size: 64
  - .agpr_count:     0
    .args:
      - .offset:         0
        .size:           64
        .value_kind:     by_value
    .group_segment_fixed_size: 0
    .kernarg_segment_align: 8
    .kernarg_segment_size: 64
    .language:       OpenCL C
    .language_version:
      - 2
      - 0
    .max_flat_workgroup_size: 256
    .name:           _ZN7rocprim17ROCPRIM_400000_NS6detail17trampoline_kernelINS0_14default_configENS1_29binary_search_config_selectorIsN6thrust23THRUST_200600_302600_NS6detail10any_assignEEEZNS1_14transform_implILb0ES3_S9_NS7_15normal_iteratorINS6_10device_ptrIsEEEENS6_16discard_iteratorINS6_11use_defaultEEEZNS1_13binary_searchIS3_S9_SE_SE_SH_NS1_16binary_search_opENS7_16wrapped_functionINS0_4lessIvEEbEEEE10hipError_tPvRmT1_T2_T3_mmT4_T5_P12ihipStream_tbEUlRKsE_EESO_SS_ST_mSU_SX_bEUlT_E_NS1_11comp_targetILNS1_3genE10ELNS1_11target_archE1201ELNS1_3gpuE5ELNS1_3repE0EEENS1_30default_config_static_selectorELNS0_4arch9wavefront6targetE1EEEvSR_
    .private_segment_fixed_size: 0
    .sgpr_count:     4
    .sgpr_spill_count: 0
    .symbol:         _ZN7rocprim17ROCPRIM_400000_NS6detail17trampoline_kernelINS0_14default_configENS1_29binary_search_config_selectorIsN6thrust23THRUST_200600_302600_NS6detail10any_assignEEEZNS1_14transform_implILb0ES3_S9_NS7_15normal_iteratorINS6_10device_ptrIsEEEENS6_16discard_iteratorINS6_11use_defaultEEEZNS1_13binary_searchIS3_S9_SE_SE_SH_NS1_16binary_search_opENS7_16wrapped_functionINS0_4lessIvEEbEEEE10hipError_tPvRmT1_T2_T3_mmT4_T5_P12ihipStream_tbEUlRKsE_EESO_SS_ST_mSU_SX_bEUlT_E_NS1_11comp_targetILNS1_3genE10ELNS1_11target_archE1201ELNS1_3gpuE5ELNS1_3repE0EEENS1_30default_config_static_selectorELNS0_4arch9wavefront6targetE1EEEvSR_.kd
    .uniform_work_group_size: 1
    .uses_dynamic_stack: false
    .vgpr_count:     0
    .vgpr_spill_count: 0
    .wavefront_size: 64
  - .agpr_count:     0
    .args:
      - .offset:         0
        .size:           64
        .value_kind:     by_value
    .group_segment_fixed_size: 0
    .kernarg_segment_align: 8
    .kernarg_segment_size: 64
    .language:       OpenCL C
    .language_version:
      - 2
      - 0
    .max_flat_workgroup_size: 256
    .name:           _ZN7rocprim17ROCPRIM_400000_NS6detail17trampoline_kernelINS0_14default_configENS1_29binary_search_config_selectorIsN6thrust23THRUST_200600_302600_NS6detail10any_assignEEEZNS1_14transform_implILb0ES3_S9_NS7_15normal_iteratorINS6_10device_ptrIsEEEENS6_16discard_iteratorINS6_11use_defaultEEEZNS1_13binary_searchIS3_S9_SE_SE_SH_NS1_16binary_search_opENS7_16wrapped_functionINS0_4lessIvEEbEEEE10hipError_tPvRmT1_T2_T3_mmT4_T5_P12ihipStream_tbEUlRKsE_EESO_SS_ST_mSU_SX_bEUlT_E_NS1_11comp_targetILNS1_3genE10ELNS1_11target_archE1200ELNS1_3gpuE4ELNS1_3repE0EEENS1_30default_config_static_selectorELNS0_4arch9wavefront6targetE1EEEvSR_
    .private_segment_fixed_size: 0
    .sgpr_count:     4
    .sgpr_spill_count: 0
    .symbol:         _ZN7rocprim17ROCPRIM_400000_NS6detail17trampoline_kernelINS0_14default_configENS1_29binary_search_config_selectorIsN6thrust23THRUST_200600_302600_NS6detail10any_assignEEEZNS1_14transform_implILb0ES3_S9_NS7_15normal_iteratorINS6_10device_ptrIsEEEENS6_16discard_iteratorINS6_11use_defaultEEEZNS1_13binary_searchIS3_S9_SE_SE_SH_NS1_16binary_search_opENS7_16wrapped_functionINS0_4lessIvEEbEEEE10hipError_tPvRmT1_T2_T3_mmT4_T5_P12ihipStream_tbEUlRKsE_EESO_SS_ST_mSU_SX_bEUlT_E_NS1_11comp_targetILNS1_3genE10ELNS1_11target_archE1200ELNS1_3gpuE4ELNS1_3repE0EEENS1_30default_config_static_selectorELNS0_4arch9wavefront6targetE1EEEvSR_.kd
    .uniform_work_group_size: 1
    .uses_dynamic_stack: false
    .vgpr_count:     0
    .vgpr_spill_count: 0
    .wavefront_size: 64
  - .agpr_count:     0
    .args:
      - .offset:         0
        .size:           64
        .value_kind:     by_value
    .group_segment_fixed_size: 0
    .kernarg_segment_align: 8
    .kernarg_segment_size: 64
    .language:       OpenCL C
    .language_version:
      - 2
      - 0
    .max_flat_workgroup_size: 64
    .name:           _ZN7rocprim17ROCPRIM_400000_NS6detail17trampoline_kernelINS0_14default_configENS1_29binary_search_config_selectorIsN6thrust23THRUST_200600_302600_NS6detail10any_assignEEEZNS1_14transform_implILb0ES3_S9_NS7_15normal_iteratorINS6_10device_ptrIsEEEENS6_16discard_iteratorINS6_11use_defaultEEEZNS1_13binary_searchIS3_S9_SE_SE_SH_NS1_16binary_search_opENS7_16wrapped_functionINS0_4lessIvEEbEEEE10hipError_tPvRmT1_T2_T3_mmT4_T5_P12ihipStream_tbEUlRKsE_EESO_SS_ST_mSU_SX_bEUlT_E_NS1_11comp_targetILNS1_3genE9ELNS1_11target_archE1100ELNS1_3gpuE3ELNS1_3repE0EEENS1_30default_config_static_selectorELNS0_4arch9wavefront6targetE1EEEvSR_
    .private_segment_fixed_size: 0
    .sgpr_count:     4
    .sgpr_spill_count: 0
    .symbol:         _ZN7rocprim17ROCPRIM_400000_NS6detail17trampoline_kernelINS0_14default_configENS1_29binary_search_config_selectorIsN6thrust23THRUST_200600_302600_NS6detail10any_assignEEEZNS1_14transform_implILb0ES3_S9_NS7_15normal_iteratorINS6_10device_ptrIsEEEENS6_16discard_iteratorINS6_11use_defaultEEEZNS1_13binary_searchIS3_S9_SE_SE_SH_NS1_16binary_search_opENS7_16wrapped_functionINS0_4lessIvEEbEEEE10hipError_tPvRmT1_T2_T3_mmT4_T5_P12ihipStream_tbEUlRKsE_EESO_SS_ST_mSU_SX_bEUlT_E_NS1_11comp_targetILNS1_3genE9ELNS1_11target_archE1100ELNS1_3gpuE3ELNS1_3repE0EEENS1_30default_config_static_selectorELNS0_4arch9wavefront6targetE1EEEvSR_.kd
    .uniform_work_group_size: 1
    .uses_dynamic_stack: false
    .vgpr_count:     0
    .vgpr_spill_count: 0
    .wavefront_size: 64
  - .agpr_count:     0
    .args:
      - .offset:         0
        .size:           64
        .value_kind:     by_value
    .group_segment_fixed_size: 0
    .kernarg_segment_align: 8
    .kernarg_segment_size: 64
    .language:       OpenCL C
    .language_version:
      - 2
      - 0
    .max_flat_workgroup_size: 128
    .name:           _ZN7rocprim17ROCPRIM_400000_NS6detail17trampoline_kernelINS0_14default_configENS1_29binary_search_config_selectorIsN6thrust23THRUST_200600_302600_NS6detail10any_assignEEEZNS1_14transform_implILb0ES3_S9_NS7_15normal_iteratorINS6_10device_ptrIsEEEENS6_16discard_iteratorINS6_11use_defaultEEEZNS1_13binary_searchIS3_S9_SE_SE_SH_NS1_16binary_search_opENS7_16wrapped_functionINS0_4lessIvEEbEEEE10hipError_tPvRmT1_T2_T3_mmT4_T5_P12ihipStream_tbEUlRKsE_EESO_SS_ST_mSU_SX_bEUlT_E_NS1_11comp_targetILNS1_3genE8ELNS1_11target_archE1030ELNS1_3gpuE2ELNS1_3repE0EEENS1_30default_config_static_selectorELNS0_4arch9wavefront6targetE1EEEvSR_
    .private_segment_fixed_size: 0
    .sgpr_count:     4
    .sgpr_spill_count: 0
    .symbol:         _ZN7rocprim17ROCPRIM_400000_NS6detail17trampoline_kernelINS0_14default_configENS1_29binary_search_config_selectorIsN6thrust23THRUST_200600_302600_NS6detail10any_assignEEEZNS1_14transform_implILb0ES3_S9_NS7_15normal_iteratorINS6_10device_ptrIsEEEENS6_16discard_iteratorINS6_11use_defaultEEEZNS1_13binary_searchIS3_S9_SE_SE_SH_NS1_16binary_search_opENS7_16wrapped_functionINS0_4lessIvEEbEEEE10hipError_tPvRmT1_T2_T3_mmT4_T5_P12ihipStream_tbEUlRKsE_EESO_SS_ST_mSU_SX_bEUlT_E_NS1_11comp_targetILNS1_3genE8ELNS1_11target_archE1030ELNS1_3gpuE2ELNS1_3repE0EEENS1_30default_config_static_selectorELNS0_4arch9wavefront6targetE1EEEvSR_.kd
    .uniform_work_group_size: 1
    .uses_dynamic_stack: false
    .vgpr_count:     0
    .vgpr_spill_count: 0
    .wavefront_size: 64
amdhsa.target:   amdgcn-amd-amdhsa--gfx90a
amdhsa.version:
  - 1
  - 2
...

	.end_amdgpu_metadata
